;; amdgpu-corpus repo=ROCm/rocSPARSE kind=compiled arch=gfx942 opt=O3
	.text
	.amdgcn_target "amdgcn-amd-amdhsa--gfx942"
	.amdhsa_code_object_version 6
	.section	.text._ZN9rocsparseL19gebsrmvn_3xn_kernelILj128ELj1ELj4EfEEvi20rocsparse_direction_NS_24const_host_device_scalarIT2_EEPKiS6_PKS3_S8_S4_PS3_21rocsparse_index_base_b,"axG",@progbits,_ZN9rocsparseL19gebsrmvn_3xn_kernelILj128ELj1ELj4EfEEvi20rocsparse_direction_NS_24const_host_device_scalarIT2_EEPKiS6_PKS3_S8_S4_PS3_21rocsparse_index_base_b,comdat
	.globl	_ZN9rocsparseL19gebsrmvn_3xn_kernelILj128ELj1ELj4EfEEvi20rocsparse_direction_NS_24const_host_device_scalarIT2_EEPKiS6_PKS3_S8_S4_PS3_21rocsparse_index_base_b ; -- Begin function _ZN9rocsparseL19gebsrmvn_3xn_kernelILj128ELj1ELj4EfEEvi20rocsparse_direction_NS_24const_host_device_scalarIT2_EEPKiS6_PKS3_S8_S4_PS3_21rocsparse_index_base_b
	.p2align	8
	.type	_ZN9rocsparseL19gebsrmvn_3xn_kernelILj128ELj1ELj4EfEEvi20rocsparse_direction_NS_24const_host_device_scalarIT2_EEPKiS6_PKS3_S8_S4_PS3_21rocsparse_index_base_b,@function
_ZN9rocsparseL19gebsrmvn_3xn_kernelILj128ELj1ELj4EfEEvi20rocsparse_direction_NS_24const_host_device_scalarIT2_EEPKiS6_PKS3_S8_S4_PS3_21rocsparse_index_base_b: ; @_ZN9rocsparseL19gebsrmvn_3xn_kernelILj128ELj1ELj4EfEEvi20rocsparse_direction_NS_24const_host_device_scalarIT2_EEPKiS6_PKS3_S8_S4_PS3_21rocsparse_index_base_b
; %bb.0:
	s_load_dwordx2 s[16:17], s[0:1], 0x40
	s_load_dwordx2 s[14:15], s[0:1], 0x8
	;; [unrolled: 1-line block ×3, first 2 shown]
	s_waitcnt lgkmcnt(0)
	s_bitcmp1_b32 s17, 0
	s_cselect_b64 s[6:7], -1, 0
	s_xor_b64 s[4:5], s[6:7], -1
	s_and_b64 vcc, exec, s[6:7]
	s_cbranch_vccnz .LBB0_2
; %bb.1:
	s_load_dword s14, s[14:15], 0x0
.LBB0_2:
	s_andn2_b64 vcc, exec, s[4:5]
	s_cbranch_vccnz .LBB0_4
; %bb.3:
	s_load_dword s12, s[12:13], 0x0
.LBB0_4:
	s_waitcnt lgkmcnt(0)
	v_cmp_eq_f32_e64 s[4:5], s14, 0
	v_cmp_eq_f32_e64 s[6:7], s12, 1.0
	s_and_b64 s[4:5], s[4:5], s[6:7]
	s_and_b64 vcc, exec, s[4:5]
	s_cbranch_vccnz .LBB0_22
; %bb.5:
	s_load_dwordx2 s[18:19], s[0:1], 0x0
	v_lshrrev_b32_e32 v1, 2, v0
	v_lshl_or_b32 v2, s2, 5, v1
	s_waitcnt lgkmcnt(0)
	v_cmp_gt_i32_e32 vcc, s18, v2
	s_and_saveexec_b64 s[2:3], vcc
	s_cbranch_execz .LBB0_22
; %bb.6:
	s_load_dwordx8 s[4:11], s[0:1], 0x10
	v_ashrrev_i32_e32 v3, 31, v2
	s_cmp_lg_u32 s19, 0
	s_waitcnt lgkmcnt(0)
	v_lshl_add_u64 v[4:5], v[2:3], 2, s[4:5]
	global_load_dwordx2 v[4:5], v[4:5], off
	v_and_b32_e32 v3, 3, v0
	s_waitcnt vmcnt(0)
	v_subrev_u32_e32 v0, s16, v4
	v_subrev_u32_e32 v10, s16, v5
	v_add_u32_e32 v4, v0, v3
	v_cmp_lt_i32_e64 s[2:3], v4, v10
	s_cbranch_scc0 .LBB0_12
; %bb.7:
	v_mov_b32_e32 v1, 0
	v_mov_b32_e32 v0, v1
	;; [unrolled: 1-line block ×3, first 2 shown]
	s_and_saveexec_b64 s[4:5], s[2:3]
	s_cbranch_execz .LBB0_11
; %bb.8:
	v_mov_b32_e32 v7, 0
	v_lshl_add_u32 v6, v4, 1, v4
	s_mov_b64 s[18:19], 0
	v_mov_b32_e32 v8, v4
	v_mov_b32_e32 v11, v7
	;; [unrolled: 1-line block ×4, first 2 shown]
.LBB0_9:                                ; =>This Inner Loop Header: Depth=1
	v_ashrrev_i32_e32 v9, 31, v8
	v_lshl_add_u64 v[12:13], v[8:9], 2, s[6:7]
	global_load_dword v5, v[12:13], off
	v_mov_b32_e32 v15, v7
	v_add_u32_e32 v16, 1, v6
	v_mov_b32_e32 v17, v7
	v_lshl_add_u64 v[12:13], v[6:7], 2, s[8:9]
	v_add_u32_e32 v18, 2, v6
	v_mov_b32_e32 v19, v7
	v_lshl_add_u64 v[16:17], v[16:17], 2, s[8:9]
	global_load_dword v12, v[12:13], off
	v_lshl_add_u64 v[18:19], v[18:19], 2, s[8:9]
	global_load_dword v13, v[16:17], off
	global_load_dword v9, v[18:19], off
	v_add_u32_e32 v8, 4, v8
	v_cmp_ge_i32_e32 vcc, v8, v10
	v_add_u32_e32 v6, 12, v6
	s_or_b64 s[18:19], vcc, s[18:19]
	s_waitcnt vmcnt(3)
	v_subrev_u32_e32 v14, s16, v5
	v_lshl_add_u64 v[14:15], v[14:15], 2, s[10:11]
	global_load_dword v14, v[14:15], off
	s_waitcnt vmcnt(0)
	v_pk_fma_f32 v[0:1], v[12:13], v[14:15], v[0:1] op_sel_hi:[1,0,1]
	v_fmac_f32_e32 v11, v9, v14
	s_andn2_b64 exec, exec, s[18:19]
	s_cbranch_execnz .LBB0_9
; %bb.10:
	s_or_b64 exec, exec, s[18:19]
.LBB0_11:
	s_or_b64 exec, exec, s[4:5]
	s_cbranch_execz .LBB0_13
	s_branch .LBB0_18
.LBB0_12:
                                        ; implicit-def: $vgpr1
                                        ; implicit-def: $vgpr11
.LBB0_13:
	v_mov_b32_e32 v1, 0
	v_mov_b32_e32 v0, v1
	;; [unrolled: 1-line block ×3, first 2 shown]
	s_and_saveexec_b64 s[4:5], s[2:3]
	s_cbranch_execz .LBB0_17
; %bb.14:
	v_mov_b32_e32 v7, 0
	v_lshl_add_u32 v6, v4, 1, v4
	s_mov_b64 s[2:3], 0
	v_mov_b32_e32 v11, v7
	v_mov_b32_e32 v0, v7
	;; [unrolled: 1-line block ×3, first 2 shown]
.LBB0_15:                               ; =>This Inner Loop Header: Depth=1
	v_ashrrev_i32_e32 v5, 31, v4
	v_lshl_add_u64 v[8:9], v[4:5], 2, s[6:7]
	global_load_dword v5, v[8:9], off
	v_mov_b32_e32 v13, v7
	v_add_u32_e32 v14, 1, v6
	v_mov_b32_e32 v15, v7
	v_lshl_add_u64 v[8:9], v[6:7], 2, s[8:9]
	v_add_u32_e32 v16, 2, v6
	v_mov_b32_e32 v17, v7
	v_lshl_add_u64 v[14:15], v[14:15], 2, s[8:9]
	global_load_dword v8, v[8:9], off
	v_lshl_add_u64 v[16:17], v[16:17], 2, s[8:9]
	global_load_dword v9, v[14:15], off
	global_load_dword v18, v[16:17], off
	v_add_u32_e32 v4, 4, v4
	v_cmp_ge_i32_e32 vcc, v4, v10
	v_add_u32_e32 v6, 12, v6
	s_or_b64 s[2:3], vcc, s[2:3]
	s_waitcnt vmcnt(3)
	v_subrev_u32_e32 v12, s16, v5
	v_lshl_add_u64 v[12:13], v[12:13], 2, s[10:11]
	global_load_dword v12, v[12:13], off
	s_waitcnt vmcnt(0)
	v_pk_fma_f32 v[0:1], v[8:9], v[12:13], v[0:1] op_sel_hi:[1,0,1]
	v_fmac_f32_e32 v11, v18, v12
	s_andn2_b64 exec, exec, s[2:3]
	s_cbranch_execnz .LBB0_15
; %bb.16:
	s_or_b64 exec, exec, s[2:3]
.LBB0_17:
	s_or_b64 exec, exec, s[4:5]
.LBB0_18:
	v_mov_b32_dpp v4, v0 row_shr:1 row_mask:0xf bank_mask:0xf
	v_mov_b32_dpp v5, v1 row_shr:1 row_mask:0xf bank_mask:0xf
	;; [unrolled: 1-line block ×3, first 2 shown]
	v_pk_add_f32 v[0:1], v[0:1], v[4:5]
	v_add_f32_e32 v6, v11, v6
	v_cmp_eq_u32_e32 vcc, 3, v3
	v_mov_b32_dpp v4, v0 row_shr:2 row_mask:0xf bank_mask:0xf
	v_mov_b32_dpp v5, v1 row_shr:2 row_mask:0xf bank_mask:0xf
	v_mov_b32_dpp v7, v6 row_shr:2 row_mask:0xf bank_mask:0xf
	s_and_b64 exec, exec, vcc
	s_cbranch_execz .LBB0_22
; %bb.19:
	s_load_dwordx2 s[0:1], s[0:1], 0x38
	v_pk_add_f32 v[4:5], v[0:1], v[4:5]
	v_add_f32_e32 v0, v6, v7
	v_cmp_eq_f32_e64 s[2:3], s12, 0
	v_lshl_add_u32 v6, v2, 1, v2
	s_and_b64 vcc, exec, s[2:3]
	v_mul_f32_e32 v2, s14, v0
	v_ashrrev_i32_e32 v7, 31, v6
	s_cbranch_vccz .LBB0_23
; %bb.20:
	s_waitcnt lgkmcnt(0)
	v_lshl_add_u64 v[8:9], v[6:7], 2, s[0:1]
	v_pk_mul_f32 v[0:1], s[14:15], v[4:5] op_sel_hi:[0,1]
	global_store_dwordx3 v[8:9], v[0:2], off
	s_cbranch_execnz .LBB0_22
.LBB0_21:
	s_waitcnt lgkmcnt(0)
	v_lshl_add_u64 v[10:11], v[6:7], 2, s[0:1]
	global_load_dwordx3 v[6:8], v[10:11], off
	v_pk_mul_f32 v[0:1], s[14:15], v[4:5] op_sel_hi:[0,1]
	s_waitcnt vmcnt(0)
	v_pk_fma_f32 v[0:1], s[12:13], v[6:7], v[0:1] op_sel_hi:[0,1,1]
	v_fmac_f32_e32 v2, s12, v8
	global_store_dwordx3 v[10:11], v[0:2], off
.LBB0_22:
	s_endpgm
.LBB0_23:
	s_branch .LBB0_21
	.section	.rodata,"a",@progbits
	.p2align	6, 0x0
	.amdhsa_kernel _ZN9rocsparseL19gebsrmvn_3xn_kernelILj128ELj1ELj4EfEEvi20rocsparse_direction_NS_24const_host_device_scalarIT2_EEPKiS6_PKS3_S8_S4_PS3_21rocsparse_index_base_b
		.amdhsa_group_segment_fixed_size 0
		.amdhsa_private_segment_fixed_size 0
		.amdhsa_kernarg_size 72
		.amdhsa_user_sgpr_count 2
		.amdhsa_user_sgpr_dispatch_ptr 0
		.amdhsa_user_sgpr_queue_ptr 0
		.amdhsa_user_sgpr_kernarg_segment_ptr 1
		.amdhsa_user_sgpr_dispatch_id 0
		.amdhsa_user_sgpr_kernarg_preload_length 0
		.amdhsa_user_sgpr_kernarg_preload_offset 0
		.amdhsa_user_sgpr_private_segment_size 0
		.amdhsa_uses_dynamic_stack 0
		.amdhsa_enable_private_segment 0
		.amdhsa_system_sgpr_workgroup_id_x 1
		.amdhsa_system_sgpr_workgroup_id_y 0
		.amdhsa_system_sgpr_workgroup_id_z 0
		.amdhsa_system_sgpr_workgroup_info 0
		.amdhsa_system_vgpr_workitem_id 0
		.amdhsa_next_free_vgpr 20
		.amdhsa_next_free_sgpr 20
		.amdhsa_accum_offset 20
		.amdhsa_reserve_vcc 1
		.amdhsa_float_round_mode_32 0
		.amdhsa_float_round_mode_16_64 0
		.amdhsa_float_denorm_mode_32 3
		.amdhsa_float_denorm_mode_16_64 3
		.amdhsa_dx10_clamp 1
		.amdhsa_ieee_mode 1
		.amdhsa_fp16_overflow 0
		.amdhsa_tg_split 0
		.amdhsa_exception_fp_ieee_invalid_op 0
		.amdhsa_exception_fp_denorm_src 0
		.amdhsa_exception_fp_ieee_div_zero 0
		.amdhsa_exception_fp_ieee_overflow 0
		.amdhsa_exception_fp_ieee_underflow 0
		.amdhsa_exception_fp_ieee_inexact 0
		.amdhsa_exception_int_div_zero 0
	.end_amdhsa_kernel
	.section	.text._ZN9rocsparseL19gebsrmvn_3xn_kernelILj128ELj1ELj4EfEEvi20rocsparse_direction_NS_24const_host_device_scalarIT2_EEPKiS6_PKS3_S8_S4_PS3_21rocsparse_index_base_b,"axG",@progbits,_ZN9rocsparseL19gebsrmvn_3xn_kernelILj128ELj1ELj4EfEEvi20rocsparse_direction_NS_24const_host_device_scalarIT2_EEPKiS6_PKS3_S8_S4_PS3_21rocsparse_index_base_b,comdat
.Lfunc_end0:
	.size	_ZN9rocsparseL19gebsrmvn_3xn_kernelILj128ELj1ELj4EfEEvi20rocsparse_direction_NS_24const_host_device_scalarIT2_EEPKiS6_PKS3_S8_S4_PS3_21rocsparse_index_base_b, .Lfunc_end0-_ZN9rocsparseL19gebsrmvn_3xn_kernelILj128ELj1ELj4EfEEvi20rocsparse_direction_NS_24const_host_device_scalarIT2_EEPKiS6_PKS3_S8_S4_PS3_21rocsparse_index_base_b
                                        ; -- End function
	.section	.AMDGPU.csdata,"",@progbits
; Kernel info:
; codeLenInByte = 852
; NumSgprs: 26
; NumVgprs: 20
; NumAgprs: 0
; TotalNumVgprs: 20
; ScratchSize: 0
; MemoryBound: 0
; FloatMode: 240
; IeeeMode: 1
; LDSByteSize: 0 bytes/workgroup (compile time only)
; SGPRBlocks: 3
; VGPRBlocks: 2
; NumSGPRsForWavesPerEU: 26
; NumVGPRsForWavesPerEU: 20
; AccumOffset: 20
; Occupancy: 8
; WaveLimiterHint : 1
; COMPUTE_PGM_RSRC2:SCRATCH_EN: 0
; COMPUTE_PGM_RSRC2:USER_SGPR: 2
; COMPUTE_PGM_RSRC2:TRAP_HANDLER: 0
; COMPUTE_PGM_RSRC2:TGID_X_EN: 1
; COMPUTE_PGM_RSRC2:TGID_Y_EN: 0
; COMPUTE_PGM_RSRC2:TGID_Z_EN: 0
; COMPUTE_PGM_RSRC2:TIDIG_COMP_CNT: 0
; COMPUTE_PGM_RSRC3_GFX90A:ACCUM_OFFSET: 4
; COMPUTE_PGM_RSRC3_GFX90A:TG_SPLIT: 0
	.section	.text._ZN9rocsparseL19gebsrmvn_3xn_kernelILj128ELj1ELj8EfEEvi20rocsparse_direction_NS_24const_host_device_scalarIT2_EEPKiS6_PKS3_S8_S4_PS3_21rocsparse_index_base_b,"axG",@progbits,_ZN9rocsparseL19gebsrmvn_3xn_kernelILj128ELj1ELj8EfEEvi20rocsparse_direction_NS_24const_host_device_scalarIT2_EEPKiS6_PKS3_S8_S4_PS3_21rocsparse_index_base_b,comdat
	.globl	_ZN9rocsparseL19gebsrmvn_3xn_kernelILj128ELj1ELj8EfEEvi20rocsparse_direction_NS_24const_host_device_scalarIT2_EEPKiS6_PKS3_S8_S4_PS3_21rocsparse_index_base_b ; -- Begin function _ZN9rocsparseL19gebsrmvn_3xn_kernelILj128ELj1ELj8EfEEvi20rocsparse_direction_NS_24const_host_device_scalarIT2_EEPKiS6_PKS3_S8_S4_PS3_21rocsparse_index_base_b
	.p2align	8
	.type	_ZN9rocsparseL19gebsrmvn_3xn_kernelILj128ELj1ELj8EfEEvi20rocsparse_direction_NS_24const_host_device_scalarIT2_EEPKiS6_PKS3_S8_S4_PS3_21rocsparse_index_base_b,@function
_ZN9rocsparseL19gebsrmvn_3xn_kernelILj128ELj1ELj8EfEEvi20rocsparse_direction_NS_24const_host_device_scalarIT2_EEPKiS6_PKS3_S8_S4_PS3_21rocsparse_index_base_b: ; @_ZN9rocsparseL19gebsrmvn_3xn_kernelILj128ELj1ELj8EfEEvi20rocsparse_direction_NS_24const_host_device_scalarIT2_EEPKiS6_PKS3_S8_S4_PS3_21rocsparse_index_base_b
; %bb.0:
	s_load_dwordx2 s[16:17], s[0:1], 0x40
	s_load_dwordx2 s[14:15], s[0:1], 0x8
	;; [unrolled: 1-line block ×3, first 2 shown]
	s_waitcnt lgkmcnt(0)
	s_bitcmp1_b32 s17, 0
	s_cselect_b64 s[6:7], -1, 0
	s_xor_b64 s[4:5], s[6:7], -1
	s_and_b64 vcc, exec, s[6:7]
	s_cbranch_vccnz .LBB1_2
; %bb.1:
	s_load_dword s14, s[14:15], 0x0
.LBB1_2:
	s_andn2_b64 vcc, exec, s[4:5]
	s_cbranch_vccnz .LBB1_4
; %bb.3:
	s_load_dword s12, s[12:13], 0x0
.LBB1_4:
	s_waitcnt lgkmcnt(0)
	v_cmp_eq_f32_e64 s[4:5], s14, 0
	v_cmp_eq_f32_e64 s[6:7], s12, 1.0
	s_and_b64 s[4:5], s[4:5], s[6:7]
	s_and_b64 vcc, exec, s[4:5]
	s_cbranch_vccnz .LBB1_22
; %bb.5:
	s_load_dwordx2 s[18:19], s[0:1], 0x0
	v_lshrrev_b32_e32 v1, 3, v0
	v_lshl_or_b32 v2, s2, 4, v1
	s_waitcnt lgkmcnt(0)
	v_cmp_gt_i32_e32 vcc, s18, v2
	s_and_saveexec_b64 s[2:3], vcc
	s_cbranch_execz .LBB1_22
; %bb.6:
	s_load_dwordx8 s[4:11], s[0:1], 0x10
	v_ashrrev_i32_e32 v3, 31, v2
	s_cmp_lg_u32 s19, 0
	s_waitcnt lgkmcnt(0)
	v_lshl_add_u64 v[4:5], v[2:3], 2, s[4:5]
	global_load_dwordx2 v[4:5], v[4:5], off
	v_and_b32_e32 v3, 7, v0
	s_waitcnt vmcnt(0)
	v_subrev_u32_e32 v0, s16, v4
	v_subrev_u32_e32 v11, s16, v5
	v_add_u32_e32 v4, v0, v3
	v_cmp_lt_i32_e64 s[2:3], v4, v11
	s_cbranch_scc0 .LBB1_12
; %bb.7:
	v_mov_b32_e32 v1, 0
	v_mov_b32_e32 v0, v1
	;; [unrolled: 1-line block ×3, first 2 shown]
	s_and_saveexec_b64 s[4:5], s[2:3]
	s_cbranch_execz .LBB1_11
; %bb.8:
	v_mov_b32_e32 v7, 0
	v_lshl_add_u32 v6, v4, 1, v4
	s_mov_b64 s[18:19], 0
	v_mov_b32_e32 v8, v4
	v_mov_b32_e32 v10, v7
	;; [unrolled: 1-line block ×4, first 2 shown]
.LBB1_9:                                ; =>This Inner Loop Header: Depth=1
	v_ashrrev_i32_e32 v9, 31, v8
	v_lshl_add_u64 v[12:13], v[8:9], 2, s[6:7]
	global_load_dword v5, v[12:13], off
	v_mov_b32_e32 v15, v7
	v_add_u32_e32 v16, 1, v6
	v_mov_b32_e32 v17, v7
	v_lshl_add_u64 v[12:13], v[6:7], 2, s[8:9]
	v_add_u32_e32 v18, 2, v6
	v_mov_b32_e32 v19, v7
	v_lshl_add_u64 v[16:17], v[16:17], 2, s[8:9]
	global_load_dword v12, v[12:13], off
	v_lshl_add_u64 v[18:19], v[18:19], 2, s[8:9]
	global_load_dword v13, v[16:17], off
	global_load_dword v9, v[18:19], off
	v_add_u32_e32 v8, 8, v8
	v_cmp_ge_i32_e32 vcc, v8, v11
	v_add_u32_e32 v6, 24, v6
	s_or_b64 s[18:19], vcc, s[18:19]
	s_waitcnt vmcnt(3)
	v_subrev_u32_e32 v14, s16, v5
	v_lshl_add_u64 v[14:15], v[14:15], 2, s[10:11]
	global_load_dword v14, v[14:15], off
	s_waitcnt vmcnt(0)
	v_pk_fma_f32 v[0:1], v[12:13], v[14:15], v[0:1] op_sel_hi:[1,0,1]
	v_fmac_f32_e32 v10, v9, v14
	s_andn2_b64 exec, exec, s[18:19]
	s_cbranch_execnz .LBB1_9
; %bb.10:
	s_or_b64 exec, exec, s[18:19]
.LBB1_11:
	s_or_b64 exec, exec, s[4:5]
	s_cbranch_execz .LBB1_13
	s_branch .LBB1_18
.LBB1_12:
                                        ; implicit-def: $vgpr1
                                        ; implicit-def: $vgpr10
.LBB1_13:
	v_mov_b32_e32 v1, 0
	v_mov_b32_e32 v0, v1
	;; [unrolled: 1-line block ×3, first 2 shown]
	s_and_saveexec_b64 s[4:5], s[2:3]
	s_cbranch_execz .LBB1_17
; %bb.14:
	v_mov_b32_e32 v7, 0
	v_lshl_add_u32 v6, v4, 1, v4
	s_mov_b64 s[2:3], 0
	v_mov_b32_e32 v10, v7
	v_mov_b32_e32 v0, v7
	;; [unrolled: 1-line block ×3, first 2 shown]
.LBB1_15:                               ; =>This Inner Loop Header: Depth=1
	v_ashrrev_i32_e32 v5, 31, v4
	v_lshl_add_u64 v[8:9], v[4:5], 2, s[6:7]
	global_load_dword v5, v[8:9], off
	v_mov_b32_e32 v13, v7
	v_add_u32_e32 v14, 1, v6
	v_mov_b32_e32 v15, v7
	v_lshl_add_u64 v[8:9], v[6:7], 2, s[8:9]
	v_add_u32_e32 v16, 2, v6
	v_mov_b32_e32 v17, v7
	v_lshl_add_u64 v[14:15], v[14:15], 2, s[8:9]
	global_load_dword v8, v[8:9], off
	v_lshl_add_u64 v[16:17], v[16:17], 2, s[8:9]
	global_load_dword v9, v[14:15], off
	global_load_dword v18, v[16:17], off
	v_add_u32_e32 v4, 8, v4
	v_cmp_ge_i32_e32 vcc, v4, v11
	v_add_u32_e32 v6, 24, v6
	s_or_b64 s[2:3], vcc, s[2:3]
	s_waitcnt vmcnt(3)
	v_subrev_u32_e32 v12, s16, v5
	v_lshl_add_u64 v[12:13], v[12:13], 2, s[10:11]
	global_load_dword v12, v[12:13], off
	s_waitcnt vmcnt(0)
	v_pk_fma_f32 v[0:1], v[8:9], v[12:13], v[0:1] op_sel_hi:[1,0,1]
	v_fmac_f32_e32 v10, v18, v12
	s_andn2_b64 exec, exec, s[2:3]
	s_cbranch_execnz .LBB1_15
; %bb.16:
	s_or_b64 exec, exec, s[2:3]
.LBB1_17:
	s_or_b64 exec, exec, s[4:5]
.LBB1_18:
	v_mov_b32_dpp v4, v0 row_shr:1 row_mask:0xf bank_mask:0xf
	v_mov_b32_dpp v5, v1 row_shr:1 row_mask:0xf bank_mask:0xf
	v_mov_b32_dpp v6, v10 row_shr:1 row_mask:0xf bank_mask:0xf
	v_pk_add_f32 v[0:1], v[0:1], v[4:5]
	v_add_f32_e32 v6, v10, v6
	v_cmp_eq_u32_e32 vcc, 7, v3
	v_mov_b32_dpp v4, v0 row_shr:2 row_mask:0xf bank_mask:0xf
	v_mov_b32_dpp v5, v1 row_shr:2 row_mask:0xf bank_mask:0xf
	;; [unrolled: 1-line block ×3, first 2 shown]
	v_pk_add_f32 v[0:1], v[0:1], v[4:5]
	v_add_f32_e32 v6, v6, v7
	s_nop 0
	v_mov_b32_dpp v4, v0 row_shr:4 row_mask:0xf bank_mask:0xe
	v_mov_b32_dpp v5, v1 row_shr:4 row_mask:0xf bank_mask:0xe
	;; [unrolled: 1-line block ×3, first 2 shown]
	s_and_b64 exec, exec, vcc
	s_cbranch_execz .LBB1_22
; %bb.19:
	s_load_dwordx2 s[0:1], s[0:1], 0x38
	v_pk_add_f32 v[4:5], v[0:1], v[4:5]
	v_add_f32_e32 v0, v6, v7
	v_cmp_eq_f32_e64 s[2:3], s12, 0
	v_lshl_add_u32 v6, v2, 1, v2
	s_and_b64 vcc, exec, s[2:3]
	v_mul_f32_e32 v2, s14, v0
	v_ashrrev_i32_e32 v7, 31, v6
	s_cbranch_vccz .LBB1_23
; %bb.20:
	s_waitcnt lgkmcnt(0)
	v_lshl_add_u64 v[8:9], v[6:7], 2, s[0:1]
	v_pk_mul_f32 v[0:1], s[14:15], v[4:5] op_sel_hi:[0,1]
	global_store_dwordx3 v[8:9], v[0:2], off
	s_cbranch_execnz .LBB1_22
.LBB1_21:
	s_waitcnt lgkmcnt(0)
	v_lshl_add_u64 v[10:11], v[6:7], 2, s[0:1]
	global_load_dwordx3 v[6:8], v[10:11], off
	v_pk_mul_f32 v[0:1], s[14:15], v[4:5] op_sel_hi:[0,1]
	s_waitcnt vmcnt(0)
	v_pk_fma_f32 v[0:1], s[12:13], v[6:7], v[0:1] op_sel_hi:[0,1,1]
	v_fmac_f32_e32 v2, s12, v8
	global_store_dwordx3 v[10:11], v[0:2], off
.LBB1_22:
	s_endpgm
.LBB1_23:
	s_branch .LBB1_21
	.section	.rodata,"a",@progbits
	.p2align	6, 0x0
	.amdhsa_kernel _ZN9rocsparseL19gebsrmvn_3xn_kernelILj128ELj1ELj8EfEEvi20rocsparse_direction_NS_24const_host_device_scalarIT2_EEPKiS6_PKS3_S8_S4_PS3_21rocsparse_index_base_b
		.amdhsa_group_segment_fixed_size 0
		.amdhsa_private_segment_fixed_size 0
		.amdhsa_kernarg_size 72
		.amdhsa_user_sgpr_count 2
		.amdhsa_user_sgpr_dispatch_ptr 0
		.amdhsa_user_sgpr_queue_ptr 0
		.amdhsa_user_sgpr_kernarg_segment_ptr 1
		.amdhsa_user_sgpr_dispatch_id 0
		.amdhsa_user_sgpr_kernarg_preload_length 0
		.amdhsa_user_sgpr_kernarg_preload_offset 0
		.amdhsa_user_sgpr_private_segment_size 0
		.amdhsa_uses_dynamic_stack 0
		.amdhsa_enable_private_segment 0
		.amdhsa_system_sgpr_workgroup_id_x 1
		.amdhsa_system_sgpr_workgroup_id_y 0
		.amdhsa_system_sgpr_workgroup_id_z 0
		.amdhsa_system_sgpr_workgroup_info 0
		.amdhsa_system_vgpr_workitem_id 0
		.amdhsa_next_free_vgpr 20
		.amdhsa_next_free_sgpr 20
		.amdhsa_accum_offset 20
		.amdhsa_reserve_vcc 1
		.amdhsa_float_round_mode_32 0
		.amdhsa_float_round_mode_16_64 0
		.amdhsa_float_denorm_mode_32 3
		.amdhsa_float_denorm_mode_16_64 3
		.amdhsa_dx10_clamp 1
		.amdhsa_ieee_mode 1
		.amdhsa_fp16_overflow 0
		.amdhsa_tg_split 0
		.amdhsa_exception_fp_ieee_invalid_op 0
		.amdhsa_exception_fp_denorm_src 0
		.amdhsa_exception_fp_ieee_div_zero 0
		.amdhsa_exception_fp_ieee_overflow 0
		.amdhsa_exception_fp_ieee_underflow 0
		.amdhsa_exception_fp_ieee_inexact 0
		.amdhsa_exception_int_div_zero 0
	.end_amdhsa_kernel
	.section	.text._ZN9rocsparseL19gebsrmvn_3xn_kernelILj128ELj1ELj8EfEEvi20rocsparse_direction_NS_24const_host_device_scalarIT2_EEPKiS6_PKS3_S8_S4_PS3_21rocsparse_index_base_b,"axG",@progbits,_ZN9rocsparseL19gebsrmvn_3xn_kernelILj128ELj1ELj8EfEEvi20rocsparse_direction_NS_24const_host_device_scalarIT2_EEPKiS6_PKS3_S8_S4_PS3_21rocsparse_index_base_b,comdat
.Lfunc_end1:
	.size	_ZN9rocsparseL19gebsrmvn_3xn_kernelILj128ELj1ELj8EfEEvi20rocsparse_direction_NS_24const_host_device_scalarIT2_EEPKiS6_PKS3_S8_S4_PS3_21rocsparse_index_base_b, .Lfunc_end1-_ZN9rocsparseL19gebsrmvn_3xn_kernelILj128ELj1ELj8EfEEvi20rocsparse_direction_NS_24const_host_device_scalarIT2_EEPKiS6_PKS3_S8_S4_PS3_21rocsparse_index_base_b
                                        ; -- End function
	.section	.AMDGPU.csdata,"",@progbits
; Kernel info:
; codeLenInByte = 892
; NumSgprs: 26
; NumVgprs: 20
; NumAgprs: 0
; TotalNumVgprs: 20
; ScratchSize: 0
; MemoryBound: 0
; FloatMode: 240
; IeeeMode: 1
; LDSByteSize: 0 bytes/workgroup (compile time only)
; SGPRBlocks: 3
; VGPRBlocks: 2
; NumSGPRsForWavesPerEU: 26
; NumVGPRsForWavesPerEU: 20
; AccumOffset: 20
; Occupancy: 8
; WaveLimiterHint : 1
; COMPUTE_PGM_RSRC2:SCRATCH_EN: 0
; COMPUTE_PGM_RSRC2:USER_SGPR: 2
; COMPUTE_PGM_RSRC2:TRAP_HANDLER: 0
; COMPUTE_PGM_RSRC2:TGID_X_EN: 1
; COMPUTE_PGM_RSRC2:TGID_Y_EN: 0
; COMPUTE_PGM_RSRC2:TGID_Z_EN: 0
; COMPUTE_PGM_RSRC2:TIDIG_COMP_CNT: 0
; COMPUTE_PGM_RSRC3_GFX90A:ACCUM_OFFSET: 4
; COMPUTE_PGM_RSRC3_GFX90A:TG_SPLIT: 0
	.section	.text._ZN9rocsparseL19gebsrmvn_3xn_kernelILj128ELj1ELj16EfEEvi20rocsparse_direction_NS_24const_host_device_scalarIT2_EEPKiS6_PKS3_S8_S4_PS3_21rocsparse_index_base_b,"axG",@progbits,_ZN9rocsparseL19gebsrmvn_3xn_kernelILj128ELj1ELj16EfEEvi20rocsparse_direction_NS_24const_host_device_scalarIT2_EEPKiS6_PKS3_S8_S4_PS3_21rocsparse_index_base_b,comdat
	.globl	_ZN9rocsparseL19gebsrmvn_3xn_kernelILj128ELj1ELj16EfEEvi20rocsparse_direction_NS_24const_host_device_scalarIT2_EEPKiS6_PKS3_S8_S4_PS3_21rocsparse_index_base_b ; -- Begin function _ZN9rocsparseL19gebsrmvn_3xn_kernelILj128ELj1ELj16EfEEvi20rocsparse_direction_NS_24const_host_device_scalarIT2_EEPKiS6_PKS3_S8_S4_PS3_21rocsparse_index_base_b
	.p2align	8
	.type	_ZN9rocsparseL19gebsrmvn_3xn_kernelILj128ELj1ELj16EfEEvi20rocsparse_direction_NS_24const_host_device_scalarIT2_EEPKiS6_PKS3_S8_S4_PS3_21rocsparse_index_base_b,@function
_ZN9rocsparseL19gebsrmvn_3xn_kernelILj128ELj1ELj16EfEEvi20rocsparse_direction_NS_24const_host_device_scalarIT2_EEPKiS6_PKS3_S8_S4_PS3_21rocsparse_index_base_b: ; @_ZN9rocsparseL19gebsrmvn_3xn_kernelILj128ELj1ELj16EfEEvi20rocsparse_direction_NS_24const_host_device_scalarIT2_EEPKiS6_PKS3_S8_S4_PS3_21rocsparse_index_base_b
; %bb.0:
	s_load_dwordx2 s[16:17], s[0:1], 0x40
	s_load_dwordx2 s[14:15], s[0:1], 0x8
	;; [unrolled: 1-line block ×3, first 2 shown]
	s_waitcnt lgkmcnt(0)
	s_bitcmp1_b32 s17, 0
	s_cselect_b64 s[6:7], -1, 0
	s_xor_b64 s[4:5], s[6:7], -1
	s_and_b64 vcc, exec, s[6:7]
	s_cbranch_vccnz .LBB2_2
; %bb.1:
	s_load_dword s14, s[14:15], 0x0
.LBB2_2:
	s_andn2_b64 vcc, exec, s[4:5]
	s_cbranch_vccnz .LBB2_4
; %bb.3:
	s_load_dword s12, s[12:13], 0x0
.LBB2_4:
	s_waitcnt lgkmcnt(0)
	v_cmp_eq_f32_e64 s[4:5], s14, 0
	v_cmp_eq_f32_e64 s[6:7], s12, 1.0
	s_and_b64 s[4:5], s[4:5], s[6:7]
	s_and_b64 vcc, exec, s[4:5]
	s_cbranch_vccnz .LBB2_22
; %bb.5:
	s_load_dwordx2 s[18:19], s[0:1], 0x0
	v_lshrrev_b32_e32 v1, 4, v0
	v_lshl_or_b32 v2, s2, 3, v1
	s_waitcnt lgkmcnt(0)
	v_cmp_gt_i32_e32 vcc, s18, v2
	s_and_saveexec_b64 s[2:3], vcc
	s_cbranch_execz .LBB2_22
; %bb.6:
	s_load_dwordx8 s[4:11], s[0:1], 0x10
	v_ashrrev_i32_e32 v3, 31, v2
	s_cmp_lg_u32 s19, 0
	s_waitcnt lgkmcnt(0)
	v_lshl_add_u64 v[4:5], v[2:3], 2, s[4:5]
	global_load_dwordx2 v[4:5], v[4:5], off
	v_and_b32_e32 v3, 15, v0
	s_waitcnt vmcnt(0)
	v_subrev_u32_e32 v0, s16, v4
	v_subrev_u32_e32 v11, s16, v5
	v_add_u32_e32 v4, v0, v3
	v_cmp_lt_i32_e64 s[2:3], v4, v11
	s_cbranch_scc0 .LBB2_12
; %bb.7:
	v_mov_b32_e32 v1, 0
	v_mov_b32_e32 v0, v1
	;; [unrolled: 1-line block ×3, first 2 shown]
	s_and_saveexec_b64 s[4:5], s[2:3]
	s_cbranch_execz .LBB2_11
; %bb.8:
	v_mov_b32_e32 v7, 0
	v_lshl_add_u32 v6, v4, 1, v4
	s_mov_b64 s[18:19], 0
	v_mov_b32_e32 v8, v4
	v_mov_b32_e32 v10, v7
	;; [unrolled: 1-line block ×4, first 2 shown]
.LBB2_9:                                ; =>This Inner Loop Header: Depth=1
	v_ashrrev_i32_e32 v9, 31, v8
	v_lshl_add_u64 v[12:13], v[8:9], 2, s[6:7]
	global_load_dword v5, v[12:13], off
	v_mov_b32_e32 v15, v7
	v_add_u32_e32 v16, 1, v6
	v_mov_b32_e32 v17, v7
	v_lshl_add_u64 v[12:13], v[6:7], 2, s[8:9]
	v_add_u32_e32 v18, 2, v6
	v_mov_b32_e32 v19, v7
	v_lshl_add_u64 v[16:17], v[16:17], 2, s[8:9]
	global_load_dword v12, v[12:13], off
	v_lshl_add_u64 v[18:19], v[18:19], 2, s[8:9]
	global_load_dword v13, v[16:17], off
	global_load_dword v9, v[18:19], off
	v_add_u32_e32 v8, 16, v8
	v_cmp_ge_i32_e32 vcc, v8, v11
	v_add_u32_e32 v6, 48, v6
	s_or_b64 s[18:19], vcc, s[18:19]
	s_waitcnt vmcnt(3)
	v_subrev_u32_e32 v14, s16, v5
	v_lshl_add_u64 v[14:15], v[14:15], 2, s[10:11]
	global_load_dword v14, v[14:15], off
	s_waitcnt vmcnt(0)
	v_pk_fma_f32 v[0:1], v[12:13], v[14:15], v[0:1] op_sel_hi:[1,0,1]
	v_fmac_f32_e32 v10, v9, v14
	s_andn2_b64 exec, exec, s[18:19]
	s_cbranch_execnz .LBB2_9
; %bb.10:
	s_or_b64 exec, exec, s[18:19]
.LBB2_11:
	s_or_b64 exec, exec, s[4:5]
	s_cbranch_execz .LBB2_13
	s_branch .LBB2_18
.LBB2_12:
                                        ; implicit-def: $vgpr1
                                        ; implicit-def: $vgpr10
.LBB2_13:
	v_mov_b32_e32 v1, 0
	v_mov_b32_e32 v0, v1
	v_mov_b32_e32 v10, v1
	s_and_saveexec_b64 s[4:5], s[2:3]
	s_cbranch_execz .LBB2_17
; %bb.14:
	v_mov_b32_e32 v7, 0
	v_lshl_add_u32 v6, v4, 1, v4
	s_mov_b64 s[2:3], 0
	v_mov_b32_e32 v10, v7
	v_mov_b32_e32 v0, v7
	;; [unrolled: 1-line block ×3, first 2 shown]
.LBB2_15:                               ; =>This Inner Loop Header: Depth=1
	v_ashrrev_i32_e32 v5, 31, v4
	v_lshl_add_u64 v[8:9], v[4:5], 2, s[6:7]
	global_load_dword v5, v[8:9], off
	v_mov_b32_e32 v13, v7
	v_add_u32_e32 v14, 1, v6
	v_mov_b32_e32 v15, v7
	v_lshl_add_u64 v[8:9], v[6:7], 2, s[8:9]
	v_add_u32_e32 v16, 2, v6
	v_mov_b32_e32 v17, v7
	v_lshl_add_u64 v[14:15], v[14:15], 2, s[8:9]
	global_load_dword v8, v[8:9], off
	v_lshl_add_u64 v[16:17], v[16:17], 2, s[8:9]
	global_load_dword v9, v[14:15], off
	global_load_dword v18, v[16:17], off
	v_add_u32_e32 v4, 16, v4
	v_cmp_ge_i32_e32 vcc, v4, v11
	v_add_u32_e32 v6, 48, v6
	s_or_b64 s[2:3], vcc, s[2:3]
	s_waitcnt vmcnt(3)
	v_subrev_u32_e32 v12, s16, v5
	v_lshl_add_u64 v[12:13], v[12:13], 2, s[10:11]
	global_load_dword v12, v[12:13], off
	s_waitcnt vmcnt(0)
	v_pk_fma_f32 v[0:1], v[8:9], v[12:13], v[0:1] op_sel_hi:[1,0,1]
	v_fmac_f32_e32 v10, v18, v12
	s_andn2_b64 exec, exec, s[2:3]
	s_cbranch_execnz .LBB2_15
; %bb.16:
	s_or_b64 exec, exec, s[2:3]
.LBB2_17:
	s_or_b64 exec, exec, s[4:5]
.LBB2_18:
	v_mov_b32_dpp v4, v0 row_shr:1 row_mask:0xf bank_mask:0xf
	v_mov_b32_dpp v5, v1 row_shr:1 row_mask:0xf bank_mask:0xf
	;; [unrolled: 1-line block ×3, first 2 shown]
	v_pk_add_f32 v[0:1], v[0:1], v[4:5]
	v_add_f32_e32 v6, v10, v6
	v_cmp_eq_u32_e32 vcc, 15, v3
	v_mov_b32_dpp v4, v0 row_shr:2 row_mask:0xf bank_mask:0xf
	v_mov_b32_dpp v5, v1 row_shr:2 row_mask:0xf bank_mask:0xf
	;; [unrolled: 1-line block ×3, first 2 shown]
	v_pk_add_f32 v[0:1], v[0:1], v[4:5]
	v_add_f32_e32 v6, v6, v7
	s_nop 0
	v_mov_b32_dpp v4, v0 row_shr:4 row_mask:0xf bank_mask:0xe
	v_mov_b32_dpp v5, v1 row_shr:4 row_mask:0xf bank_mask:0xe
	;; [unrolled: 1-line block ×3, first 2 shown]
	v_pk_add_f32 v[0:1], v[0:1], v[4:5]
	v_add_f32_e32 v6, v6, v7
	s_nop 0
	v_mov_b32_dpp v4, v0 row_shr:8 row_mask:0xf bank_mask:0xc
	v_mov_b32_dpp v5, v1 row_shr:8 row_mask:0xf bank_mask:0xc
	;; [unrolled: 1-line block ×3, first 2 shown]
	s_and_b64 exec, exec, vcc
	s_cbranch_execz .LBB2_22
; %bb.19:
	s_load_dwordx2 s[0:1], s[0:1], 0x38
	v_pk_add_f32 v[4:5], v[0:1], v[4:5]
	v_add_f32_e32 v0, v6, v7
	v_cmp_eq_f32_e64 s[2:3], s12, 0
	v_lshl_add_u32 v6, v2, 1, v2
	s_and_b64 vcc, exec, s[2:3]
	v_mul_f32_e32 v2, s14, v0
	v_ashrrev_i32_e32 v7, 31, v6
	s_cbranch_vccz .LBB2_23
; %bb.20:
	s_waitcnt lgkmcnt(0)
	v_lshl_add_u64 v[8:9], v[6:7], 2, s[0:1]
	v_pk_mul_f32 v[0:1], s[14:15], v[4:5] op_sel_hi:[0,1]
	global_store_dwordx3 v[8:9], v[0:2], off
	s_cbranch_execnz .LBB2_22
.LBB2_21:
	s_waitcnt lgkmcnt(0)
	v_lshl_add_u64 v[10:11], v[6:7], 2, s[0:1]
	global_load_dwordx3 v[6:8], v[10:11], off
	v_pk_mul_f32 v[0:1], s[14:15], v[4:5] op_sel_hi:[0,1]
	s_waitcnt vmcnt(0)
	v_pk_fma_f32 v[0:1], s[12:13], v[6:7], v[0:1] op_sel_hi:[0,1,1]
	v_fmac_f32_e32 v2, s12, v8
	global_store_dwordx3 v[10:11], v[0:2], off
.LBB2_22:
	s_endpgm
.LBB2_23:
	s_branch .LBB2_21
	.section	.rodata,"a",@progbits
	.p2align	6, 0x0
	.amdhsa_kernel _ZN9rocsparseL19gebsrmvn_3xn_kernelILj128ELj1ELj16EfEEvi20rocsparse_direction_NS_24const_host_device_scalarIT2_EEPKiS6_PKS3_S8_S4_PS3_21rocsparse_index_base_b
		.amdhsa_group_segment_fixed_size 0
		.amdhsa_private_segment_fixed_size 0
		.amdhsa_kernarg_size 72
		.amdhsa_user_sgpr_count 2
		.amdhsa_user_sgpr_dispatch_ptr 0
		.amdhsa_user_sgpr_queue_ptr 0
		.amdhsa_user_sgpr_kernarg_segment_ptr 1
		.amdhsa_user_sgpr_dispatch_id 0
		.amdhsa_user_sgpr_kernarg_preload_length 0
		.amdhsa_user_sgpr_kernarg_preload_offset 0
		.amdhsa_user_sgpr_private_segment_size 0
		.amdhsa_uses_dynamic_stack 0
		.amdhsa_enable_private_segment 0
		.amdhsa_system_sgpr_workgroup_id_x 1
		.amdhsa_system_sgpr_workgroup_id_y 0
		.amdhsa_system_sgpr_workgroup_id_z 0
		.amdhsa_system_sgpr_workgroup_info 0
		.amdhsa_system_vgpr_workitem_id 0
		.amdhsa_next_free_vgpr 20
		.amdhsa_next_free_sgpr 20
		.amdhsa_accum_offset 20
		.amdhsa_reserve_vcc 1
		.amdhsa_float_round_mode_32 0
		.amdhsa_float_round_mode_16_64 0
		.amdhsa_float_denorm_mode_32 3
		.amdhsa_float_denorm_mode_16_64 3
		.amdhsa_dx10_clamp 1
		.amdhsa_ieee_mode 1
		.amdhsa_fp16_overflow 0
		.amdhsa_tg_split 0
		.amdhsa_exception_fp_ieee_invalid_op 0
		.amdhsa_exception_fp_denorm_src 0
		.amdhsa_exception_fp_ieee_div_zero 0
		.amdhsa_exception_fp_ieee_overflow 0
		.amdhsa_exception_fp_ieee_underflow 0
		.amdhsa_exception_fp_ieee_inexact 0
		.amdhsa_exception_int_div_zero 0
	.end_amdhsa_kernel
	.section	.text._ZN9rocsparseL19gebsrmvn_3xn_kernelILj128ELj1ELj16EfEEvi20rocsparse_direction_NS_24const_host_device_scalarIT2_EEPKiS6_PKS3_S8_S4_PS3_21rocsparse_index_base_b,"axG",@progbits,_ZN9rocsparseL19gebsrmvn_3xn_kernelILj128ELj1ELj16EfEEvi20rocsparse_direction_NS_24const_host_device_scalarIT2_EEPKiS6_PKS3_S8_S4_PS3_21rocsparse_index_base_b,comdat
.Lfunc_end2:
	.size	_ZN9rocsparseL19gebsrmvn_3xn_kernelILj128ELj1ELj16EfEEvi20rocsparse_direction_NS_24const_host_device_scalarIT2_EEPKiS6_PKS3_S8_S4_PS3_21rocsparse_index_base_b, .Lfunc_end2-_ZN9rocsparseL19gebsrmvn_3xn_kernelILj128ELj1ELj16EfEEvi20rocsparse_direction_NS_24const_host_device_scalarIT2_EEPKiS6_PKS3_S8_S4_PS3_21rocsparse_index_base_b
                                        ; -- End function
	.section	.AMDGPU.csdata,"",@progbits
; Kernel info:
; codeLenInByte = 932
; NumSgprs: 26
; NumVgprs: 20
; NumAgprs: 0
; TotalNumVgprs: 20
; ScratchSize: 0
; MemoryBound: 0
; FloatMode: 240
; IeeeMode: 1
; LDSByteSize: 0 bytes/workgroup (compile time only)
; SGPRBlocks: 3
; VGPRBlocks: 2
; NumSGPRsForWavesPerEU: 26
; NumVGPRsForWavesPerEU: 20
; AccumOffset: 20
; Occupancy: 8
; WaveLimiterHint : 1
; COMPUTE_PGM_RSRC2:SCRATCH_EN: 0
; COMPUTE_PGM_RSRC2:USER_SGPR: 2
; COMPUTE_PGM_RSRC2:TRAP_HANDLER: 0
; COMPUTE_PGM_RSRC2:TGID_X_EN: 1
; COMPUTE_PGM_RSRC2:TGID_Y_EN: 0
; COMPUTE_PGM_RSRC2:TGID_Z_EN: 0
; COMPUTE_PGM_RSRC2:TIDIG_COMP_CNT: 0
; COMPUTE_PGM_RSRC3_GFX90A:ACCUM_OFFSET: 4
; COMPUTE_PGM_RSRC3_GFX90A:TG_SPLIT: 0
	.section	.text._ZN9rocsparseL19gebsrmvn_3xn_kernelILj128ELj1ELj32EfEEvi20rocsparse_direction_NS_24const_host_device_scalarIT2_EEPKiS6_PKS3_S8_S4_PS3_21rocsparse_index_base_b,"axG",@progbits,_ZN9rocsparseL19gebsrmvn_3xn_kernelILj128ELj1ELj32EfEEvi20rocsparse_direction_NS_24const_host_device_scalarIT2_EEPKiS6_PKS3_S8_S4_PS3_21rocsparse_index_base_b,comdat
	.globl	_ZN9rocsparseL19gebsrmvn_3xn_kernelILj128ELj1ELj32EfEEvi20rocsparse_direction_NS_24const_host_device_scalarIT2_EEPKiS6_PKS3_S8_S4_PS3_21rocsparse_index_base_b ; -- Begin function _ZN9rocsparseL19gebsrmvn_3xn_kernelILj128ELj1ELj32EfEEvi20rocsparse_direction_NS_24const_host_device_scalarIT2_EEPKiS6_PKS3_S8_S4_PS3_21rocsparse_index_base_b
	.p2align	8
	.type	_ZN9rocsparseL19gebsrmvn_3xn_kernelILj128ELj1ELj32EfEEvi20rocsparse_direction_NS_24const_host_device_scalarIT2_EEPKiS6_PKS3_S8_S4_PS3_21rocsparse_index_base_b,@function
_ZN9rocsparseL19gebsrmvn_3xn_kernelILj128ELj1ELj32EfEEvi20rocsparse_direction_NS_24const_host_device_scalarIT2_EEPKiS6_PKS3_S8_S4_PS3_21rocsparse_index_base_b: ; @_ZN9rocsparseL19gebsrmvn_3xn_kernelILj128ELj1ELj32EfEEvi20rocsparse_direction_NS_24const_host_device_scalarIT2_EEPKiS6_PKS3_S8_S4_PS3_21rocsparse_index_base_b
; %bb.0:
	s_load_dwordx2 s[16:17], s[0:1], 0x40
	s_load_dwordx2 s[14:15], s[0:1], 0x8
	;; [unrolled: 1-line block ×3, first 2 shown]
	s_waitcnt lgkmcnt(0)
	s_bitcmp1_b32 s17, 0
	s_cselect_b64 s[6:7], -1, 0
	s_xor_b64 s[4:5], s[6:7], -1
	s_and_b64 vcc, exec, s[6:7]
	s_cbranch_vccnz .LBB3_2
; %bb.1:
	s_load_dword s14, s[14:15], 0x0
.LBB3_2:
	s_andn2_b64 vcc, exec, s[4:5]
	s_cbranch_vccnz .LBB3_4
; %bb.3:
	s_load_dword s12, s[12:13], 0x0
.LBB3_4:
	s_waitcnt lgkmcnt(0)
	v_cmp_eq_f32_e64 s[4:5], s14, 0
	v_cmp_eq_f32_e64 s[6:7], s12, 1.0
	s_and_b64 s[4:5], s[4:5], s[6:7]
	s_and_b64 vcc, exec, s[4:5]
	s_cbranch_vccnz .LBB3_22
; %bb.5:
	s_load_dwordx2 s[18:19], s[0:1], 0x0
	v_lshrrev_b32_e32 v1, 5, v0
	v_lshl_or_b32 v2, s2, 2, v1
	s_waitcnt lgkmcnt(0)
	v_cmp_gt_i32_e32 vcc, s18, v2
	s_and_saveexec_b64 s[2:3], vcc
	s_cbranch_execz .LBB3_22
; %bb.6:
	s_load_dwordx8 s[4:11], s[0:1], 0x10
	v_ashrrev_i32_e32 v3, 31, v2
	s_cmp_lg_u32 s19, 0
	s_waitcnt lgkmcnt(0)
	v_lshl_add_u64 v[4:5], v[2:3], 2, s[4:5]
	global_load_dwordx2 v[4:5], v[4:5], off
	v_and_b32_e32 v3, 31, v0
	s_waitcnt vmcnt(0)
	v_subrev_u32_e32 v0, s16, v4
	v_subrev_u32_e32 v11, s16, v5
	v_add_u32_e32 v4, v0, v3
	v_cmp_lt_i32_e64 s[2:3], v4, v11
	s_cbranch_scc0 .LBB3_12
; %bb.7:
	v_mov_b32_e32 v1, 0
	v_mov_b32_e32 v0, v1
	;; [unrolled: 1-line block ×3, first 2 shown]
	s_and_saveexec_b64 s[4:5], s[2:3]
	s_cbranch_execz .LBB3_11
; %bb.8:
	v_mov_b32_e32 v7, 0
	v_lshl_add_u32 v6, v4, 1, v4
	s_mov_b64 s[18:19], 0
	v_mov_b32_e32 v8, v4
	v_mov_b32_e32 v10, v7
	;; [unrolled: 1-line block ×4, first 2 shown]
.LBB3_9:                                ; =>This Inner Loop Header: Depth=1
	v_ashrrev_i32_e32 v9, 31, v8
	v_lshl_add_u64 v[12:13], v[8:9], 2, s[6:7]
	global_load_dword v5, v[12:13], off
	v_mov_b32_e32 v15, v7
	v_add_u32_e32 v16, 1, v6
	v_mov_b32_e32 v17, v7
	v_lshl_add_u64 v[12:13], v[6:7], 2, s[8:9]
	v_add_u32_e32 v18, 2, v6
	v_mov_b32_e32 v19, v7
	v_lshl_add_u64 v[16:17], v[16:17], 2, s[8:9]
	global_load_dword v12, v[12:13], off
	v_lshl_add_u64 v[18:19], v[18:19], 2, s[8:9]
	global_load_dword v13, v[16:17], off
	global_load_dword v9, v[18:19], off
	v_add_u32_e32 v8, 32, v8
	v_cmp_ge_i32_e32 vcc, v8, v11
	v_add_u32_e32 v6, 0x60, v6
	s_or_b64 s[18:19], vcc, s[18:19]
	s_waitcnt vmcnt(3)
	v_subrev_u32_e32 v14, s16, v5
	v_lshl_add_u64 v[14:15], v[14:15], 2, s[10:11]
	global_load_dword v14, v[14:15], off
	s_waitcnt vmcnt(0)
	v_pk_fma_f32 v[0:1], v[12:13], v[14:15], v[0:1] op_sel_hi:[1,0,1]
	v_fmac_f32_e32 v10, v9, v14
	s_andn2_b64 exec, exec, s[18:19]
	s_cbranch_execnz .LBB3_9
; %bb.10:
	s_or_b64 exec, exec, s[18:19]
.LBB3_11:
	s_or_b64 exec, exec, s[4:5]
	s_cbranch_execz .LBB3_13
	s_branch .LBB3_18
.LBB3_12:
                                        ; implicit-def: $vgpr1
                                        ; implicit-def: $vgpr10
.LBB3_13:
	v_mov_b32_e32 v1, 0
	v_mov_b32_e32 v0, v1
	;; [unrolled: 1-line block ×3, first 2 shown]
	s_and_saveexec_b64 s[4:5], s[2:3]
	s_cbranch_execz .LBB3_17
; %bb.14:
	v_mov_b32_e32 v7, 0
	v_lshl_add_u32 v6, v4, 1, v4
	s_mov_b64 s[2:3], 0
	v_mov_b32_e32 v10, v7
	v_mov_b32_e32 v0, v7
	;; [unrolled: 1-line block ×3, first 2 shown]
.LBB3_15:                               ; =>This Inner Loop Header: Depth=1
	v_ashrrev_i32_e32 v5, 31, v4
	v_lshl_add_u64 v[8:9], v[4:5], 2, s[6:7]
	global_load_dword v5, v[8:9], off
	v_mov_b32_e32 v13, v7
	v_add_u32_e32 v14, 1, v6
	v_mov_b32_e32 v15, v7
	v_lshl_add_u64 v[8:9], v[6:7], 2, s[8:9]
	v_add_u32_e32 v16, 2, v6
	v_mov_b32_e32 v17, v7
	v_lshl_add_u64 v[14:15], v[14:15], 2, s[8:9]
	global_load_dword v8, v[8:9], off
	v_lshl_add_u64 v[16:17], v[16:17], 2, s[8:9]
	global_load_dword v9, v[14:15], off
	global_load_dword v18, v[16:17], off
	v_add_u32_e32 v4, 32, v4
	v_cmp_ge_i32_e32 vcc, v4, v11
	v_add_u32_e32 v6, 0x60, v6
	s_or_b64 s[2:3], vcc, s[2:3]
	s_waitcnt vmcnt(3)
	v_subrev_u32_e32 v12, s16, v5
	v_lshl_add_u64 v[12:13], v[12:13], 2, s[10:11]
	global_load_dword v12, v[12:13], off
	s_waitcnt vmcnt(0)
	v_pk_fma_f32 v[0:1], v[8:9], v[12:13], v[0:1] op_sel_hi:[1,0,1]
	v_fmac_f32_e32 v10, v18, v12
	s_andn2_b64 exec, exec, s[2:3]
	s_cbranch_execnz .LBB3_15
; %bb.16:
	s_or_b64 exec, exec, s[2:3]
.LBB3_17:
	s_or_b64 exec, exec, s[4:5]
.LBB3_18:
	v_mov_b32_dpp v4, v0 row_shr:1 row_mask:0xf bank_mask:0xf
	v_mov_b32_dpp v5, v1 row_shr:1 row_mask:0xf bank_mask:0xf
	;; [unrolled: 1-line block ×3, first 2 shown]
	v_pk_add_f32 v[0:1], v[0:1], v[4:5]
	v_add_f32_e32 v6, v10, v6
	v_cmp_eq_u32_e32 vcc, 31, v3
	v_mov_b32_dpp v4, v0 row_shr:2 row_mask:0xf bank_mask:0xf
	v_mov_b32_dpp v5, v1 row_shr:2 row_mask:0xf bank_mask:0xf
	v_mov_b32_dpp v7, v6 row_shr:2 row_mask:0xf bank_mask:0xf
	v_pk_add_f32 v[0:1], v[0:1], v[4:5]
	v_add_f32_e32 v6, v6, v7
	s_nop 0
	v_mov_b32_dpp v4, v0 row_shr:4 row_mask:0xf bank_mask:0xe
	v_mov_b32_dpp v5, v1 row_shr:4 row_mask:0xf bank_mask:0xe
	v_mov_b32_dpp v7, v6 row_shr:4 row_mask:0xf bank_mask:0xe
	v_pk_add_f32 v[0:1], v[0:1], v[4:5]
	v_add_f32_e32 v6, v6, v7
	s_nop 0
	;; [unrolled: 6-line block ×3, first 2 shown]
	v_mov_b32_dpp v4, v0 row_bcast:15 row_mask:0xa bank_mask:0xf
	v_mov_b32_dpp v5, v1 row_bcast:15 row_mask:0xa bank_mask:0xf
	;; [unrolled: 1-line block ×3, first 2 shown]
	s_and_b64 exec, exec, vcc
	s_cbranch_execz .LBB3_22
; %bb.19:
	s_load_dwordx2 s[0:1], s[0:1], 0x38
	v_pk_add_f32 v[4:5], v[0:1], v[4:5]
	v_add_f32_e32 v0, v6, v7
	v_cmp_eq_f32_e64 s[2:3], s12, 0
	v_lshl_add_u32 v6, v2, 1, v2
	s_and_b64 vcc, exec, s[2:3]
	v_mul_f32_e32 v2, s14, v0
	v_ashrrev_i32_e32 v7, 31, v6
	s_cbranch_vccz .LBB3_23
; %bb.20:
	s_waitcnt lgkmcnt(0)
	v_lshl_add_u64 v[8:9], v[6:7], 2, s[0:1]
	v_pk_mul_f32 v[0:1], s[14:15], v[4:5] op_sel_hi:[0,1]
	global_store_dwordx3 v[8:9], v[0:2], off
	s_cbranch_execnz .LBB3_22
.LBB3_21:
	s_waitcnt lgkmcnt(0)
	v_lshl_add_u64 v[10:11], v[6:7], 2, s[0:1]
	global_load_dwordx3 v[6:8], v[10:11], off
	v_pk_mul_f32 v[0:1], s[14:15], v[4:5] op_sel_hi:[0,1]
	s_waitcnt vmcnt(0)
	v_pk_fma_f32 v[0:1], s[12:13], v[6:7], v[0:1] op_sel_hi:[0,1,1]
	v_fmac_f32_e32 v2, s12, v8
	global_store_dwordx3 v[10:11], v[0:2], off
.LBB3_22:
	s_endpgm
.LBB3_23:
	s_branch .LBB3_21
	.section	.rodata,"a",@progbits
	.p2align	6, 0x0
	.amdhsa_kernel _ZN9rocsparseL19gebsrmvn_3xn_kernelILj128ELj1ELj32EfEEvi20rocsparse_direction_NS_24const_host_device_scalarIT2_EEPKiS6_PKS3_S8_S4_PS3_21rocsparse_index_base_b
		.amdhsa_group_segment_fixed_size 0
		.amdhsa_private_segment_fixed_size 0
		.amdhsa_kernarg_size 72
		.amdhsa_user_sgpr_count 2
		.amdhsa_user_sgpr_dispatch_ptr 0
		.amdhsa_user_sgpr_queue_ptr 0
		.amdhsa_user_sgpr_kernarg_segment_ptr 1
		.amdhsa_user_sgpr_dispatch_id 0
		.amdhsa_user_sgpr_kernarg_preload_length 0
		.amdhsa_user_sgpr_kernarg_preload_offset 0
		.amdhsa_user_sgpr_private_segment_size 0
		.amdhsa_uses_dynamic_stack 0
		.amdhsa_enable_private_segment 0
		.amdhsa_system_sgpr_workgroup_id_x 1
		.amdhsa_system_sgpr_workgroup_id_y 0
		.amdhsa_system_sgpr_workgroup_id_z 0
		.amdhsa_system_sgpr_workgroup_info 0
		.amdhsa_system_vgpr_workitem_id 0
		.amdhsa_next_free_vgpr 20
		.amdhsa_next_free_sgpr 20
		.amdhsa_accum_offset 20
		.amdhsa_reserve_vcc 1
		.amdhsa_float_round_mode_32 0
		.amdhsa_float_round_mode_16_64 0
		.amdhsa_float_denorm_mode_32 3
		.amdhsa_float_denorm_mode_16_64 3
		.amdhsa_dx10_clamp 1
		.amdhsa_ieee_mode 1
		.amdhsa_fp16_overflow 0
		.amdhsa_tg_split 0
		.amdhsa_exception_fp_ieee_invalid_op 0
		.amdhsa_exception_fp_denorm_src 0
		.amdhsa_exception_fp_ieee_div_zero 0
		.amdhsa_exception_fp_ieee_overflow 0
		.amdhsa_exception_fp_ieee_underflow 0
		.amdhsa_exception_fp_ieee_inexact 0
		.amdhsa_exception_int_div_zero 0
	.end_amdhsa_kernel
	.section	.text._ZN9rocsparseL19gebsrmvn_3xn_kernelILj128ELj1ELj32EfEEvi20rocsparse_direction_NS_24const_host_device_scalarIT2_EEPKiS6_PKS3_S8_S4_PS3_21rocsparse_index_base_b,"axG",@progbits,_ZN9rocsparseL19gebsrmvn_3xn_kernelILj128ELj1ELj32EfEEvi20rocsparse_direction_NS_24const_host_device_scalarIT2_EEPKiS6_PKS3_S8_S4_PS3_21rocsparse_index_base_b,comdat
.Lfunc_end3:
	.size	_ZN9rocsparseL19gebsrmvn_3xn_kernelILj128ELj1ELj32EfEEvi20rocsparse_direction_NS_24const_host_device_scalarIT2_EEPKiS6_PKS3_S8_S4_PS3_21rocsparse_index_base_b, .Lfunc_end3-_ZN9rocsparseL19gebsrmvn_3xn_kernelILj128ELj1ELj32EfEEvi20rocsparse_direction_NS_24const_host_device_scalarIT2_EEPKiS6_PKS3_S8_S4_PS3_21rocsparse_index_base_b
                                        ; -- End function
	.section	.AMDGPU.csdata,"",@progbits
; Kernel info:
; codeLenInByte = 980
; NumSgprs: 26
; NumVgprs: 20
; NumAgprs: 0
; TotalNumVgprs: 20
; ScratchSize: 0
; MemoryBound: 0
; FloatMode: 240
; IeeeMode: 1
; LDSByteSize: 0 bytes/workgroup (compile time only)
; SGPRBlocks: 3
; VGPRBlocks: 2
; NumSGPRsForWavesPerEU: 26
; NumVGPRsForWavesPerEU: 20
; AccumOffset: 20
; Occupancy: 8
; WaveLimiterHint : 1
; COMPUTE_PGM_RSRC2:SCRATCH_EN: 0
; COMPUTE_PGM_RSRC2:USER_SGPR: 2
; COMPUTE_PGM_RSRC2:TRAP_HANDLER: 0
; COMPUTE_PGM_RSRC2:TGID_X_EN: 1
; COMPUTE_PGM_RSRC2:TGID_Y_EN: 0
; COMPUTE_PGM_RSRC2:TGID_Z_EN: 0
; COMPUTE_PGM_RSRC2:TIDIG_COMP_CNT: 0
; COMPUTE_PGM_RSRC3_GFX90A:ACCUM_OFFSET: 4
; COMPUTE_PGM_RSRC3_GFX90A:TG_SPLIT: 0
	.section	.text._ZN9rocsparseL19gebsrmvn_3xn_kernelILj128ELj1ELj64EfEEvi20rocsparse_direction_NS_24const_host_device_scalarIT2_EEPKiS6_PKS3_S8_S4_PS3_21rocsparse_index_base_b,"axG",@progbits,_ZN9rocsparseL19gebsrmvn_3xn_kernelILj128ELj1ELj64EfEEvi20rocsparse_direction_NS_24const_host_device_scalarIT2_EEPKiS6_PKS3_S8_S4_PS3_21rocsparse_index_base_b,comdat
	.globl	_ZN9rocsparseL19gebsrmvn_3xn_kernelILj128ELj1ELj64EfEEvi20rocsparse_direction_NS_24const_host_device_scalarIT2_EEPKiS6_PKS3_S8_S4_PS3_21rocsparse_index_base_b ; -- Begin function _ZN9rocsparseL19gebsrmvn_3xn_kernelILj128ELj1ELj64EfEEvi20rocsparse_direction_NS_24const_host_device_scalarIT2_EEPKiS6_PKS3_S8_S4_PS3_21rocsparse_index_base_b
	.p2align	8
	.type	_ZN9rocsparseL19gebsrmvn_3xn_kernelILj128ELj1ELj64EfEEvi20rocsparse_direction_NS_24const_host_device_scalarIT2_EEPKiS6_PKS3_S8_S4_PS3_21rocsparse_index_base_b,@function
_ZN9rocsparseL19gebsrmvn_3xn_kernelILj128ELj1ELj64EfEEvi20rocsparse_direction_NS_24const_host_device_scalarIT2_EEPKiS6_PKS3_S8_S4_PS3_21rocsparse_index_base_b: ; @_ZN9rocsparseL19gebsrmvn_3xn_kernelILj128ELj1ELj64EfEEvi20rocsparse_direction_NS_24const_host_device_scalarIT2_EEPKiS6_PKS3_S8_S4_PS3_21rocsparse_index_base_b
; %bb.0:
	s_load_dwordx2 s[16:17], s[0:1], 0x40
	s_load_dwordx2 s[14:15], s[0:1], 0x8
	;; [unrolled: 1-line block ×3, first 2 shown]
	s_waitcnt lgkmcnt(0)
	s_bitcmp1_b32 s17, 0
	s_cselect_b64 s[6:7], -1, 0
	s_xor_b64 s[4:5], s[6:7], -1
	s_and_b64 vcc, exec, s[6:7]
	s_cbranch_vccnz .LBB4_2
; %bb.1:
	s_load_dword s14, s[14:15], 0x0
.LBB4_2:
	s_andn2_b64 vcc, exec, s[4:5]
	s_cbranch_vccnz .LBB4_4
; %bb.3:
	s_load_dword s12, s[12:13], 0x0
.LBB4_4:
	s_waitcnt lgkmcnt(0)
	v_cmp_eq_f32_e64 s[4:5], s14, 0
	v_cmp_eq_f32_e64 s[6:7], s12, 1.0
	s_and_b64 s[4:5], s[4:5], s[6:7]
	s_and_b64 vcc, exec, s[4:5]
	s_cbranch_vccnz .LBB4_22
; %bb.5:
	s_load_dwordx2 s[18:19], s[0:1], 0x0
	v_lshrrev_b32_e32 v1, 6, v0
	v_lshl_or_b32 v2, s2, 1, v1
	s_waitcnt lgkmcnt(0)
	v_cmp_gt_i32_e32 vcc, s18, v2
	s_and_saveexec_b64 s[2:3], vcc
	s_cbranch_execz .LBB4_22
; %bb.6:
	s_load_dwordx8 s[4:11], s[0:1], 0x10
	v_ashrrev_i32_e32 v3, 31, v2
	s_cmp_lg_u32 s19, 0
	s_waitcnt lgkmcnt(0)
	v_lshl_add_u64 v[4:5], v[2:3], 2, s[4:5]
	global_load_dwordx2 v[4:5], v[4:5], off
	v_and_b32_e32 v3, 63, v0
	s_waitcnt vmcnt(0)
	v_subrev_u32_e32 v0, s16, v4
	v_subrev_u32_e32 v11, s16, v5
	v_add_u32_e32 v4, v0, v3
	v_cmp_lt_i32_e64 s[2:3], v4, v11
	s_cbranch_scc0 .LBB4_12
; %bb.7:
	v_mov_b32_e32 v1, 0
	v_mov_b32_e32 v0, v1
	;; [unrolled: 1-line block ×3, first 2 shown]
	s_and_saveexec_b64 s[4:5], s[2:3]
	s_cbranch_execz .LBB4_11
; %bb.8:
	v_mov_b32_e32 v7, 0
	v_lshl_add_u32 v6, v4, 1, v4
	s_mov_b64 s[18:19], 0
	v_mov_b32_e32 v8, v4
	v_mov_b32_e32 v10, v7
	;; [unrolled: 1-line block ×4, first 2 shown]
.LBB4_9:                                ; =>This Inner Loop Header: Depth=1
	v_ashrrev_i32_e32 v9, 31, v8
	v_lshl_add_u64 v[12:13], v[8:9], 2, s[6:7]
	global_load_dword v5, v[12:13], off
	v_mov_b32_e32 v15, v7
	v_add_u32_e32 v16, 1, v6
	v_mov_b32_e32 v17, v7
	v_lshl_add_u64 v[12:13], v[6:7], 2, s[8:9]
	v_add_u32_e32 v18, 2, v6
	v_mov_b32_e32 v19, v7
	v_lshl_add_u64 v[16:17], v[16:17], 2, s[8:9]
	global_load_dword v12, v[12:13], off
	v_lshl_add_u64 v[18:19], v[18:19], 2, s[8:9]
	global_load_dword v13, v[16:17], off
	global_load_dword v9, v[18:19], off
	v_add_u32_e32 v8, 64, v8
	v_cmp_ge_i32_e32 vcc, v8, v11
	v_add_u32_e32 v6, 0xc0, v6
	s_or_b64 s[18:19], vcc, s[18:19]
	s_waitcnt vmcnt(3)
	v_subrev_u32_e32 v14, s16, v5
	v_lshl_add_u64 v[14:15], v[14:15], 2, s[10:11]
	global_load_dword v14, v[14:15], off
	s_waitcnt vmcnt(0)
	v_pk_fma_f32 v[0:1], v[12:13], v[14:15], v[0:1] op_sel_hi:[1,0,1]
	v_fmac_f32_e32 v10, v9, v14
	s_andn2_b64 exec, exec, s[18:19]
	s_cbranch_execnz .LBB4_9
; %bb.10:
	s_or_b64 exec, exec, s[18:19]
.LBB4_11:
	s_or_b64 exec, exec, s[4:5]
	s_cbranch_execz .LBB4_13
	s_branch .LBB4_18
.LBB4_12:
                                        ; implicit-def: $vgpr1
                                        ; implicit-def: $vgpr10
.LBB4_13:
	v_mov_b32_e32 v1, 0
	v_mov_b32_e32 v0, v1
	;; [unrolled: 1-line block ×3, first 2 shown]
	s_and_saveexec_b64 s[4:5], s[2:3]
	s_cbranch_execz .LBB4_17
; %bb.14:
	v_mov_b32_e32 v7, 0
	v_lshl_add_u32 v6, v4, 1, v4
	s_mov_b64 s[2:3], 0
	v_mov_b32_e32 v10, v7
	v_mov_b32_e32 v0, v7
	;; [unrolled: 1-line block ×3, first 2 shown]
.LBB4_15:                               ; =>This Inner Loop Header: Depth=1
	v_ashrrev_i32_e32 v5, 31, v4
	v_lshl_add_u64 v[8:9], v[4:5], 2, s[6:7]
	global_load_dword v5, v[8:9], off
	v_mov_b32_e32 v13, v7
	v_add_u32_e32 v14, 1, v6
	v_mov_b32_e32 v15, v7
	v_lshl_add_u64 v[8:9], v[6:7], 2, s[8:9]
	v_add_u32_e32 v16, 2, v6
	v_mov_b32_e32 v17, v7
	v_lshl_add_u64 v[14:15], v[14:15], 2, s[8:9]
	global_load_dword v8, v[8:9], off
	v_lshl_add_u64 v[16:17], v[16:17], 2, s[8:9]
	global_load_dword v9, v[14:15], off
	global_load_dword v18, v[16:17], off
	v_add_u32_e32 v4, 64, v4
	v_cmp_ge_i32_e32 vcc, v4, v11
	v_add_u32_e32 v6, 0xc0, v6
	s_or_b64 s[2:3], vcc, s[2:3]
	s_waitcnt vmcnt(3)
	v_subrev_u32_e32 v12, s16, v5
	v_lshl_add_u64 v[12:13], v[12:13], 2, s[10:11]
	global_load_dword v12, v[12:13], off
	s_waitcnt vmcnt(0)
	v_pk_fma_f32 v[0:1], v[8:9], v[12:13], v[0:1] op_sel_hi:[1,0,1]
	v_fmac_f32_e32 v10, v18, v12
	s_andn2_b64 exec, exec, s[2:3]
	s_cbranch_execnz .LBB4_15
; %bb.16:
	s_or_b64 exec, exec, s[2:3]
.LBB4_17:
	s_or_b64 exec, exec, s[4:5]
.LBB4_18:
	v_mov_b32_dpp v4, v0 row_shr:1 row_mask:0xf bank_mask:0xf
	v_mov_b32_dpp v5, v1 row_shr:1 row_mask:0xf bank_mask:0xf
	;; [unrolled: 1-line block ×3, first 2 shown]
	v_pk_add_f32 v[0:1], v[0:1], v[4:5]
	v_add_f32_e32 v6, v10, v6
	v_cmp_eq_u32_e32 vcc, 63, v3
	v_mov_b32_dpp v4, v0 row_shr:2 row_mask:0xf bank_mask:0xf
	v_mov_b32_dpp v5, v1 row_shr:2 row_mask:0xf bank_mask:0xf
	v_mov_b32_dpp v7, v6 row_shr:2 row_mask:0xf bank_mask:0xf
	v_pk_add_f32 v[0:1], v[0:1], v[4:5]
	v_add_f32_e32 v6, v6, v7
	s_nop 0
	v_mov_b32_dpp v4, v0 row_shr:4 row_mask:0xf bank_mask:0xe
	v_mov_b32_dpp v5, v1 row_shr:4 row_mask:0xf bank_mask:0xe
	v_mov_b32_dpp v7, v6 row_shr:4 row_mask:0xf bank_mask:0xe
	v_pk_add_f32 v[0:1], v[0:1], v[4:5]
	v_add_f32_e32 v6, v6, v7
	s_nop 0
	;; [unrolled: 6-line block ×3, first 2 shown]
	v_mov_b32_dpp v4, v0 row_bcast:15 row_mask:0xa bank_mask:0xf
	v_mov_b32_dpp v5, v1 row_bcast:15 row_mask:0xa bank_mask:0xf
	;; [unrolled: 1-line block ×3, first 2 shown]
	v_pk_add_f32 v[0:1], v[0:1], v[4:5]
	v_add_f32_e32 v6, v6, v7
	s_nop 0
	v_mov_b32_dpp v4, v0 row_bcast:31 row_mask:0xc bank_mask:0xf
	v_mov_b32_dpp v5, v1 row_bcast:31 row_mask:0xc bank_mask:0xf
	;; [unrolled: 1-line block ×3, first 2 shown]
	s_and_b64 exec, exec, vcc
	s_cbranch_execz .LBB4_22
; %bb.19:
	s_load_dwordx2 s[0:1], s[0:1], 0x38
	v_pk_add_f32 v[4:5], v[0:1], v[4:5]
	v_add_f32_e32 v0, v6, v7
	v_cmp_eq_f32_e64 s[2:3], s12, 0
	v_lshl_add_u32 v6, v2, 1, v2
	s_and_b64 vcc, exec, s[2:3]
	v_mul_f32_e32 v2, s14, v0
	v_ashrrev_i32_e32 v7, 31, v6
	s_cbranch_vccz .LBB4_23
; %bb.20:
	s_waitcnt lgkmcnt(0)
	v_lshl_add_u64 v[8:9], v[6:7], 2, s[0:1]
	v_pk_mul_f32 v[0:1], s[14:15], v[4:5] op_sel_hi:[0,1]
	global_store_dwordx3 v[8:9], v[0:2], off
	s_cbranch_execnz .LBB4_22
.LBB4_21:
	s_waitcnt lgkmcnt(0)
	v_lshl_add_u64 v[10:11], v[6:7], 2, s[0:1]
	global_load_dwordx3 v[6:8], v[10:11], off
	v_pk_mul_f32 v[0:1], s[14:15], v[4:5] op_sel_hi:[0,1]
	s_waitcnt vmcnt(0)
	v_pk_fma_f32 v[0:1], s[12:13], v[6:7], v[0:1] op_sel_hi:[0,1,1]
	v_fmac_f32_e32 v2, s12, v8
	global_store_dwordx3 v[10:11], v[0:2], off
.LBB4_22:
	s_endpgm
.LBB4_23:
	s_branch .LBB4_21
	.section	.rodata,"a",@progbits
	.p2align	6, 0x0
	.amdhsa_kernel _ZN9rocsparseL19gebsrmvn_3xn_kernelILj128ELj1ELj64EfEEvi20rocsparse_direction_NS_24const_host_device_scalarIT2_EEPKiS6_PKS3_S8_S4_PS3_21rocsparse_index_base_b
		.amdhsa_group_segment_fixed_size 0
		.amdhsa_private_segment_fixed_size 0
		.amdhsa_kernarg_size 72
		.amdhsa_user_sgpr_count 2
		.amdhsa_user_sgpr_dispatch_ptr 0
		.amdhsa_user_sgpr_queue_ptr 0
		.amdhsa_user_sgpr_kernarg_segment_ptr 1
		.amdhsa_user_sgpr_dispatch_id 0
		.amdhsa_user_sgpr_kernarg_preload_length 0
		.amdhsa_user_sgpr_kernarg_preload_offset 0
		.amdhsa_user_sgpr_private_segment_size 0
		.amdhsa_uses_dynamic_stack 0
		.amdhsa_enable_private_segment 0
		.amdhsa_system_sgpr_workgroup_id_x 1
		.amdhsa_system_sgpr_workgroup_id_y 0
		.amdhsa_system_sgpr_workgroup_id_z 0
		.amdhsa_system_sgpr_workgroup_info 0
		.amdhsa_system_vgpr_workitem_id 0
		.amdhsa_next_free_vgpr 20
		.amdhsa_next_free_sgpr 20
		.amdhsa_accum_offset 20
		.amdhsa_reserve_vcc 1
		.amdhsa_float_round_mode_32 0
		.amdhsa_float_round_mode_16_64 0
		.amdhsa_float_denorm_mode_32 3
		.amdhsa_float_denorm_mode_16_64 3
		.amdhsa_dx10_clamp 1
		.amdhsa_ieee_mode 1
		.amdhsa_fp16_overflow 0
		.amdhsa_tg_split 0
		.amdhsa_exception_fp_ieee_invalid_op 0
		.amdhsa_exception_fp_denorm_src 0
		.amdhsa_exception_fp_ieee_div_zero 0
		.amdhsa_exception_fp_ieee_overflow 0
		.amdhsa_exception_fp_ieee_underflow 0
		.amdhsa_exception_fp_ieee_inexact 0
		.amdhsa_exception_int_div_zero 0
	.end_amdhsa_kernel
	.section	.text._ZN9rocsparseL19gebsrmvn_3xn_kernelILj128ELj1ELj64EfEEvi20rocsparse_direction_NS_24const_host_device_scalarIT2_EEPKiS6_PKS3_S8_S4_PS3_21rocsparse_index_base_b,"axG",@progbits,_ZN9rocsparseL19gebsrmvn_3xn_kernelILj128ELj1ELj64EfEEvi20rocsparse_direction_NS_24const_host_device_scalarIT2_EEPKiS6_PKS3_S8_S4_PS3_21rocsparse_index_base_b,comdat
.Lfunc_end4:
	.size	_ZN9rocsparseL19gebsrmvn_3xn_kernelILj128ELj1ELj64EfEEvi20rocsparse_direction_NS_24const_host_device_scalarIT2_EEPKiS6_PKS3_S8_S4_PS3_21rocsparse_index_base_b, .Lfunc_end4-_ZN9rocsparseL19gebsrmvn_3xn_kernelILj128ELj1ELj64EfEEvi20rocsparse_direction_NS_24const_host_device_scalarIT2_EEPKiS6_PKS3_S8_S4_PS3_21rocsparse_index_base_b
                                        ; -- End function
	.section	.AMDGPU.csdata,"",@progbits
; Kernel info:
; codeLenInByte = 1020
; NumSgprs: 26
; NumVgprs: 20
; NumAgprs: 0
; TotalNumVgprs: 20
; ScratchSize: 0
; MemoryBound: 0
; FloatMode: 240
; IeeeMode: 1
; LDSByteSize: 0 bytes/workgroup (compile time only)
; SGPRBlocks: 3
; VGPRBlocks: 2
; NumSGPRsForWavesPerEU: 26
; NumVGPRsForWavesPerEU: 20
; AccumOffset: 20
; Occupancy: 8
; WaveLimiterHint : 1
; COMPUTE_PGM_RSRC2:SCRATCH_EN: 0
; COMPUTE_PGM_RSRC2:USER_SGPR: 2
; COMPUTE_PGM_RSRC2:TRAP_HANDLER: 0
; COMPUTE_PGM_RSRC2:TGID_X_EN: 1
; COMPUTE_PGM_RSRC2:TGID_Y_EN: 0
; COMPUTE_PGM_RSRC2:TGID_Z_EN: 0
; COMPUTE_PGM_RSRC2:TIDIG_COMP_CNT: 0
; COMPUTE_PGM_RSRC3_GFX90A:ACCUM_OFFSET: 4
; COMPUTE_PGM_RSRC3_GFX90A:TG_SPLIT: 0
	.section	.text._ZN9rocsparseL19gebsrmvn_3xn_kernelILj128ELj2ELj4EfEEvi20rocsparse_direction_NS_24const_host_device_scalarIT2_EEPKiS6_PKS3_S8_S4_PS3_21rocsparse_index_base_b,"axG",@progbits,_ZN9rocsparseL19gebsrmvn_3xn_kernelILj128ELj2ELj4EfEEvi20rocsparse_direction_NS_24const_host_device_scalarIT2_EEPKiS6_PKS3_S8_S4_PS3_21rocsparse_index_base_b,comdat
	.globl	_ZN9rocsparseL19gebsrmvn_3xn_kernelILj128ELj2ELj4EfEEvi20rocsparse_direction_NS_24const_host_device_scalarIT2_EEPKiS6_PKS3_S8_S4_PS3_21rocsparse_index_base_b ; -- Begin function _ZN9rocsparseL19gebsrmvn_3xn_kernelILj128ELj2ELj4EfEEvi20rocsparse_direction_NS_24const_host_device_scalarIT2_EEPKiS6_PKS3_S8_S4_PS3_21rocsparse_index_base_b
	.p2align	8
	.type	_ZN9rocsparseL19gebsrmvn_3xn_kernelILj128ELj2ELj4EfEEvi20rocsparse_direction_NS_24const_host_device_scalarIT2_EEPKiS6_PKS3_S8_S4_PS3_21rocsparse_index_base_b,@function
_ZN9rocsparseL19gebsrmvn_3xn_kernelILj128ELj2ELj4EfEEvi20rocsparse_direction_NS_24const_host_device_scalarIT2_EEPKiS6_PKS3_S8_S4_PS3_21rocsparse_index_base_b: ; @_ZN9rocsparseL19gebsrmvn_3xn_kernelILj128ELj2ELj4EfEEvi20rocsparse_direction_NS_24const_host_device_scalarIT2_EEPKiS6_PKS3_S8_S4_PS3_21rocsparse_index_base_b
; %bb.0:
	s_load_dwordx2 s[16:17], s[0:1], 0x40
	s_load_dwordx2 s[14:15], s[0:1], 0x8
	;; [unrolled: 1-line block ×3, first 2 shown]
	s_waitcnt lgkmcnt(0)
	s_bitcmp1_b32 s17, 0
	s_cselect_b64 s[6:7], -1, 0
	s_xor_b64 s[4:5], s[6:7], -1
	s_and_b64 vcc, exec, s[6:7]
	s_cbranch_vccnz .LBB5_2
; %bb.1:
	s_load_dword s14, s[14:15], 0x0
.LBB5_2:
	s_andn2_b64 vcc, exec, s[4:5]
	s_cbranch_vccnz .LBB5_4
; %bb.3:
	s_load_dword s12, s[12:13], 0x0
.LBB5_4:
	s_waitcnt lgkmcnt(0)
	v_cmp_eq_f32_e64 s[4:5], s14, 0
	v_cmp_eq_f32_e64 s[6:7], s12, 1.0
	s_and_b64 s[4:5], s[4:5], s[6:7]
	s_and_b64 vcc, exec, s[4:5]
	s_cbranch_vccnz .LBB5_22
; %bb.5:
	s_load_dwordx2 s[18:19], s[0:1], 0x0
	v_lshrrev_b32_e32 v1, 2, v0
	v_lshl_or_b32 v2, s2, 5, v1
	s_waitcnt lgkmcnt(0)
	v_cmp_gt_i32_e32 vcc, s18, v2
	s_and_saveexec_b64 s[2:3], vcc
	s_cbranch_execz .LBB5_22
; %bb.6:
	s_load_dwordx8 s[4:11], s[0:1], 0x10
	v_ashrrev_i32_e32 v3, 31, v2
	s_cmp_lg_u32 s19, 0
	s_waitcnt lgkmcnt(0)
	v_lshl_add_u64 v[4:5], v[2:3], 2, s[4:5]
	global_load_dwordx2 v[4:5], v[4:5], off
	v_and_b32_e32 v3, 3, v0
	s_waitcnt vmcnt(0)
	v_subrev_u32_e32 v0, s16, v4
	v_subrev_u32_e32 v12, s16, v5
	v_add_u32_e32 v0, v0, v3
	v_cmp_lt_i32_e64 s[2:3], v0, v12
	s_cbranch_scc0 .LBB5_12
; %bb.7:
	v_mov_b32_e32 v5, 0
	v_mov_b32_e32 v4, v5
	;; [unrolled: 1-line block ×3, first 2 shown]
	s_and_saveexec_b64 s[4:5], s[2:3]
	s_cbranch_execz .LBB5_11
; %bb.8:
	v_mad_u64_u32 v[6:7], s[18:19], v0, 6, 5
	v_mov_b32_e32 v9, 0
	s_mov_b64 s[18:19], 0
	v_mov_b32_e32 v10, v0
	v_mov_b32_e32 v13, 0
	;; [unrolled: 1-line block ×4, first 2 shown]
.LBB5_9:                                ; =>This Inner Loop Header: Depth=1
	v_ashrrev_i32_e32 v11, 31, v10
	v_lshl_add_u64 v[14:15], v[10:11], 2, s[6:7]
	global_load_dword v1, v[14:15], off
	v_add_u32_e32 v8, -5, v6
	v_lshl_add_u64 v[16:17], v[8:9], 2, s[8:9]
	v_add_u32_e32 v8, -3, v6
	v_lshl_add_u64 v[20:21], v[8:9], 2, s[8:9]
	v_add_u32_e32 v8, -2, v6
	v_mov_b32_e32 v15, v9
	v_mov_b32_e32 v7, v9
	v_lshl_add_u64 v[22:23], v[8:9], 2, s[8:9]
	v_add_u32_e32 v8, -1, v6
	v_lshl_add_u64 v[18:19], v[6:7], 2, s[8:9]
	global_load_dwordx2 v[16:17], v[16:17], off
	v_add_u32_e32 v10, 4, v10
	global_load_dword v7, v[20:21], off
	v_lshl_add_u64 v[20:21], v[8:9], 2, s[8:9]
	global_load_dword v24, v[22:23], off
	global_load_dword v25, v[20:21], off
	v_cmp_ge_i32_e32 vcc, v10, v12
	v_add_u32_e32 v6, 24, v6
	s_or_b64 s[18:19], vcc, s[18:19]
	s_waitcnt vmcnt(4)
	v_subrev_u32_e32 v1, s16, v1
	v_lshlrev_b32_e32 v14, 1, v1
	v_lshl_add_u64 v[14:15], v[14:15], 2, s[10:11]
	global_load_dwordx2 v[20:21], v[14:15], off
	global_load_dword v1, v[18:19], off
	s_waitcnt vmcnt(1)
	v_pk_fma_f32 v[4:5], v[16:17], v[20:21], v[4:5] op_sel_hi:[1,0,1]
	v_fmac_f32_e32 v13, v7, v20
	v_pk_fma_f32 v[4:5], v[24:25], v[20:21], v[4:5] op_sel:[0,1,0]
	s_waitcnt vmcnt(0)
	v_fmac_f32_e32 v13, v1, v21
	s_andn2_b64 exec, exec, s[18:19]
	s_cbranch_execnz .LBB5_9
; %bb.10:
	s_or_b64 exec, exec, s[18:19]
.LBB5_11:
	s_or_b64 exec, exec, s[4:5]
	s_cbranch_execz .LBB5_13
	s_branch .LBB5_18
.LBB5_12:
                                        ; implicit-def: $vgpr5
                                        ; implicit-def: $vgpr13
.LBB5_13:
	v_mov_b32_e32 v5, 0
	v_mov_b32_e32 v4, v5
	;; [unrolled: 1-line block ×3, first 2 shown]
	s_and_saveexec_b64 s[4:5], s[2:3]
	s_cbranch_execz .LBB5_17
; %bb.14:
	v_mad_u64_u32 v[6:7], s[2:3], v0, 6, 5
	v_mov_b32_e32 v9, 0
	s_mov_b64 s[2:3], 0
	v_mov_b32_e32 v13, 0
	v_mov_b32_e32 v4, v9
	;; [unrolled: 1-line block ×3, first 2 shown]
.LBB5_15:                               ; =>This Inner Loop Header: Depth=1
	v_ashrrev_i32_e32 v1, 31, v0
	v_lshl_add_u64 v[10:11], v[0:1], 2, s[6:7]
	global_load_dword v1, v[10:11], off
	v_add_u32_e32 v8, -5, v6
	v_add_u32_e32 v10, -3, v6
	v_mov_b32_e32 v11, v9
	v_lshl_add_u64 v[18:19], v[8:9], 2, s[8:9]
	v_add_u32_e32 v14, -1, v6
	v_mov_b32_e32 v17, v9
	v_mov_b32_e32 v15, v9
	v_mov_b32_e32 v7, v9
	v_lshl_add_u64 v[10:11], v[10:11], 2, s[8:9]
	v_add_u32_e32 v8, -2, v6
	global_load_dwordx2 v[18:19], v[18:19], off
	v_lshl_add_u64 v[14:15], v[14:15], 2, s[8:9]
	v_lshl_add_u64 v[20:21], v[6:7], 2, s[8:9]
	;; [unrolled: 1-line block ×3, first 2 shown]
	global_load_dword v25, v[10:11], off
	global_load_dword v7, v[14:15], off
	;; [unrolled: 1-line block ×3, first 2 shown]
	v_add_u32_e32 v0, 4, v0
	v_cmp_ge_i32_e32 vcc, v0, v12
	v_add_u32_e32 v6, 24, v6
	s_or_b64 s[2:3], vcc, s[2:3]
	s_waitcnt vmcnt(4)
	v_subrev_u32_e32 v1, s16, v1
	v_lshlrev_b32_e32 v16, 1, v1
	v_lshl_add_u64 v[10:11], v[16:17], 2, s[10:11]
	global_load_dwordx2 v[14:15], v[10:11], off
	global_load_dword v1, v[20:21], off
	s_waitcnt vmcnt(5)
	v_mov_b32_e32 v24, v18
	v_mov_b32_e32 v26, v19
	s_waitcnt vmcnt(1)
	v_pk_fma_f32 v[4:5], v[24:25], v[14:15], v[4:5] op_sel_hi:[1,0,1]
	v_fmac_f32_e32 v13, v7, v14
	v_pk_fma_f32 v[4:5], v[26:27], v[14:15], v[4:5] op_sel:[0,1,0]
	s_waitcnt vmcnt(0)
	v_fmac_f32_e32 v13, v1, v15
	s_andn2_b64 exec, exec, s[2:3]
	s_cbranch_execnz .LBB5_15
; %bb.16:
	s_or_b64 exec, exec, s[2:3]
.LBB5_17:
	s_or_b64 exec, exec, s[4:5]
.LBB5_18:
	v_mov_b32_dpp v0, v4 row_shr:1 row_mask:0xf bank_mask:0xf
	v_mov_b32_dpp v1, v5 row_shr:1 row_mask:0xf bank_mask:0xf
	;; [unrolled: 1-line block ×3, first 2 shown]
	v_pk_add_f32 v[0:1], v[4:5], v[0:1]
	v_add_f32_e32 v6, v13, v6
	v_cmp_eq_u32_e32 vcc, 3, v3
	v_mov_b32_dpp v4, v0 row_shr:2 row_mask:0xf bank_mask:0xf
	v_mov_b32_dpp v5, v1 row_shr:2 row_mask:0xf bank_mask:0xf
	;; [unrolled: 1-line block ×3, first 2 shown]
	s_and_b64 exec, exec, vcc
	s_cbranch_execz .LBB5_22
; %bb.19:
	s_load_dwordx2 s[0:1], s[0:1], 0x38
	v_pk_add_f32 v[4:5], v[0:1], v[4:5]
	v_add_f32_e32 v0, v6, v7
	v_cmp_eq_f32_e64 s[2:3], s12, 0
	v_lshl_add_u32 v6, v2, 1, v2
	s_and_b64 vcc, exec, s[2:3]
	v_mul_f32_e32 v2, s14, v0
	v_ashrrev_i32_e32 v7, 31, v6
	s_cbranch_vccz .LBB5_23
; %bb.20:
	s_waitcnt lgkmcnt(0)
	v_lshl_add_u64 v[8:9], v[6:7], 2, s[0:1]
	v_pk_mul_f32 v[0:1], s[14:15], v[4:5] op_sel_hi:[0,1]
	global_store_dwordx3 v[8:9], v[0:2], off
	s_cbranch_execnz .LBB5_22
.LBB5_21:
	s_waitcnt lgkmcnt(0)
	v_lshl_add_u64 v[10:11], v[6:7], 2, s[0:1]
	global_load_dwordx3 v[6:8], v[10:11], off
	v_pk_mul_f32 v[0:1], s[14:15], v[4:5] op_sel_hi:[0,1]
	s_waitcnt vmcnt(0)
	v_pk_fma_f32 v[0:1], s[12:13], v[6:7], v[0:1] op_sel_hi:[0,1,1]
	v_fmac_f32_e32 v2, s12, v8
	global_store_dwordx3 v[10:11], v[0:2], off
.LBB5_22:
	s_endpgm
.LBB5_23:
	s_branch .LBB5_21
	.section	.rodata,"a",@progbits
	.p2align	6, 0x0
	.amdhsa_kernel _ZN9rocsparseL19gebsrmvn_3xn_kernelILj128ELj2ELj4EfEEvi20rocsparse_direction_NS_24const_host_device_scalarIT2_EEPKiS6_PKS3_S8_S4_PS3_21rocsparse_index_base_b
		.amdhsa_group_segment_fixed_size 0
		.amdhsa_private_segment_fixed_size 0
		.amdhsa_kernarg_size 72
		.amdhsa_user_sgpr_count 2
		.amdhsa_user_sgpr_dispatch_ptr 0
		.amdhsa_user_sgpr_queue_ptr 0
		.amdhsa_user_sgpr_kernarg_segment_ptr 1
		.amdhsa_user_sgpr_dispatch_id 0
		.amdhsa_user_sgpr_kernarg_preload_length 0
		.amdhsa_user_sgpr_kernarg_preload_offset 0
		.amdhsa_user_sgpr_private_segment_size 0
		.amdhsa_uses_dynamic_stack 0
		.amdhsa_enable_private_segment 0
		.amdhsa_system_sgpr_workgroup_id_x 1
		.amdhsa_system_sgpr_workgroup_id_y 0
		.amdhsa_system_sgpr_workgroup_id_z 0
		.amdhsa_system_sgpr_workgroup_info 0
		.amdhsa_system_vgpr_workitem_id 0
		.amdhsa_next_free_vgpr 28
		.amdhsa_next_free_sgpr 20
		.amdhsa_accum_offset 28
		.amdhsa_reserve_vcc 1
		.amdhsa_float_round_mode_32 0
		.amdhsa_float_round_mode_16_64 0
		.amdhsa_float_denorm_mode_32 3
		.amdhsa_float_denorm_mode_16_64 3
		.amdhsa_dx10_clamp 1
		.amdhsa_ieee_mode 1
		.amdhsa_fp16_overflow 0
		.amdhsa_tg_split 0
		.amdhsa_exception_fp_ieee_invalid_op 0
		.amdhsa_exception_fp_denorm_src 0
		.amdhsa_exception_fp_ieee_div_zero 0
		.amdhsa_exception_fp_ieee_overflow 0
		.amdhsa_exception_fp_ieee_underflow 0
		.amdhsa_exception_fp_ieee_inexact 0
		.amdhsa_exception_int_div_zero 0
	.end_amdhsa_kernel
	.section	.text._ZN9rocsparseL19gebsrmvn_3xn_kernelILj128ELj2ELj4EfEEvi20rocsparse_direction_NS_24const_host_device_scalarIT2_EEPKiS6_PKS3_S8_S4_PS3_21rocsparse_index_base_b,"axG",@progbits,_ZN9rocsparseL19gebsrmvn_3xn_kernelILj128ELj2ELj4EfEEvi20rocsparse_direction_NS_24const_host_device_scalarIT2_EEPKiS6_PKS3_S8_S4_PS3_21rocsparse_index_base_b,comdat
.Lfunc_end5:
	.size	_ZN9rocsparseL19gebsrmvn_3xn_kernelILj128ELj2ELj4EfEEvi20rocsparse_direction_NS_24const_host_device_scalarIT2_EEPKiS6_PKS3_S8_S4_PS3_21rocsparse_index_base_b, .Lfunc_end5-_ZN9rocsparseL19gebsrmvn_3xn_kernelILj128ELj2ELj4EfEEvi20rocsparse_direction_NS_24const_host_device_scalarIT2_EEPKiS6_PKS3_S8_S4_PS3_21rocsparse_index_base_b
                                        ; -- End function
	.section	.AMDGPU.csdata,"",@progbits
; Kernel info:
; codeLenInByte = 984
; NumSgprs: 26
; NumVgprs: 28
; NumAgprs: 0
; TotalNumVgprs: 28
; ScratchSize: 0
; MemoryBound: 0
; FloatMode: 240
; IeeeMode: 1
; LDSByteSize: 0 bytes/workgroup (compile time only)
; SGPRBlocks: 3
; VGPRBlocks: 3
; NumSGPRsForWavesPerEU: 26
; NumVGPRsForWavesPerEU: 28
; AccumOffset: 28
; Occupancy: 8
; WaveLimiterHint : 1
; COMPUTE_PGM_RSRC2:SCRATCH_EN: 0
; COMPUTE_PGM_RSRC2:USER_SGPR: 2
; COMPUTE_PGM_RSRC2:TRAP_HANDLER: 0
; COMPUTE_PGM_RSRC2:TGID_X_EN: 1
; COMPUTE_PGM_RSRC2:TGID_Y_EN: 0
; COMPUTE_PGM_RSRC2:TGID_Z_EN: 0
; COMPUTE_PGM_RSRC2:TIDIG_COMP_CNT: 0
; COMPUTE_PGM_RSRC3_GFX90A:ACCUM_OFFSET: 6
; COMPUTE_PGM_RSRC3_GFX90A:TG_SPLIT: 0
	.section	.text._ZN9rocsparseL19gebsrmvn_3xn_kernelILj128ELj2ELj8EfEEvi20rocsparse_direction_NS_24const_host_device_scalarIT2_EEPKiS6_PKS3_S8_S4_PS3_21rocsparse_index_base_b,"axG",@progbits,_ZN9rocsparseL19gebsrmvn_3xn_kernelILj128ELj2ELj8EfEEvi20rocsparse_direction_NS_24const_host_device_scalarIT2_EEPKiS6_PKS3_S8_S4_PS3_21rocsparse_index_base_b,comdat
	.globl	_ZN9rocsparseL19gebsrmvn_3xn_kernelILj128ELj2ELj8EfEEvi20rocsparse_direction_NS_24const_host_device_scalarIT2_EEPKiS6_PKS3_S8_S4_PS3_21rocsparse_index_base_b ; -- Begin function _ZN9rocsparseL19gebsrmvn_3xn_kernelILj128ELj2ELj8EfEEvi20rocsparse_direction_NS_24const_host_device_scalarIT2_EEPKiS6_PKS3_S8_S4_PS3_21rocsparse_index_base_b
	.p2align	8
	.type	_ZN9rocsparseL19gebsrmvn_3xn_kernelILj128ELj2ELj8EfEEvi20rocsparse_direction_NS_24const_host_device_scalarIT2_EEPKiS6_PKS3_S8_S4_PS3_21rocsparse_index_base_b,@function
_ZN9rocsparseL19gebsrmvn_3xn_kernelILj128ELj2ELj8EfEEvi20rocsparse_direction_NS_24const_host_device_scalarIT2_EEPKiS6_PKS3_S8_S4_PS3_21rocsparse_index_base_b: ; @_ZN9rocsparseL19gebsrmvn_3xn_kernelILj128ELj2ELj8EfEEvi20rocsparse_direction_NS_24const_host_device_scalarIT2_EEPKiS6_PKS3_S8_S4_PS3_21rocsparse_index_base_b
; %bb.0:
	s_load_dwordx2 s[16:17], s[0:1], 0x40
	s_load_dwordx2 s[14:15], s[0:1], 0x8
	;; [unrolled: 1-line block ×3, first 2 shown]
	s_waitcnt lgkmcnt(0)
	s_bitcmp1_b32 s17, 0
	s_cselect_b64 s[6:7], -1, 0
	s_xor_b64 s[4:5], s[6:7], -1
	s_and_b64 vcc, exec, s[6:7]
	s_cbranch_vccnz .LBB6_2
; %bb.1:
	s_load_dword s14, s[14:15], 0x0
.LBB6_2:
	s_andn2_b64 vcc, exec, s[4:5]
	s_cbranch_vccnz .LBB6_4
; %bb.3:
	s_load_dword s12, s[12:13], 0x0
.LBB6_4:
	s_waitcnt lgkmcnt(0)
	v_cmp_eq_f32_e64 s[4:5], s14, 0
	v_cmp_eq_f32_e64 s[6:7], s12, 1.0
	s_and_b64 s[4:5], s[4:5], s[6:7]
	s_and_b64 vcc, exec, s[4:5]
	s_cbranch_vccnz .LBB6_22
; %bb.5:
	s_load_dwordx2 s[18:19], s[0:1], 0x0
	v_lshrrev_b32_e32 v1, 3, v0
	v_lshl_or_b32 v2, s2, 4, v1
	s_waitcnt lgkmcnt(0)
	v_cmp_gt_i32_e32 vcc, s18, v2
	s_and_saveexec_b64 s[2:3], vcc
	s_cbranch_execz .LBB6_22
; %bb.6:
	s_load_dwordx8 s[4:11], s[0:1], 0x10
	v_ashrrev_i32_e32 v3, 31, v2
	s_cmp_lg_u32 s19, 0
	s_waitcnt lgkmcnt(0)
	v_lshl_add_u64 v[4:5], v[2:3], 2, s[4:5]
	global_load_dwordx2 v[4:5], v[4:5], off
	v_and_b32_e32 v3, 7, v0
	s_waitcnt vmcnt(0)
	v_subrev_u32_e32 v0, s16, v4
	v_subrev_u32_e32 v13, s16, v5
	v_add_u32_e32 v0, v0, v3
	v_cmp_lt_i32_e64 s[2:3], v0, v13
	s_cbranch_scc0 .LBB6_12
; %bb.7:
	v_mov_b32_e32 v5, 0
	v_mov_b32_e32 v4, v5
	;; [unrolled: 1-line block ×3, first 2 shown]
	s_and_saveexec_b64 s[4:5], s[2:3]
	s_cbranch_execz .LBB6_11
; %bb.8:
	v_mad_u64_u32 v[6:7], s[18:19], v0, 6, 5
	v_mov_b32_e32 v9, 0
	s_mov_b64 s[18:19], 0
	v_mov_b32_e32 v10, v0
	v_mov_b32_e32 v12, 0
	;; [unrolled: 1-line block ×4, first 2 shown]
.LBB6_9:                                ; =>This Inner Loop Header: Depth=1
	v_ashrrev_i32_e32 v11, 31, v10
	v_lshl_add_u64 v[14:15], v[10:11], 2, s[6:7]
	global_load_dword v1, v[14:15], off
	v_add_u32_e32 v8, -5, v6
	v_lshl_add_u64 v[16:17], v[8:9], 2, s[8:9]
	v_add_u32_e32 v8, -3, v6
	v_lshl_add_u64 v[20:21], v[8:9], 2, s[8:9]
	v_add_u32_e32 v8, -2, v6
	v_mov_b32_e32 v15, v9
	v_mov_b32_e32 v7, v9
	v_lshl_add_u64 v[22:23], v[8:9], 2, s[8:9]
	v_add_u32_e32 v8, -1, v6
	v_lshl_add_u64 v[18:19], v[6:7], 2, s[8:9]
	global_load_dwordx2 v[16:17], v[16:17], off
	v_add_u32_e32 v10, 8, v10
	global_load_dword v7, v[20:21], off
	v_lshl_add_u64 v[20:21], v[8:9], 2, s[8:9]
	global_load_dword v24, v[22:23], off
	global_load_dword v25, v[20:21], off
	v_cmp_ge_i32_e32 vcc, v10, v13
	v_add_u32_e32 v6, 48, v6
	s_or_b64 s[18:19], vcc, s[18:19]
	s_waitcnt vmcnt(4)
	v_subrev_u32_e32 v1, s16, v1
	v_lshlrev_b32_e32 v14, 1, v1
	v_lshl_add_u64 v[14:15], v[14:15], 2, s[10:11]
	global_load_dwordx2 v[20:21], v[14:15], off
	global_load_dword v1, v[18:19], off
	s_waitcnt vmcnt(1)
	v_pk_fma_f32 v[4:5], v[16:17], v[20:21], v[4:5] op_sel_hi:[1,0,1]
	v_fmac_f32_e32 v12, v7, v20
	v_pk_fma_f32 v[4:5], v[24:25], v[20:21], v[4:5] op_sel:[0,1,0]
	s_waitcnt vmcnt(0)
	v_fmac_f32_e32 v12, v1, v21
	s_andn2_b64 exec, exec, s[18:19]
	s_cbranch_execnz .LBB6_9
; %bb.10:
	s_or_b64 exec, exec, s[18:19]
.LBB6_11:
	s_or_b64 exec, exec, s[4:5]
	s_cbranch_execz .LBB6_13
	s_branch .LBB6_18
.LBB6_12:
                                        ; implicit-def: $vgpr5
                                        ; implicit-def: $vgpr12
.LBB6_13:
	v_mov_b32_e32 v5, 0
	v_mov_b32_e32 v4, v5
	;; [unrolled: 1-line block ×3, first 2 shown]
	s_and_saveexec_b64 s[4:5], s[2:3]
	s_cbranch_execz .LBB6_17
; %bb.14:
	v_mad_u64_u32 v[6:7], s[2:3], v0, 6, 5
	v_mov_b32_e32 v9, 0
	s_mov_b64 s[2:3], 0
	v_mov_b32_e32 v12, 0
	v_mov_b32_e32 v4, v9
	;; [unrolled: 1-line block ×3, first 2 shown]
.LBB6_15:                               ; =>This Inner Loop Header: Depth=1
	v_ashrrev_i32_e32 v1, 31, v0
	v_lshl_add_u64 v[10:11], v[0:1], 2, s[6:7]
	global_load_dword v1, v[10:11], off
	v_add_u32_e32 v8, -5, v6
	v_add_u32_e32 v10, -3, v6
	v_mov_b32_e32 v11, v9
	v_lshl_add_u64 v[18:19], v[8:9], 2, s[8:9]
	v_add_u32_e32 v14, -1, v6
	v_mov_b32_e32 v17, v9
	v_mov_b32_e32 v15, v9
	;; [unrolled: 1-line block ×3, first 2 shown]
	v_lshl_add_u64 v[10:11], v[10:11], 2, s[8:9]
	v_add_u32_e32 v8, -2, v6
	global_load_dwordx2 v[18:19], v[18:19], off
	v_lshl_add_u64 v[14:15], v[14:15], 2, s[8:9]
	v_lshl_add_u64 v[20:21], v[6:7], 2, s[8:9]
	;; [unrolled: 1-line block ×3, first 2 shown]
	global_load_dword v25, v[10:11], off
	global_load_dword v7, v[14:15], off
	;; [unrolled: 1-line block ×3, first 2 shown]
	v_add_u32_e32 v0, 8, v0
	v_cmp_ge_i32_e32 vcc, v0, v13
	v_add_u32_e32 v6, 48, v6
	s_or_b64 s[2:3], vcc, s[2:3]
	s_waitcnt vmcnt(4)
	v_subrev_u32_e32 v1, s16, v1
	v_lshlrev_b32_e32 v16, 1, v1
	v_lshl_add_u64 v[10:11], v[16:17], 2, s[10:11]
	global_load_dwordx2 v[14:15], v[10:11], off
	global_load_dword v1, v[20:21], off
	s_waitcnt vmcnt(5)
	v_mov_b32_e32 v24, v18
	v_mov_b32_e32 v26, v19
	s_waitcnt vmcnt(1)
	v_pk_fma_f32 v[4:5], v[24:25], v[14:15], v[4:5] op_sel_hi:[1,0,1]
	v_fmac_f32_e32 v12, v7, v14
	v_pk_fma_f32 v[4:5], v[26:27], v[14:15], v[4:5] op_sel:[0,1,0]
	s_waitcnt vmcnt(0)
	v_fmac_f32_e32 v12, v1, v15
	s_andn2_b64 exec, exec, s[2:3]
	s_cbranch_execnz .LBB6_15
; %bb.16:
	s_or_b64 exec, exec, s[2:3]
.LBB6_17:
	s_or_b64 exec, exec, s[4:5]
.LBB6_18:
	v_mov_b32_dpp v0, v4 row_shr:1 row_mask:0xf bank_mask:0xf
	v_mov_b32_dpp v1, v5 row_shr:1 row_mask:0xf bank_mask:0xf
	;; [unrolled: 1-line block ×3, first 2 shown]
	v_pk_add_f32 v[0:1], v[4:5], v[0:1]
	v_add_f32_e32 v6, v12, v6
	v_cmp_eq_u32_e32 vcc, 7, v3
	v_mov_b32_dpp v4, v0 row_shr:2 row_mask:0xf bank_mask:0xf
	v_mov_b32_dpp v5, v1 row_shr:2 row_mask:0xf bank_mask:0xf
	;; [unrolled: 1-line block ×3, first 2 shown]
	v_pk_add_f32 v[0:1], v[0:1], v[4:5]
	v_add_f32_e32 v6, v6, v7
	s_nop 0
	v_mov_b32_dpp v4, v0 row_shr:4 row_mask:0xf bank_mask:0xe
	v_mov_b32_dpp v5, v1 row_shr:4 row_mask:0xf bank_mask:0xe
	;; [unrolled: 1-line block ×3, first 2 shown]
	s_and_b64 exec, exec, vcc
	s_cbranch_execz .LBB6_22
; %bb.19:
	s_load_dwordx2 s[0:1], s[0:1], 0x38
	v_pk_add_f32 v[4:5], v[0:1], v[4:5]
	v_add_f32_e32 v0, v6, v7
	v_cmp_eq_f32_e64 s[2:3], s12, 0
	v_lshl_add_u32 v6, v2, 1, v2
	s_and_b64 vcc, exec, s[2:3]
	v_mul_f32_e32 v2, s14, v0
	v_ashrrev_i32_e32 v7, 31, v6
	s_cbranch_vccz .LBB6_23
; %bb.20:
	s_waitcnt lgkmcnt(0)
	v_lshl_add_u64 v[8:9], v[6:7], 2, s[0:1]
	v_pk_mul_f32 v[0:1], s[14:15], v[4:5] op_sel_hi:[0,1]
	global_store_dwordx3 v[8:9], v[0:2], off
	s_cbranch_execnz .LBB6_22
.LBB6_21:
	s_waitcnt lgkmcnt(0)
	v_lshl_add_u64 v[10:11], v[6:7], 2, s[0:1]
	global_load_dwordx3 v[6:8], v[10:11], off
	v_pk_mul_f32 v[0:1], s[14:15], v[4:5] op_sel_hi:[0,1]
	s_waitcnt vmcnt(0)
	v_pk_fma_f32 v[0:1], s[12:13], v[6:7], v[0:1] op_sel_hi:[0,1,1]
	v_fmac_f32_e32 v2, s12, v8
	global_store_dwordx3 v[10:11], v[0:2], off
.LBB6_22:
	s_endpgm
.LBB6_23:
	s_branch .LBB6_21
	.section	.rodata,"a",@progbits
	.p2align	6, 0x0
	.amdhsa_kernel _ZN9rocsparseL19gebsrmvn_3xn_kernelILj128ELj2ELj8EfEEvi20rocsparse_direction_NS_24const_host_device_scalarIT2_EEPKiS6_PKS3_S8_S4_PS3_21rocsparse_index_base_b
		.amdhsa_group_segment_fixed_size 0
		.amdhsa_private_segment_fixed_size 0
		.amdhsa_kernarg_size 72
		.amdhsa_user_sgpr_count 2
		.amdhsa_user_sgpr_dispatch_ptr 0
		.amdhsa_user_sgpr_queue_ptr 0
		.amdhsa_user_sgpr_kernarg_segment_ptr 1
		.amdhsa_user_sgpr_dispatch_id 0
		.amdhsa_user_sgpr_kernarg_preload_length 0
		.amdhsa_user_sgpr_kernarg_preload_offset 0
		.amdhsa_user_sgpr_private_segment_size 0
		.amdhsa_uses_dynamic_stack 0
		.amdhsa_enable_private_segment 0
		.amdhsa_system_sgpr_workgroup_id_x 1
		.amdhsa_system_sgpr_workgroup_id_y 0
		.amdhsa_system_sgpr_workgroup_id_z 0
		.amdhsa_system_sgpr_workgroup_info 0
		.amdhsa_system_vgpr_workitem_id 0
		.amdhsa_next_free_vgpr 28
		.amdhsa_next_free_sgpr 20
		.amdhsa_accum_offset 28
		.amdhsa_reserve_vcc 1
		.amdhsa_float_round_mode_32 0
		.amdhsa_float_round_mode_16_64 0
		.amdhsa_float_denorm_mode_32 3
		.amdhsa_float_denorm_mode_16_64 3
		.amdhsa_dx10_clamp 1
		.amdhsa_ieee_mode 1
		.amdhsa_fp16_overflow 0
		.amdhsa_tg_split 0
		.amdhsa_exception_fp_ieee_invalid_op 0
		.amdhsa_exception_fp_denorm_src 0
		.amdhsa_exception_fp_ieee_div_zero 0
		.amdhsa_exception_fp_ieee_overflow 0
		.amdhsa_exception_fp_ieee_underflow 0
		.amdhsa_exception_fp_ieee_inexact 0
		.amdhsa_exception_int_div_zero 0
	.end_amdhsa_kernel
	.section	.text._ZN9rocsparseL19gebsrmvn_3xn_kernelILj128ELj2ELj8EfEEvi20rocsparse_direction_NS_24const_host_device_scalarIT2_EEPKiS6_PKS3_S8_S4_PS3_21rocsparse_index_base_b,"axG",@progbits,_ZN9rocsparseL19gebsrmvn_3xn_kernelILj128ELj2ELj8EfEEvi20rocsparse_direction_NS_24const_host_device_scalarIT2_EEPKiS6_PKS3_S8_S4_PS3_21rocsparse_index_base_b,comdat
.Lfunc_end6:
	.size	_ZN9rocsparseL19gebsrmvn_3xn_kernelILj128ELj2ELj8EfEEvi20rocsparse_direction_NS_24const_host_device_scalarIT2_EEPKiS6_PKS3_S8_S4_PS3_21rocsparse_index_base_b, .Lfunc_end6-_ZN9rocsparseL19gebsrmvn_3xn_kernelILj128ELj2ELj8EfEEvi20rocsparse_direction_NS_24const_host_device_scalarIT2_EEPKiS6_PKS3_S8_S4_PS3_21rocsparse_index_base_b
                                        ; -- End function
	.section	.AMDGPU.csdata,"",@progbits
; Kernel info:
; codeLenInByte = 1024
; NumSgprs: 26
; NumVgprs: 28
; NumAgprs: 0
; TotalNumVgprs: 28
; ScratchSize: 0
; MemoryBound: 0
; FloatMode: 240
; IeeeMode: 1
; LDSByteSize: 0 bytes/workgroup (compile time only)
; SGPRBlocks: 3
; VGPRBlocks: 3
; NumSGPRsForWavesPerEU: 26
; NumVGPRsForWavesPerEU: 28
; AccumOffset: 28
; Occupancy: 8
; WaveLimiterHint : 1
; COMPUTE_PGM_RSRC2:SCRATCH_EN: 0
; COMPUTE_PGM_RSRC2:USER_SGPR: 2
; COMPUTE_PGM_RSRC2:TRAP_HANDLER: 0
; COMPUTE_PGM_RSRC2:TGID_X_EN: 1
; COMPUTE_PGM_RSRC2:TGID_Y_EN: 0
; COMPUTE_PGM_RSRC2:TGID_Z_EN: 0
; COMPUTE_PGM_RSRC2:TIDIG_COMP_CNT: 0
; COMPUTE_PGM_RSRC3_GFX90A:ACCUM_OFFSET: 6
; COMPUTE_PGM_RSRC3_GFX90A:TG_SPLIT: 0
	.section	.text._ZN9rocsparseL19gebsrmvn_3xn_kernelILj128ELj2ELj16EfEEvi20rocsparse_direction_NS_24const_host_device_scalarIT2_EEPKiS6_PKS3_S8_S4_PS3_21rocsparse_index_base_b,"axG",@progbits,_ZN9rocsparseL19gebsrmvn_3xn_kernelILj128ELj2ELj16EfEEvi20rocsparse_direction_NS_24const_host_device_scalarIT2_EEPKiS6_PKS3_S8_S4_PS3_21rocsparse_index_base_b,comdat
	.globl	_ZN9rocsparseL19gebsrmvn_3xn_kernelILj128ELj2ELj16EfEEvi20rocsparse_direction_NS_24const_host_device_scalarIT2_EEPKiS6_PKS3_S8_S4_PS3_21rocsparse_index_base_b ; -- Begin function _ZN9rocsparseL19gebsrmvn_3xn_kernelILj128ELj2ELj16EfEEvi20rocsparse_direction_NS_24const_host_device_scalarIT2_EEPKiS6_PKS3_S8_S4_PS3_21rocsparse_index_base_b
	.p2align	8
	.type	_ZN9rocsparseL19gebsrmvn_3xn_kernelILj128ELj2ELj16EfEEvi20rocsparse_direction_NS_24const_host_device_scalarIT2_EEPKiS6_PKS3_S8_S4_PS3_21rocsparse_index_base_b,@function
_ZN9rocsparseL19gebsrmvn_3xn_kernelILj128ELj2ELj16EfEEvi20rocsparse_direction_NS_24const_host_device_scalarIT2_EEPKiS6_PKS3_S8_S4_PS3_21rocsparse_index_base_b: ; @_ZN9rocsparseL19gebsrmvn_3xn_kernelILj128ELj2ELj16EfEEvi20rocsparse_direction_NS_24const_host_device_scalarIT2_EEPKiS6_PKS3_S8_S4_PS3_21rocsparse_index_base_b
; %bb.0:
	s_load_dwordx2 s[16:17], s[0:1], 0x40
	s_load_dwordx2 s[14:15], s[0:1], 0x8
	;; [unrolled: 1-line block ×3, first 2 shown]
	s_waitcnt lgkmcnt(0)
	s_bitcmp1_b32 s17, 0
	s_cselect_b64 s[6:7], -1, 0
	s_xor_b64 s[4:5], s[6:7], -1
	s_and_b64 vcc, exec, s[6:7]
	s_cbranch_vccnz .LBB7_2
; %bb.1:
	s_load_dword s14, s[14:15], 0x0
.LBB7_2:
	s_andn2_b64 vcc, exec, s[4:5]
	s_cbranch_vccnz .LBB7_4
; %bb.3:
	s_load_dword s12, s[12:13], 0x0
.LBB7_4:
	s_waitcnt lgkmcnt(0)
	v_cmp_eq_f32_e64 s[4:5], s14, 0
	v_cmp_eq_f32_e64 s[6:7], s12, 1.0
	s_and_b64 s[4:5], s[4:5], s[6:7]
	s_and_b64 vcc, exec, s[4:5]
	s_cbranch_vccnz .LBB7_22
; %bb.5:
	s_load_dwordx2 s[18:19], s[0:1], 0x0
	v_lshrrev_b32_e32 v1, 4, v0
	v_lshl_or_b32 v2, s2, 3, v1
	s_waitcnt lgkmcnt(0)
	v_cmp_gt_i32_e32 vcc, s18, v2
	s_and_saveexec_b64 s[2:3], vcc
	s_cbranch_execz .LBB7_22
; %bb.6:
	s_load_dwordx8 s[4:11], s[0:1], 0x10
	v_ashrrev_i32_e32 v3, 31, v2
	s_cmp_lg_u32 s19, 0
	s_waitcnt lgkmcnt(0)
	v_lshl_add_u64 v[4:5], v[2:3], 2, s[4:5]
	global_load_dwordx2 v[4:5], v[4:5], off
	v_and_b32_e32 v3, 15, v0
	s_waitcnt vmcnt(0)
	v_subrev_u32_e32 v0, s16, v4
	v_subrev_u32_e32 v13, s16, v5
	v_add_u32_e32 v0, v0, v3
	v_cmp_lt_i32_e64 s[2:3], v0, v13
	s_cbranch_scc0 .LBB7_12
; %bb.7:
	v_mov_b32_e32 v5, 0
	v_mov_b32_e32 v4, v5
	;; [unrolled: 1-line block ×3, first 2 shown]
	s_and_saveexec_b64 s[4:5], s[2:3]
	s_cbranch_execz .LBB7_11
; %bb.8:
	v_mad_u64_u32 v[6:7], s[18:19], v0, 6, 5
	v_mov_b32_e32 v9, 0
	s_mov_b64 s[18:19], 0
	v_mov_b32_e32 v10, v0
	v_mov_b32_e32 v12, 0
	;; [unrolled: 1-line block ×4, first 2 shown]
.LBB7_9:                                ; =>This Inner Loop Header: Depth=1
	v_ashrrev_i32_e32 v11, 31, v10
	v_lshl_add_u64 v[14:15], v[10:11], 2, s[6:7]
	global_load_dword v1, v[14:15], off
	v_add_u32_e32 v8, -5, v6
	v_lshl_add_u64 v[16:17], v[8:9], 2, s[8:9]
	v_add_u32_e32 v8, -3, v6
	v_lshl_add_u64 v[20:21], v[8:9], 2, s[8:9]
	v_add_u32_e32 v8, -2, v6
	v_mov_b32_e32 v15, v9
	v_mov_b32_e32 v7, v9
	v_lshl_add_u64 v[22:23], v[8:9], 2, s[8:9]
	v_add_u32_e32 v8, -1, v6
	v_lshl_add_u64 v[18:19], v[6:7], 2, s[8:9]
	global_load_dwordx2 v[16:17], v[16:17], off
	v_add_u32_e32 v10, 16, v10
	global_load_dword v7, v[20:21], off
	v_lshl_add_u64 v[20:21], v[8:9], 2, s[8:9]
	global_load_dword v24, v[22:23], off
	global_load_dword v25, v[20:21], off
	v_cmp_ge_i32_e32 vcc, v10, v13
	v_add_u32_e32 v6, 0x60, v6
	s_or_b64 s[18:19], vcc, s[18:19]
	s_waitcnt vmcnt(4)
	v_subrev_u32_e32 v1, s16, v1
	v_lshlrev_b32_e32 v14, 1, v1
	v_lshl_add_u64 v[14:15], v[14:15], 2, s[10:11]
	global_load_dwordx2 v[20:21], v[14:15], off
	global_load_dword v1, v[18:19], off
	s_waitcnt vmcnt(1)
	v_pk_fma_f32 v[4:5], v[16:17], v[20:21], v[4:5] op_sel_hi:[1,0,1]
	v_fmac_f32_e32 v12, v7, v20
	v_pk_fma_f32 v[4:5], v[24:25], v[20:21], v[4:5] op_sel:[0,1,0]
	s_waitcnt vmcnt(0)
	v_fmac_f32_e32 v12, v1, v21
	s_andn2_b64 exec, exec, s[18:19]
	s_cbranch_execnz .LBB7_9
; %bb.10:
	s_or_b64 exec, exec, s[18:19]
.LBB7_11:
	s_or_b64 exec, exec, s[4:5]
	s_cbranch_execz .LBB7_13
	s_branch .LBB7_18
.LBB7_12:
                                        ; implicit-def: $vgpr5
                                        ; implicit-def: $vgpr12
.LBB7_13:
	v_mov_b32_e32 v5, 0
	v_mov_b32_e32 v4, v5
	;; [unrolled: 1-line block ×3, first 2 shown]
	s_and_saveexec_b64 s[4:5], s[2:3]
	s_cbranch_execz .LBB7_17
; %bb.14:
	v_mad_u64_u32 v[6:7], s[2:3], v0, 6, 5
	v_mov_b32_e32 v9, 0
	s_mov_b64 s[2:3], 0
	v_mov_b32_e32 v12, 0
	v_mov_b32_e32 v4, v9
	;; [unrolled: 1-line block ×3, first 2 shown]
.LBB7_15:                               ; =>This Inner Loop Header: Depth=1
	v_ashrrev_i32_e32 v1, 31, v0
	v_lshl_add_u64 v[10:11], v[0:1], 2, s[6:7]
	global_load_dword v1, v[10:11], off
	v_add_u32_e32 v8, -5, v6
	v_add_u32_e32 v10, -3, v6
	v_mov_b32_e32 v11, v9
	v_lshl_add_u64 v[18:19], v[8:9], 2, s[8:9]
	v_add_u32_e32 v14, -1, v6
	v_mov_b32_e32 v17, v9
	v_mov_b32_e32 v15, v9
	;; [unrolled: 1-line block ×3, first 2 shown]
	v_lshl_add_u64 v[10:11], v[10:11], 2, s[8:9]
	v_add_u32_e32 v8, -2, v6
	global_load_dwordx2 v[18:19], v[18:19], off
	v_lshl_add_u64 v[14:15], v[14:15], 2, s[8:9]
	v_lshl_add_u64 v[20:21], v[6:7], 2, s[8:9]
	;; [unrolled: 1-line block ×3, first 2 shown]
	global_load_dword v25, v[10:11], off
	global_load_dword v7, v[14:15], off
	;; [unrolled: 1-line block ×3, first 2 shown]
	v_add_u32_e32 v0, 16, v0
	v_cmp_ge_i32_e32 vcc, v0, v13
	v_add_u32_e32 v6, 0x60, v6
	s_or_b64 s[2:3], vcc, s[2:3]
	s_waitcnt vmcnt(4)
	v_subrev_u32_e32 v1, s16, v1
	v_lshlrev_b32_e32 v16, 1, v1
	v_lshl_add_u64 v[10:11], v[16:17], 2, s[10:11]
	global_load_dwordx2 v[14:15], v[10:11], off
	global_load_dword v1, v[20:21], off
	s_waitcnt vmcnt(5)
	v_mov_b32_e32 v24, v18
	v_mov_b32_e32 v26, v19
	s_waitcnt vmcnt(1)
	v_pk_fma_f32 v[4:5], v[24:25], v[14:15], v[4:5] op_sel_hi:[1,0,1]
	v_fmac_f32_e32 v12, v7, v14
	v_pk_fma_f32 v[4:5], v[26:27], v[14:15], v[4:5] op_sel:[0,1,0]
	s_waitcnt vmcnt(0)
	v_fmac_f32_e32 v12, v1, v15
	s_andn2_b64 exec, exec, s[2:3]
	s_cbranch_execnz .LBB7_15
; %bb.16:
	s_or_b64 exec, exec, s[2:3]
.LBB7_17:
	s_or_b64 exec, exec, s[4:5]
.LBB7_18:
	v_mov_b32_dpp v0, v4 row_shr:1 row_mask:0xf bank_mask:0xf
	v_mov_b32_dpp v1, v5 row_shr:1 row_mask:0xf bank_mask:0xf
	;; [unrolled: 1-line block ×3, first 2 shown]
	v_pk_add_f32 v[0:1], v[4:5], v[0:1]
	v_add_f32_e32 v6, v12, v6
	v_cmp_eq_u32_e32 vcc, 15, v3
	v_mov_b32_dpp v4, v0 row_shr:2 row_mask:0xf bank_mask:0xf
	v_mov_b32_dpp v5, v1 row_shr:2 row_mask:0xf bank_mask:0xf
	;; [unrolled: 1-line block ×3, first 2 shown]
	v_pk_add_f32 v[0:1], v[0:1], v[4:5]
	v_add_f32_e32 v6, v6, v7
	s_nop 0
	v_mov_b32_dpp v4, v0 row_shr:4 row_mask:0xf bank_mask:0xe
	v_mov_b32_dpp v5, v1 row_shr:4 row_mask:0xf bank_mask:0xe
	;; [unrolled: 1-line block ×3, first 2 shown]
	v_pk_add_f32 v[0:1], v[0:1], v[4:5]
	v_add_f32_e32 v6, v6, v7
	s_nop 0
	v_mov_b32_dpp v4, v0 row_shr:8 row_mask:0xf bank_mask:0xc
	v_mov_b32_dpp v5, v1 row_shr:8 row_mask:0xf bank_mask:0xc
	;; [unrolled: 1-line block ×3, first 2 shown]
	s_and_b64 exec, exec, vcc
	s_cbranch_execz .LBB7_22
; %bb.19:
	s_load_dwordx2 s[0:1], s[0:1], 0x38
	v_pk_add_f32 v[4:5], v[0:1], v[4:5]
	v_add_f32_e32 v0, v6, v7
	v_cmp_eq_f32_e64 s[2:3], s12, 0
	v_lshl_add_u32 v6, v2, 1, v2
	s_and_b64 vcc, exec, s[2:3]
	v_mul_f32_e32 v2, s14, v0
	v_ashrrev_i32_e32 v7, 31, v6
	s_cbranch_vccz .LBB7_23
; %bb.20:
	s_waitcnt lgkmcnt(0)
	v_lshl_add_u64 v[8:9], v[6:7], 2, s[0:1]
	v_pk_mul_f32 v[0:1], s[14:15], v[4:5] op_sel_hi:[0,1]
	global_store_dwordx3 v[8:9], v[0:2], off
	s_cbranch_execnz .LBB7_22
.LBB7_21:
	s_waitcnt lgkmcnt(0)
	v_lshl_add_u64 v[10:11], v[6:7], 2, s[0:1]
	global_load_dwordx3 v[6:8], v[10:11], off
	v_pk_mul_f32 v[0:1], s[14:15], v[4:5] op_sel_hi:[0,1]
	s_waitcnt vmcnt(0)
	v_pk_fma_f32 v[0:1], s[12:13], v[6:7], v[0:1] op_sel_hi:[0,1,1]
	v_fmac_f32_e32 v2, s12, v8
	global_store_dwordx3 v[10:11], v[0:2], off
.LBB7_22:
	s_endpgm
.LBB7_23:
	s_branch .LBB7_21
	.section	.rodata,"a",@progbits
	.p2align	6, 0x0
	.amdhsa_kernel _ZN9rocsparseL19gebsrmvn_3xn_kernelILj128ELj2ELj16EfEEvi20rocsparse_direction_NS_24const_host_device_scalarIT2_EEPKiS6_PKS3_S8_S4_PS3_21rocsparse_index_base_b
		.amdhsa_group_segment_fixed_size 0
		.amdhsa_private_segment_fixed_size 0
		.amdhsa_kernarg_size 72
		.amdhsa_user_sgpr_count 2
		.amdhsa_user_sgpr_dispatch_ptr 0
		.amdhsa_user_sgpr_queue_ptr 0
		.amdhsa_user_sgpr_kernarg_segment_ptr 1
		.amdhsa_user_sgpr_dispatch_id 0
		.amdhsa_user_sgpr_kernarg_preload_length 0
		.amdhsa_user_sgpr_kernarg_preload_offset 0
		.amdhsa_user_sgpr_private_segment_size 0
		.amdhsa_uses_dynamic_stack 0
		.amdhsa_enable_private_segment 0
		.amdhsa_system_sgpr_workgroup_id_x 1
		.amdhsa_system_sgpr_workgroup_id_y 0
		.amdhsa_system_sgpr_workgroup_id_z 0
		.amdhsa_system_sgpr_workgroup_info 0
		.amdhsa_system_vgpr_workitem_id 0
		.amdhsa_next_free_vgpr 28
		.amdhsa_next_free_sgpr 20
		.amdhsa_accum_offset 28
		.amdhsa_reserve_vcc 1
		.amdhsa_float_round_mode_32 0
		.amdhsa_float_round_mode_16_64 0
		.amdhsa_float_denorm_mode_32 3
		.amdhsa_float_denorm_mode_16_64 3
		.amdhsa_dx10_clamp 1
		.amdhsa_ieee_mode 1
		.amdhsa_fp16_overflow 0
		.amdhsa_tg_split 0
		.amdhsa_exception_fp_ieee_invalid_op 0
		.amdhsa_exception_fp_denorm_src 0
		.amdhsa_exception_fp_ieee_div_zero 0
		.amdhsa_exception_fp_ieee_overflow 0
		.amdhsa_exception_fp_ieee_underflow 0
		.amdhsa_exception_fp_ieee_inexact 0
		.amdhsa_exception_int_div_zero 0
	.end_amdhsa_kernel
	.section	.text._ZN9rocsparseL19gebsrmvn_3xn_kernelILj128ELj2ELj16EfEEvi20rocsparse_direction_NS_24const_host_device_scalarIT2_EEPKiS6_PKS3_S8_S4_PS3_21rocsparse_index_base_b,"axG",@progbits,_ZN9rocsparseL19gebsrmvn_3xn_kernelILj128ELj2ELj16EfEEvi20rocsparse_direction_NS_24const_host_device_scalarIT2_EEPKiS6_PKS3_S8_S4_PS3_21rocsparse_index_base_b,comdat
.Lfunc_end7:
	.size	_ZN9rocsparseL19gebsrmvn_3xn_kernelILj128ELj2ELj16EfEEvi20rocsparse_direction_NS_24const_host_device_scalarIT2_EEPKiS6_PKS3_S8_S4_PS3_21rocsparse_index_base_b, .Lfunc_end7-_ZN9rocsparseL19gebsrmvn_3xn_kernelILj128ELj2ELj16EfEEvi20rocsparse_direction_NS_24const_host_device_scalarIT2_EEPKiS6_PKS3_S8_S4_PS3_21rocsparse_index_base_b
                                        ; -- End function
	.section	.AMDGPU.csdata,"",@progbits
; Kernel info:
; codeLenInByte = 1072
; NumSgprs: 26
; NumVgprs: 28
; NumAgprs: 0
; TotalNumVgprs: 28
; ScratchSize: 0
; MemoryBound: 0
; FloatMode: 240
; IeeeMode: 1
; LDSByteSize: 0 bytes/workgroup (compile time only)
; SGPRBlocks: 3
; VGPRBlocks: 3
; NumSGPRsForWavesPerEU: 26
; NumVGPRsForWavesPerEU: 28
; AccumOffset: 28
; Occupancy: 8
; WaveLimiterHint : 1
; COMPUTE_PGM_RSRC2:SCRATCH_EN: 0
; COMPUTE_PGM_RSRC2:USER_SGPR: 2
; COMPUTE_PGM_RSRC2:TRAP_HANDLER: 0
; COMPUTE_PGM_RSRC2:TGID_X_EN: 1
; COMPUTE_PGM_RSRC2:TGID_Y_EN: 0
; COMPUTE_PGM_RSRC2:TGID_Z_EN: 0
; COMPUTE_PGM_RSRC2:TIDIG_COMP_CNT: 0
; COMPUTE_PGM_RSRC3_GFX90A:ACCUM_OFFSET: 6
; COMPUTE_PGM_RSRC3_GFX90A:TG_SPLIT: 0
	.section	.text._ZN9rocsparseL19gebsrmvn_3xn_kernelILj128ELj2ELj32EfEEvi20rocsparse_direction_NS_24const_host_device_scalarIT2_EEPKiS6_PKS3_S8_S4_PS3_21rocsparse_index_base_b,"axG",@progbits,_ZN9rocsparseL19gebsrmvn_3xn_kernelILj128ELj2ELj32EfEEvi20rocsparse_direction_NS_24const_host_device_scalarIT2_EEPKiS6_PKS3_S8_S4_PS3_21rocsparse_index_base_b,comdat
	.globl	_ZN9rocsparseL19gebsrmvn_3xn_kernelILj128ELj2ELj32EfEEvi20rocsparse_direction_NS_24const_host_device_scalarIT2_EEPKiS6_PKS3_S8_S4_PS3_21rocsparse_index_base_b ; -- Begin function _ZN9rocsparseL19gebsrmvn_3xn_kernelILj128ELj2ELj32EfEEvi20rocsparse_direction_NS_24const_host_device_scalarIT2_EEPKiS6_PKS3_S8_S4_PS3_21rocsparse_index_base_b
	.p2align	8
	.type	_ZN9rocsparseL19gebsrmvn_3xn_kernelILj128ELj2ELj32EfEEvi20rocsparse_direction_NS_24const_host_device_scalarIT2_EEPKiS6_PKS3_S8_S4_PS3_21rocsparse_index_base_b,@function
_ZN9rocsparseL19gebsrmvn_3xn_kernelILj128ELj2ELj32EfEEvi20rocsparse_direction_NS_24const_host_device_scalarIT2_EEPKiS6_PKS3_S8_S4_PS3_21rocsparse_index_base_b: ; @_ZN9rocsparseL19gebsrmvn_3xn_kernelILj128ELj2ELj32EfEEvi20rocsparse_direction_NS_24const_host_device_scalarIT2_EEPKiS6_PKS3_S8_S4_PS3_21rocsparse_index_base_b
; %bb.0:
	s_load_dwordx2 s[16:17], s[0:1], 0x40
	s_load_dwordx2 s[14:15], s[0:1], 0x8
	;; [unrolled: 1-line block ×3, first 2 shown]
	s_waitcnt lgkmcnt(0)
	s_bitcmp1_b32 s17, 0
	s_cselect_b64 s[6:7], -1, 0
	s_xor_b64 s[4:5], s[6:7], -1
	s_and_b64 vcc, exec, s[6:7]
	s_cbranch_vccnz .LBB8_2
; %bb.1:
	s_load_dword s14, s[14:15], 0x0
.LBB8_2:
	s_andn2_b64 vcc, exec, s[4:5]
	s_cbranch_vccnz .LBB8_4
; %bb.3:
	s_load_dword s12, s[12:13], 0x0
.LBB8_4:
	s_waitcnt lgkmcnt(0)
	v_cmp_eq_f32_e64 s[4:5], s14, 0
	v_cmp_eq_f32_e64 s[6:7], s12, 1.0
	s_and_b64 s[4:5], s[4:5], s[6:7]
	s_and_b64 vcc, exec, s[4:5]
	s_cbranch_vccnz .LBB8_22
; %bb.5:
	s_load_dwordx2 s[18:19], s[0:1], 0x0
	v_lshrrev_b32_e32 v1, 5, v0
	v_lshl_or_b32 v2, s2, 2, v1
	s_waitcnt lgkmcnt(0)
	v_cmp_gt_i32_e32 vcc, s18, v2
	s_and_saveexec_b64 s[2:3], vcc
	s_cbranch_execz .LBB8_22
; %bb.6:
	s_load_dwordx8 s[4:11], s[0:1], 0x10
	v_ashrrev_i32_e32 v3, 31, v2
	s_cmp_lg_u32 s19, 0
	s_waitcnt lgkmcnt(0)
	v_lshl_add_u64 v[4:5], v[2:3], 2, s[4:5]
	global_load_dwordx2 v[4:5], v[4:5], off
	v_and_b32_e32 v3, 31, v0
	s_waitcnt vmcnt(0)
	v_subrev_u32_e32 v0, s16, v4
	v_subrev_u32_e32 v13, s16, v5
	v_add_u32_e32 v0, v0, v3
	v_cmp_lt_i32_e64 s[2:3], v0, v13
	s_cbranch_scc0 .LBB8_12
; %bb.7:
	v_mov_b32_e32 v5, 0
	v_mov_b32_e32 v4, v5
	;; [unrolled: 1-line block ×3, first 2 shown]
	s_and_saveexec_b64 s[4:5], s[2:3]
	s_cbranch_execz .LBB8_11
; %bb.8:
	v_mad_u64_u32 v[6:7], s[18:19], v0, 6, 5
	v_mov_b32_e32 v9, 0
	s_mov_b64 s[18:19], 0
	v_mov_b32_e32 v10, v0
	v_mov_b32_e32 v12, 0
	;; [unrolled: 1-line block ×4, first 2 shown]
.LBB8_9:                                ; =>This Inner Loop Header: Depth=1
	v_ashrrev_i32_e32 v11, 31, v10
	v_lshl_add_u64 v[14:15], v[10:11], 2, s[6:7]
	global_load_dword v1, v[14:15], off
	v_add_u32_e32 v8, -5, v6
	v_lshl_add_u64 v[16:17], v[8:9], 2, s[8:9]
	v_add_u32_e32 v8, -3, v6
	v_lshl_add_u64 v[20:21], v[8:9], 2, s[8:9]
	v_add_u32_e32 v8, -2, v6
	v_mov_b32_e32 v15, v9
	v_mov_b32_e32 v7, v9
	v_lshl_add_u64 v[22:23], v[8:9], 2, s[8:9]
	v_add_u32_e32 v8, -1, v6
	v_lshl_add_u64 v[18:19], v[6:7], 2, s[8:9]
	global_load_dwordx2 v[16:17], v[16:17], off
	v_add_u32_e32 v10, 32, v10
	global_load_dword v7, v[20:21], off
	v_lshl_add_u64 v[20:21], v[8:9], 2, s[8:9]
	global_load_dword v24, v[22:23], off
	global_load_dword v25, v[20:21], off
	v_cmp_ge_i32_e32 vcc, v10, v13
	v_add_u32_e32 v6, 0xc0, v6
	s_or_b64 s[18:19], vcc, s[18:19]
	s_waitcnt vmcnt(4)
	v_subrev_u32_e32 v1, s16, v1
	v_lshlrev_b32_e32 v14, 1, v1
	v_lshl_add_u64 v[14:15], v[14:15], 2, s[10:11]
	global_load_dwordx2 v[20:21], v[14:15], off
	global_load_dword v1, v[18:19], off
	s_waitcnt vmcnt(1)
	v_pk_fma_f32 v[4:5], v[16:17], v[20:21], v[4:5] op_sel_hi:[1,0,1]
	v_fmac_f32_e32 v12, v7, v20
	v_pk_fma_f32 v[4:5], v[24:25], v[20:21], v[4:5] op_sel:[0,1,0]
	s_waitcnt vmcnt(0)
	v_fmac_f32_e32 v12, v1, v21
	s_andn2_b64 exec, exec, s[18:19]
	s_cbranch_execnz .LBB8_9
; %bb.10:
	s_or_b64 exec, exec, s[18:19]
.LBB8_11:
	s_or_b64 exec, exec, s[4:5]
	s_cbranch_execz .LBB8_13
	s_branch .LBB8_18
.LBB8_12:
                                        ; implicit-def: $vgpr5
                                        ; implicit-def: $vgpr12
.LBB8_13:
	v_mov_b32_e32 v5, 0
	v_mov_b32_e32 v4, v5
	;; [unrolled: 1-line block ×3, first 2 shown]
	s_and_saveexec_b64 s[4:5], s[2:3]
	s_cbranch_execz .LBB8_17
; %bb.14:
	v_mad_u64_u32 v[6:7], s[2:3], v0, 6, 5
	v_mov_b32_e32 v9, 0
	s_mov_b64 s[2:3], 0
	v_mov_b32_e32 v12, 0
	v_mov_b32_e32 v4, v9
	;; [unrolled: 1-line block ×3, first 2 shown]
.LBB8_15:                               ; =>This Inner Loop Header: Depth=1
	v_ashrrev_i32_e32 v1, 31, v0
	v_lshl_add_u64 v[10:11], v[0:1], 2, s[6:7]
	global_load_dword v1, v[10:11], off
	v_add_u32_e32 v8, -5, v6
	v_add_u32_e32 v10, -3, v6
	v_mov_b32_e32 v11, v9
	v_lshl_add_u64 v[18:19], v[8:9], 2, s[8:9]
	v_add_u32_e32 v14, -1, v6
	v_mov_b32_e32 v17, v9
	v_mov_b32_e32 v15, v9
	;; [unrolled: 1-line block ×3, first 2 shown]
	v_lshl_add_u64 v[10:11], v[10:11], 2, s[8:9]
	v_add_u32_e32 v8, -2, v6
	global_load_dwordx2 v[18:19], v[18:19], off
	v_lshl_add_u64 v[14:15], v[14:15], 2, s[8:9]
	v_lshl_add_u64 v[20:21], v[6:7], 2, s[8:9]
	;; [unrolled: 1-line block ×3, first 2 shown]
	global_load_dword v25, v[10:11], off
	global_load_dword v7, v[14:15], off
	;; [unrolled: 1-line block ×3, first 2 shown]
	v_add_u32_e32 v0, 32, v0
	v_cmp_ge_i32_e32 vcc, v0, v13
	v_add_u32_e32 v6, 0xc0, v6
	s_or_b64 s[2:3], vcc, s[2:3]
	s_waitcnt vmcnt(4)
	v_subrev_u32_e32 v1, s16, v1
	v_lshlrev_b32_e32 v16, 1, v1
	v_lshl_add_u64 v[10:11], v[16:17], 2, s[10:11]
	global_load_dwordx2 v[14:15], v[10:11], off
	global_load_dword v1, v[20:21], off
	s_waitcnt vmcnt(5)
	v_mov_b32_e32 v24, v18
	v_mov_b32_e32 v26, v19
	s_waitcnt vmcnt(1)
	v_pk_fma_f32 v[4:5], v[24:25], v[14:15], v[4:5] op_sel_hi:[1,0,1]
	v_fmac_f32_e32 v12, v7, v14
	v_pk_fma_f32 v[4:5], v[26:27], v[14:15], v[4:5] op_sel:[0,1,0]
	s_waitcnt vmcnt(0)
	v_fmac_f32_e32 v12, v1, v15
	s_andn2_b64 exec, exec, s[2:3]
	s_cbranch_execnz .LBB8_15
; %bb.16:
	s_or_b64 exec, exec, s[2:3]
.LBB8_17:
	s_or_b64 exec, exec, s[4:5]
.LBB8_18:
	v_mov_b32_dpp v0, v4 row_shr:1 row_mask:0xf bank_mask:0xf
	v_mov_b32_dpp v1, v5 row_shr:1 row_mask:0xf bank_mask:0xf
	v_mov_b32_dpp v6, v12 row_shr:1 row_mask:0xf bank_mask:0xf
	v_pk_add_f32 v[0:1], v[4:5], v[0:1]
	v_add_f32_e32 v6, v12, v6
	v_cmp_eq_u32_e32 vcc, 31, v3
	v_mov_b32_dpp v4, v0 row_shr:2 row_mask:0xf bank_mask:0xf
	v_mov_b32_dpp v5, v1 row_shr:2 row_mask:0xf bank_mask:0xf
	v_mov_b32_dpp v7, v6 row_shr:2 row_mask:0xf bank_mask:0xf
	v_pk_add_f32 v[0:1], v[0:1], v[4:5]
	v_add_f32_e32 v6, v6, v7
	s_nop 0
	v_mov_b32_dpp v4, v0 row_shr:4 row_mask:0xf bank_mask:0xe
	v_mov_b32_dpp v5, v1 row_shr:4 row_mask:0xf bank_mask:0xe
	v_mov_b32_dpp v7, v6 row_shr:4 row_mask:0xf bank_mask:0xe
	v_pk_add_f32 v[0:1], v[0:1], v[4:5]
	v_add_f32_e32 v6, v6, v7
	s_nop 0
	;; [unrolled: 6-line block ×3, first 2 shown]
	v_mov_b32_dpp v4, v0 row_bcast:15 row_mask:0xa bank_mask:0xf
	v_mov_b32_dpp v5, v1 row_bcast:15 row_mask:0xa bank_mask:0xf
	;; [unrolled: 1-line block ×3, first 2 shown]
	s_and_b64 exec, exec, vcc
	s_cbranch_execz .LBB8_22
; %bb.19:
	s_load_dwordx2 s[0:1], s[0:1], 0x38
	v_pk_add_f32 v[4:5], v[0:1], v[4:5]
	v_add_f32_e32 v0, v6, v7
	v_cmp_eq_f32_e64 s[2:3], s12, 0
	v_lshl_add_u32 v6, v2, 1, v2
	s_and_b64 vcc, exec, s[2:3]
	v_mul_f32_e32 v2, s14, v0
	v_ashrrev_i32_e32 v7, 31, v6
	s_cbranch_vccz .LBB8_23
; %bb.20:
	s_waitcnt lgkmcnt(0)
	v_lshl_add_u64 v[8:9], v[6:7], 2, s[0:1]
	v_pk_mul_f32 v[0:1], s[14:15], v[4:5] op_sel_hi:[0,1]
	global_store_dwordx3 v[8:9], v[0:2], off
	s_cbranch_execnz .LBB8_22
.LBB8_21:
	s_waitcnt lgkmcnt(0)
	v_lshl_add_u64 v[10:11], v[6:7], 2, s[0:1]
	global_load_dwordx3 v[6:8], v[10:11], off
	v_pk_mul_f32 v[0:1], s[14:15], v[4:5] op_sel_hi:[0,1]
	s_waitcnt vmcnt(0)
	v_pk_fma_f32 v[0:1], s[12:13], v[6:7], v[0:1] op_sel_hi:[0,1,1]
	v_fmac_f32_e32 v2, s12, v8
	global_store_dwordx3 v[10:11], v[0:2], off
.LBB8_22:
	s_endpgm
.LBB8_23:
	s_branch .LBB8_21
	.section	.rodata,"a",@progbits
	.p2align	6, 0x0
	.amdhsa_kernel _ZN9rocsparseL19gebsrmvn_3xn_kernelILj128ELj2ELj32EfEEvi20rocsparse_direction_NS_24const_host_device_scalarIT2_EEPKiS6_PKS3_S8_S4_PS3_21rocsparse_index_base_b
		.amdhsa_group_segment_fixed_size 0
		.amdhsa_private_segment_fixed_size 0
		.amdhsa_kernarg_size 72
		.amdhsa_user_sgpr_count 2
		.amdhsa_user_sgpr_dispatch_ptr 0
		.amdhsa_user_sgpr_queue_ptr 0
		.amdhsa_user_sgpr_kernarg_segment_ptr 1
		.amdhsa_user_sgpr_dispatch_id 0
		.amdhsa_user_sgpr_kernarg_preload_length 0
		.amdhsa_user_sgpr_kernarg_preload_offset 0
		.amdhsa_user_sgpr_private_segment_size 0
		.amdhsa_uses_dynamic_stack 0
		.amdhsa_enable_private_segment 0
		.amdhsa_system_sgpr_workgroup_id_x 1
		.amdhsa_system_sgpr_workgroup_id_y 0
		.amdhsa_system_sgpr_workgroup_id_z 0
		.amdhsa_system_sgpr_workgroup_info 0
		.amdhsa_system_vgpr_workitem_id 0
		.amdhsa_next_free_vgpr 28
		.amdhsa_next_free_sgpr 20
		.amdhsa_accum_offset 28
		.amdhsa_reserve_vcc 1
		.amdhsa_float_round_mode_32 0
		.amdhsa_float_round_mode_16_64 0
		.amdhsa_float_denorm_mode_32 3
		.amdhsa_float_denorm_mode_16_64 3
		.amdhsa_dx10_clamp 1
		.amdhsa_ieee_mode 1
		.amdhsa_fp16_overflow 0
		.amdhsa_tg_split 0
		.amdhsa_exception_fp_ieee_invalid_op 0
		.amdhsa_exception_fp_denorm_src 0
		.amdhsa_exception_fp_ieee_div_zero 0
		.amdhsa_exception_fp_ieee_overflow 0
		.amdhsa_exception_fp_ieee_underflow 0
		.amdhsa_exception_fp_ieee_inexact 0
		.amdhsa_exception_int_div_zero 0
	.end_amdhsa_kernel
	.section	.text._ZN9rocsparseL19gebsrmvn_3xn_kernelILj128ELj2ELj32EfEEvi20rocsparse_direction_NS_24const_host_device_scalarIT2_EEPKiS6_PKS3_S8_S4_PS3_21rocsparse_index_base_b,"axG",@progbits,_ZN9rocsparseL19gebsrmvn_3xn_kernelILj128ELj2ELj32EfEEvi20rocsparse_direction_NS_24const_host_device_scalarIT2_EEPKiS6_PKS3_S8_S4_PS3_21rocsparse_index_base_b,comdat
.Lfunc_end8:
	.size	_ZN9rocsparseL19gebsrmvn_3xn_kernelILj128ELj2ELj32EfEEvi20rocsparse_direction_NS_24const_host_device_scalarIT2_EEPKiS6_PKS3_S8_S4_PS3_21rocsparse_index_base_b, .Lfunc_end8-_ZN9rocsparseL19gebsrmvn_3xn_kernelILj128ELj2ELj32EfEEvi20rocsparse_direction_NS_24const_host_device_scalarIT2_EEPKiS6_PKS3_S8_S4_PS3_21rocsparse_index_base_b
                                        ; -- End function
	.section	.AMDGPU.csdata,"",@progbits
; Kernel info:
; codeLenInByte = 1112
; NumSgprs: 26
; NumVgprs: 28
; NumAgprs: 0
; TotalNumVgprs: 28
; ScratchSize: 0
; MemoryBound: 0
; FloatMode: 240
; IeeeMode: 1
; LDSByteSize: 0 bytes/workgroup (compile time only)
; SGPRBlocks: 3
; VGPRBlocks: 3
; NumSGPRsForWavesPerEU: 26
; NumVGPRsForWavesPerEU: 28
; AccumOffset: 28
; Occupancy: 8
; WaveLimiterHint : 1
; COMPUTE_PGM_RSRC2:SCRATCH_EN: 0
; COMPUTE_PGM_RSRC2:USER_SGPR: 2
; COMPUTE_PGM_RSRC2:TRAP_HANDLER: 0
; COMPUTE_PGM_RSRC2:TGID_X_EN: 1
; COMPUTE_PGM_RSRC2:TGID_Y_EN: 0
; COMPUTE_PGM_RSRC2:TGID_Z_EN: 0
; COMPUTE_PGM_RSRC2:TIDIG_COMP_CNT: 0
; COMPUTE_PGM_RSRC3_GFX90A:ACCUM_OFFSET: 6
; COMPUTE_PGM_RSRC3_GFX90A:TG_SPLIT: 0
	.section	.text._ZN9rocsparseL19gebsrmvn_3xn_kernelILj128ELj2ELj64EfEEvi20rocsparse_direction_NS_24const_host_device_scalarIT2_EEPKiS6_PKS3_S8_S4_PS3_21rocsparse_index_base_b,"axG",@progbits,_ZN9rocsparseL19gebsrmvn_3xn_kernelILj128ELj2ELj64EfEEvi20rocsparse_direction_NS_24const_host_device_scalarIT2_EEPKiS6_PKS3_S8_S4_PS3_21rocsparse_index_base_b,comdat
	.globl	_ZN9rocsparseL19gebsrmvn_3xn_kernelILj128ELj2ELj64EfEEvi20rocsparse_direction_NS_24const_host_device_scalarIT2_EEPKiS6_PKS3_S8_S4_PS3_21rocsparse_index_base_b ; -- Begin function _ZN9rocsparseL19gebsrmvn_3xn_kernelILj128ELj2ELj64EfEEvi20rocsparse_direction_NS_24const_host_device_scalarIT2_EEPKiS6_PKS3_S8_S4_PS3_21rocsparse_index_base_b
	.p2align	8
	.type	_ZN9rocsparseL19gebsrmvn_3xn_kernelILj128ELj2ELj64EfEEvi20rocsparse_direction_NS_24const_host_device_scalarIT2_EEPKiS6_PKS3_S8_S4_PS3_21rocsparse_index_base_b,@function
_ZN9rocsparseL19gebsrmvn_3xn_kernelILj128ELj2ELj64EfEEvi20rocsparse_direction_NS_24const_host_device_scalarIT2_EEPKiS6_PKS3_S8_S4_PS3_21rocsparse_index_base_b: ; @_ZN9rocsparseL19gebsrmvn_3xn_kernelILj128ELj2ELj64EfEEvi20rocsparse_direction_NS_24const_host_device_scalarIT2_EEPKiS6_PKS3_S8_S4_PS3_21rocsparse_index_base_b
; %bb.0:
	s_load_dwordx2 s[16:17], s[0:1], 0x40
	s_load_dwordx2 s[14:15], s[0:1], 0x8
	;; [unrolled: 1-line block ×3, first 2 shown]
	s_waitcnt lgkmcnt(0)
	s_bitcmp1_b32 s17, 0
	s_cselect_b64 s[6:7], -1, 0
	s_xor_b64 s[4:5], s[6:7], -1
	s_and_b64 vcc, exec, s[6:7]
	s_cbranch_vccnz .LBB9_2
; %bb.1:
	s_load_dword s14, s[14:15], 0x0
.LBB9_2:
	s_andn2_b64 vcc, exec, s[4:5]
	s_cbranch_vccnz .LBB9_4
; %bb.3:
	s_load_dword s12, s[12:13], 0x0
.LBB9_4:
	s_waitcnt lgkmcnt(0)
	v_cmp_eq_f32_e64 s[4:5], s14, 0
	v_cmp_eq_f32_e64 s[6:7], s12, 1.0
	s_and_b64 s[4:5], s[4:5], s[6:7]
	s_and_b64 vcc, exec, s[4:5]
	s_cbranch_vccnz .LBB9_22
; %bb.5:
	s_load_dwordx2 s[18:19], s[0:1], 0x0
	v_lshrrev_b32_e32 v1, 6, v0
	v_lshl_or_b32 v2, s2, 1, v1
	s_waitcnt lgkmcnt(0)
	v_cmp_gt_i32_e32 vcc, s18, v2
	s_and_saveexec_b64 s[2:3], vcc
	s_cbranch_execz .LBB9_22
; %bb.6:
	s_load_dwordx8 s[4:11], s[0:1], 0x10
	v_ashrrev_i32_e32 v3, 31, v2
	s_cmp_lg_u32 s19, 0
	s_waitcnt lgkmcnt(0)
	v_lshl_add_u64 v[4:5], v[2:3], 2, s[4:5]
	global_load_dwordx2 v[4:5], v[4:5], off
	v_and_b32_e32 v3, 63, v0
	s_waitcnt vmcnt(0)
	v_subrev_u32_e32 v0, s16, v4
	v_subrev_u32_e32 v13, s16, v5
	v_add_u32_e32 v0, v0, v3
	v_cmp_lt_i32_e64 s[2:3], v0, v13
	s_cbranch_scc0 .LBB9_12
; %bb.7:
	v_mov_b32_e32 v5, 0
	v_mov_b32_e32 v4, v5
	;; [unrolled: 1-line block ×3, first 2 shown]
	s_and_saveexec_b64 s[4:5], s[2:3]
	s_cbranch_execz .LBB9_11
; %bb.8:
	v_mad_u64_u32 v[6:7], s[18:19], v0, 6, 5
	v_mov_b32_e32 v9, 0
	s_mov_b64 s[18:19], 0
	v_mov_b32_e32 v10, v0
	v_mov_b32_e32 v4, v9
	;; [unrolled: 1-line block ×4, first 2 shown]
.LBB9_9:                                ; =>This Inner Loop Header: Depth=1
	v_ashrrev_i32_e32 v11, 31, v10
	v_lshl_add_u64 v[14:15], v[10:11], 2, s[6:7]
	global_load_dword v1, v[14:15], off
	v_add_u32_e32 v8, -5, v6
	v_lshl_add_u64 v[16:17], v[8:9], 2, s[8:9]
	v_add_u32_e32 v8, -3, v6
	v_lshl_add_u64 v[20:21], v[8:9], 2, s[8:9]
	v_add_u32_e32 v8, -2, v6
	v_mov_b32_e32 v15, v9
	v_mov_b32_e32 v7, v9
	v_lshl_add_u64 v[22:23], v[8:9], 2, s[8:9]
	v_add_u32_e32 v8, -1, v6
	v_lshl_add_u64 v[18:19], v[6:7], 2, s[8:9]
	global_load_dwordx2 v[16:17], v[16:17], off
	v_add_u32_e32 v10, 64, v10
	global_load_dword v7, v[20:21], off
	v_lshl_add_u64 v[20:21], v[8:9], 2, s[8:9]
	global_load_dword v24, v[22:23], off
	global_load_dword v25, v[20:21], off
	v_cmp_ge_i32_e32 vcc, v10, v13
	v_add_u32_e32 v6, 0x180, v6
	s_or_b64 s[18:19], vcc, s[18:19]
	s_waitcnt vmcnt(4)
	v_subrev_u32_e32 v1, s16, v1
	v_lshlrev_b32_e32 v14, 1, v1
	v_lshl_add_u64 v[14:15], v[14:15], 2, s[10:11]
	global_load_dwordx2 v[20:21], v[14:15], off
	global_load_dword v1, v[18:19], off
	s_waitcnt vmcnt(1)
	v_pk_fma_f32 v[4:5], v[16:17], v[20:21], v[4:5] op_sel_hi:[1,0,1]
	v_fmac_f32_e32 v12, v7, v20
	v_pk_fma_f32 v[4:5], v[24:25], v[20:21], v[4:5] op_sel:[0,1,0]
	s_waitcnt vmcnt(0)
	v_fmac_f32_e32 v12, v1, v21
	s_andn2_b64 exec, exec, s[18:19]
	s_cbranch_execnz .LBB9_9
; %bb.10:
	s_or_b64 exec, exec, s[18:19]
.LBB9_11:
	s_or_b64 exec, exec, s[4:5]
	s_cbranch_execz .LBB9_13
	s_branch .LBB9_18
.LBB9_12:
                                        ; implicit-def: $vgpr5
                                        ; implicit-def: $vgpr12
.LBB9_13:
	v_mov_b32_e32 v5, 0
	v_mov_b32_e32 v4, v5
	;; [unrolled: 1-line block ×3, first 2 shown]
	s_and_saveexec_b64 s[4:5], s[2:3]
	s_cbranch_execz .LBB9_17
; %bb.14:
	v_mad_u64_u32 v[6:7], s[2:3], v0, 6, 5
	v_mov_b32_e32 v9, 0
	s_mov_b64 s[2:3], 0
	v_mov_b32_e32 v4, v9
	v_mov_b32_e32 v12, 0
	;; [unrolled: 1-line block ×3, first 2 shown]
.LBB9_15:                               ; =>This Inner Loop Header: Depth=1
	v_ashrrev_i32_e32 v1, 31, v0
	v_lshl_add_u64 v[10:11], v[0:1], 2, s[6:7]
	global_load_dword v1, v[10:11], off
	v_add_u32_e32 v8, -5, v6
	v_add_u32_e32 v10, -3, v6
	v_mov_b32_e32 v11, v9
	v_lshl_add_u64 v[18:19], v[8:9], 2, s[8:9]
	v_add_u32_e32 v14, -1, v6
	v_mov_b32_e32 v17, v9
	v_mov_b32_e32 v15, v9
	;; [unrolled: 1-line block ×3, first 2 shown]
	v_lshl_add_u64 v[10:11], v[10:11], 2, s[8:9]
	v_add_u32_e32 v8, -2, v6
	global_load_dwordx2 v[18:19], v[18:19], off
	v_lshl_add_u64 v[14:15], v[14:15], 2, s[8:9]
	v_lshl_add_u64 v[20:21], v[6:7], 2, s[8:9]
	v_lshl_add_u64 v[22:23], v[8:9], 2, s[8:9]
	global_load_dword v25, v[10:11], off
	global_load_dword v7, v[14:15], off
	;; [unrolled: 1-line block ×3, first 2 shown]
	v_add_u32_e32 v0, 64, v0
	v_cmp_ge_i32_e32 vcc, v0, v13
	v_add_u32_e32 v6, 0x180, v6
	s_or_b64 s[2:3], vcc, s[2:3]
	s_waitcnt vmcnt(4)
	v_subrev_u32_e32 v1, s16, v1
	v_lshlrev_b32_e32 v16, 1, v1
	v_lshl_add_u64 v[10:11], v[16:17], 2, s[10:11]
	global_load_dwordx2 v[14:15], v[10:11], off
	global_load_dword v1, v[20:21], off
	s_waitcnt vmcnt(5)
	v_mov_b32_e32 v24, v18
	v_mov_b32_e32 v26, v19
	s_waitcnt vmcnt(1)
	v_pk_fma_f32 v[4:5], v[24:25], v[14:15], v[4:5] op_sel_hi:[1,0,1]
	v_fmac_f32_e32 v12, v7, v14
	v_pk_fma_f32 v[4:5], v[26:27], v[14:15], v[4:5] op_sel:[0,1,0]
	s_waitcnt vmcnt(0)
	v_fmac_f32_e32 v12, v1, v15
	s_andn2_b64 exec, exec, s[2:3]
	s_cbranch_execnz .LBB9_15
; %bb.16:
	s_or_b64 exec, exec, s[2:3]
.LBB9_17:
	s_or_b64 exec, exec, s[4:5]
.LBB9_18:
	v_mov_b32_dpp v0, v4 row_shr:1 row_mask:0xf bank_mask:0xf
	v_mov_b32_dpp v1, v5 row_shr:1 row_mask:0xf bank_mask:0xf
	;; [unrolled: 1-line block ×3, first 2 shown]
	v_pk_add_f32 v[0:1], v[4:5], v[0:1]
	v_add_f32_e32 v6, v12, v6
	v_cmp_eq_u32_e32 vcc, 63, v3
	v_mov_b32_dpp v4, v0 row_shr:2 row_mask:0xf bank_mask:0xf
	v_mov_b32_dpp v5, v1 row_shr:2 row_mask:0xf bank_mask:0xf
	v_mov_b32_dpp v7, v6 row_shr:2 row_mask:0xf bank_mask:0xf
	v_pk_add_f32 v[0:1], v[0:1], v[4:5]
	v_add_f32_e32 v6, v6, v7
	s_nop 0
	v_mov_b32_dpp v4, v0 row_shr:4 row_mask:0xf bank_mask:0xe
	v_mov_b32_dpp v5, v1 row_shr:4 row_mask:0xf bank_mask:0xe
	v_mov_b32_dpp v7, v6 row_shr:4 row_mask:0xf bank_mask:0xe
	v_pk_add_f32 v[0:1], v[0:1], v[4:5]
	v_add_f32_e32 v6, v6, v7
	s_nop 0
	;; [unrolled: 6-line block ×3, first 2 shown]
	v_mov_b32_dpp v4, v0 row_bcast:15 row_mask:0xa bank_mask:0xf
	v_mov_b32_dpp v5, v1 row_bcast:15 row_mask:0xa bank_mask:0xf
	;; [unrolled: 1-line block ×3, first 2 shown]
	v_pk_add_f32 v[0:1], v[0:1], v[4:5]
	v_add_f32_e32 v6, v6, v7
	s_nop 0
	v_mov_b32_dpp v4, v0 row_bcast:31 row_mask:0xc bank_mask:0xf
	v_mov_b32_dpp v5, v1 row_bcast:31 row_mask:0xc bank_mask:0xf
	;; [unrolled: 1-line block ×3, first 2 shown]
	s_and_b64 exec, exec, vcc
	s_cbranch_execz .LBB9_22
; %bb.19:
	s_load_dwordx2 s[0:1], s[0:1], 0x38
	v_pk_add_f32 v[4:5], v[0:1], v[4:5]
	v_add_f32_e32 v0, v6, v7
	v_cmp_eq_f32_e64 s[2:3], s12, 0
	v_lshl_add_u32 v6, v2, 1, v2
	s_and_b64 vcc, exec, s[2:3]
	v_mul_f32_e32 v2, s14, v0
	v_ashrrev_i32_e32 v7, 31, v6
	s_cbranch_vccz .LBB9_23
; %bb.20:
	s_waitcnt lgkmcnt(0)
	v_lshl_add_u64 v[8:9], v[6:7], 2, s[0:1]
	v_pk_mul_f32 v[0:1], s[14:15], v[4:5] op_sel_hi:[0,1]
	global_store_dwordx3 v[8:9], v[0:2], off
	s_cbranch_execnz .LBB9_22
.LBB9_21:
	s_waitcnt lgkmcnt(0)
	v_lshl_add_u64 v[10:11], v[6:7], 2, s[0:1]
	global_load_dwordx3 v[6:8], v[10:11], off
	v_pk_mul_f32 v[0:1], s[14:15], v[4:5] op_sel_hi:[0,1]
	s_waitcnt vmcnt(0)
	v_pk_fma_f32 v[0:1], s[12:13], v[6:7], v[0:1] op_sel_hi:[0,1,1]
	v_fmac_f32_e32 v2, s12, v8
	global_store_dwordx3 v[10:11], v[0:2], off
.LBB9_22:
	s_endpgm
.LBB9_23:
	s_branch .LBB9_21
	.section	.rodata,"a",@progbits
	.p2align	6, 0x0
	.amdhsa_kernel _ZN9rocsparseL19gebsrmvn_3xn_kernelILj128ELj2ELj64EfEEvi20rocsparse_direction_NS_24const_host_device_scalarIT2_EEPKiS6_PKS3_S8_S4_PS3_21rocsparse_index_base_b
		.amdhsa_group_segment_fixed_size 0
		.amdhsa_private_segment_fixed_size 0
		.amdhsa_kernarg_size 72
		.amdhsa_user_sgpr_count 2
		.amdhsa_user_sgpr_dispatch_ptr 0
		.amdhsa_user_sgpr_queue_ptr 0
		.amdhsa_user_sgpr_kernarg_segment_ptr 1
		.amdhsa_user_sgpr_dispatch_id 0
		.amdhsa_user_sgpr_kernarg_preload_length 0
		.amdhsa_user_sgpr_kernarg_preload_offset 0
		.amdhsa_user_sgpr_private_segment_size 0
		.amdhsa_uses_dynamic_stack 0
		.amdhsa_enable_private_segment 0
		.amdhsa_system_sgpr_workgroup_id_x 1
		.amdhsa_system_sgpr_workgroup_id_y 0
		.amdhsa_system_sgpr_workgroup_id_z 0
		.amdhsa_system_sgpr_workgroup_info 0
		.amdhsa_system_vgpr_workitem_id 0
		.amdhsa_next_free_vgpr 28
		.amdhsa_next_free_sgpr 20
		.amdhsa_accum_offset 28
		.amdhsa_reserve_vcc 1
		.amdhsa_float_round_mode_32 0
		.amdhsa_float_round_mode_16_64 0
		.amdhsa_float_denorm_mode_32 3
		.amdhsa_float_denorm_mode_16_64 3
		.amdhsa_dx10_clamp 1
		.amdhsa_ieee_mode 1
		.amdhsa_fp16_overflow 0
		.amdhsa_tg_split 0
		.amdhsa_exception_fp_ieee_invalid_op 0
		.amdhsa_exception_fp_denorm_src 0
		.amdhsa_exception_fp_ieee_div_zero 0
		.amdhsa_exception_fp_ieee_overflow 0
		.amdhsa_exception_fp_ieee_underflow 0
		.amdhsa_exception_fp_ieee_inexact 0
		.amdhsa_exception_int_div_zero 0
	.end_amdhsa_kernel
	.section	.text._ZN9rocsparseL19gebsrmvn_3xn_kernelILj128ELj2ELj64EfEEvi20rocsparse_direction_NS_24const_host_device_scalarIT2_EEPKiS6_PKS3_S8_S4_PS3_21rocsparse_index_base_b,"axG",@progbits,_ZN9rocsparseL19gebsrmvn_3xn_kernelILj128ELj2ELj64EfEEvi20rocsparse_direction_NS_24const_host_device_scalarIT2_EEPKiS6_PKS3_S8_S4_PS3_21rocsparse_index_base_b,comdat
.Lfunc_end9:
	.size	_ZN9rocsparseL19gebsrmvn_3xn_kernelILj128ELj2ELj64EfEEvi20rocsparse_direction_NS_24const_host_device_scalarIT2_EEPKiS6_PKS3_S8_S4_PS3_21rocsparse_index_base_b, .Lfunc_end9-_ZN9rocsparseL19gebsrmvn_3xn_kernelILj128ELj2ELj64EfEEvi20rocsparse_direction_NS_24const_host_device_scalarIT2_EEPKiS6_PKS3_S8_S4_PS3_21rocsparse_index_base_b
                                        ; -- End function
	.section	.AMDGPU.csdata,"",@progbits
; Kernel info:
; codeLenInByte = 1152
; NumSgprs: 26
; NumVgprs: 28
; NumAgprs: 0
; TotalNumVgprs: 28
; ScratchSize: 0
; MemoryBound: 0
; FloatMode: 240
; IeeeMode: 1
; LDSByteSize: 0 bytes/workgroup (compile time only)
; SGPRBlocks: 3
; VGPRBlocks: 3
; NumSGPRsForWavesPerEU: 26
; NumVGPRsForWavesPerEU: 28
; AccumOffset: 28
; Occupancy: 8
; WaveLimiterHint : 1
; COMPUTE_PGM_RSRC2:SCRATCH_EN: 0
; COMPUTE_PGM_RSRC2:USER_SGPR: 2
; COMPUTE_PGM_RSRC2:TRAP_HANDLER: 0
; COMPUTE_PGM_RSRC2:TGID_X_EN: 1
; COMPUTE_PGM_RSRC2:TGID_Y_EN: 0
; COMPUTE_PGM_RSRC2:TGID_Z_EN: 0
; COMPUTE_PGM_RSRC2:TIDIG_COMP_CNT: 0
; COMPUTE_PGM_RSRC3_GFX90A:ACCUM_OFFSET: 6
; COMPUTE_PGM_RSRC3_GFX90A:TG_SPLIT: 0
	.section	.text._ZN9rocsparseL19gebsrmvn_3xn_kernelILj128ELj4ELj4EfEEvi20rocsparse_direction_NS_24const_host_device_scalarIT2_EEPKiS6_PKS3_S8_S4_PS3_21rocsparse_index_base_b,"axG",@progbits,_ZN9rocsparseL19gebsrmvn_3xn_kernelILj128ELj4ELj4EfEEvi20rocsparse_direction_NS_24const_host_device_scalarIT2_EEPKiS6_PKS3_S8_S4_PS3_21rocsparse_index_base_b,comdat
	.globl	_ZN9rocsparseL19gebsrmvn_3xn_kernelILj128ELj4ELj4EfEEvi20rocsparse_direction_NS_24const_host_device_scalarIT2_EEPKiS6_PKS3_S8_S4_PS3_21rocsparse_index_base_b ; -- Begin function _ZN9rocsparseL19gebsrmvn_3xn_kernelILj128ELj4ELj4EfEEvi20rocsparse_direction_NS_24const_host_device_scalarIT2_EEPKiS6_PKS3_S8_S4_PS3_21rocsparse_index_base_b
	.p2align	8
	.type	_ZN9rocsparseL19gebsrmvn_3xn_kernelILj128ELj4ELj4EfEEvi20rocsparse_direction_NS_24const_host_device_scalarIT2_EEPKiS6_PKS3_S8_S4_PS3_21rocsparse_index_base_b,@function
_ZN9rocsparseL19gebsrmvn_3xn_kernelILj128ELj4ELj4EfEEvi20rocsparse_direction_NS_24const_host_device_scalarIT2_EEPKiS6_PKS3_S8_S4_PS3_21rocsparse_index_base_b: ; @_ZN9rocsparseL19gebsrmvn_3xn_kernelILj128ELj4ELj4EfEEvi20rocsparse_direction_NS_24const_host_device_scalarIT2_EEPKiS6_PKS3_S8_S4_PS3_21rocsparse_index_base_b
; %bb.0:
	s_load_dwordx2 s[16:17], s[0:1], 0x40
	s_load_dwordx2 s[14:15], s[0:1], 0x8
	;; [unrolled: 1-line block ×3, first 2 shown]
	s_waitcnt lgkmcnt(0)
	s_bitcmp1_b32 s17, 0
	s_cselect_b64 s[6:7], -1, 0
	s_xor_b64 s[4:5], s[6:7], -1
	s_and_b64 vcc, exec, s[6:7]
	s_cbranch_vccnz .LBB10_2
; %bb.1:
	s_load_dword s14, s[14:15], 0x0
.LBB10_2:
	s_andn2_b64 vcc, exec, s[4:5]
	s_cbranch_vccnz .LBB10_4
; %bb.3:
	s_load_dword s12, s[12:13], 0x0
.LBB10_4:
	s_waitcnt lgkmcnt(0)
	v_cmp_eq_f32_e64 s[4:5], s14, 0
	v_cmp_eq_f32_e64 s[6:7], s12, 1.0
	s_and_b64 s[4:5], s[4:5], s[6:7]
	s_and_b64 vcc, exec, s[4:5]
	s_cbranch_vccnz .LBB10_22
; %bb.5:
	s_load_dwordx2 s[18:19], s[0:1], 0x0
	v_lshrrev_b32_e32 v1, 2, v0
	v_lshl_or_b32 v2, s2, 5, v1
	s_waitcnt lgkmcnt(0)
	v_cmp_gt_i32_e32 vcc, s18, v2
	s_and_saveexec_b64 s[2:3], vcc
	s_cbranch_execz .LBB10_22
; %bb.6:
	s_load_dwordx8 s[4:11], s[0:1], 0x10
	v_ashrrev_i32_e32 v3, 31, v2
	s_cmp_lg_u32 s19, 0
	s_waitcnt lgkmcnt(0)
	v_lshl_add_u64 v[4:5], v[2:3], 2, s[4:5]
	global_load_dwordx2 v[4:5], v[4:5], off
	v_and_b32_e32 v3, 3, v0
	s_waitcnt vmcnt(0)
	v_subrev_u32_e32 v0, s16, v4
	v_subrev_u32_e32 v12, s16, v5
	v_add_u32_e32 v0, v0, v3
	v_cmp_lt_i32_e64 s[2:3], v0, v12
	s_cbranch_scc0 .LBB10_12
; %bb.7:
	v_mov_b32_e32 v5, 0
	v_mov_b32_e32 v4, v5
	;; [unrolled: 1-line block ×3, first 2 shown]
	s_and_saveexec_b64 s[4:5], s[2:3]
	s_cbranch_execz .LBB10_11
; %bb.8:
	v_mad_u64_u32 v[6:7], s[18:19], v0, 12, 11
	v_mov_b32_e32 v9, 0
	s_mov_b64 s[18:19], 0
	v_mov_b32_e32 v10, v0
	v_mov_b32_e32 v13, 0
	;; [unrolled: 1-line block ×4, first 2 shown]
.LBB10_9:                               ; =>This Inner Loop Header: Depth=1
	v_ashrrev_i32_e32 v11, 31, v10
	v_lshl_add_u64 v[14:15], v[10:11], 2, s[6:7]
	global_load_dword v1, v[14:15], off
	v_add_u32_e32 v8, -11, v6
	v_lshl_add_u64 v[14:15], v[8:9], 2, s[8:9]
	v_add_u32_e32 v8, -7, v6
	v_lshl_add_u64 v[20:21], v[8:9], 2, s[8:9]
	v_add_u32_e32 v8, -6, v6
	v_mov_b32_e32 v7, v9
	v_lshl_add_u64 v[24:25], v[8:9], 2, s[8:9]
	v_add_u32_e32 v8, -5, v6
	v_lshl_add_u64 v[22:23], v[6:7], 2, s[8:9]
	global_load_dwordx4 v[14:17], v[14:15], off
	v_mov_b32_e32 v19, v9
	global_load_dword v27, v[20:21], off
	global_load_dword v7, v[24:25], off
	v_lshl_add_u64 v[20:21], v[8:9], 2, s[8:9]
	v_add_u32_e32 v8, -4, v6
	v_lshl_add_u64 v[24:25], v[8:9], 2, s[8:9]
	v_add_u32_e32 v8, -3, v6
	global_load_dword v28, v[20:21], off
	global_load_dword v29, v[24:25], off
	v_lshl_add_u64 v[20:21], v[8:9], 2, s[8:9]
	v_add_u32_e32 v8, -2, v6
	v_lshl_add_u64 v[24:25], v[8:9], 2, s[8:9]
	v_add_u32_e32 v8, -1, v6
	global_load_dword v11, v[20:21], off
	v_lshl_add_u64 v[30:31], v[8:9], 2, s[8:9]
	v_add_u32_e32 v10, 4, v10
	v_cmp_ge_i32_e32 vcc, v10, v12
	s_or_b64 s[18:19], vcc, s[18:19]
	v_add_u32_e32 v6, 48, v6
	s_waitcnt vmcnt(6)
	v_subrev_u32_e32 v1, s16, v1
	v_lshlrev_b32_e32 v18, 2, v1
	v_lshl_add_u64 v[32:33], v[18:19], 2, s[10:11]
	global_load_dwordx4 v[18:21], v[32:33], off
	global_load_dword v34, v[24:25], off
	global_load_dword v35, v[30:31], off
	;; [unrolled: 1-line block ×3, first 2 shown]
	s_waitcnt vmcnt(9)
	v_mov_b32_e32 v26, v17
	s_waitcnt vmcnt(3)
	v_fmac_f32_e32 v13, v16, v18
	v_pk_fma_f32 v[4:5], v[14:15], v[18:19], v[4:5] op_sel_hi:[1,0,1]
	v_fmac_f32_e32 v13, v7, v19
	v_pk_fma_f32 v[4:5], v[26:27], v[18:19], v[4:5] op_sel:[0,1,0]
	v_mov_b32_e32 v8, v21
	v_pk_fma_f32 v[4:5], v[28:29], v[20:21], v[4:5] op_sel_hi:[1,0,1]
	v_fmac_f32_e32 v13, v11, v20
	s_waitcnt vmcnt(1)
	v_pk_fma_f32 v[4:5], v[34:35], v[8:9], v[4:5] op_sel_hi:[1,0,1]
	s_waitcnt vmcnt(0)
	v_fmac_f32_e32 v13, v1, v21
	s_andn2_b64 exec, exec, s[18:19]
	s_cbranch_execnz .LBB10_9
; %bb.10:
	s_or_b64 exec, exec, s[18:19]
.LBB10_11:
	s_or_b64 exec, exec, s[4:5]
	s_cbranch_execz .LBB10_13
	s_branch .LBB10_18
.LBB10_12:
                                        ; implicit-def: $vgpr5
                                        ; implicit-def: $vgpr13
.LBB10_13:
	v_mov_b32_e32 v5, 0
	v_mov_b32_e32 v4, v5
	;; [unrolled: 1-line block ×3, first 2 shown]
	s_and_saveexec_b64 s[4:5], s[2:3]
	s_cbranch_execz .LBB10_17
; %bb.14:
	v_mad_u64_u32 v[6:7], s[2:3], v0, 12, 11
	v_mov_b32_e32 v9, 0
	s_mov_b64 s[2:3], 0
	v_mov_b32_e32 v13, 0
	v_mov_b32_e32 v4, v9
	;; [unrolled: 1-line block ×3, first 2 shown]
.LBB10_15:                              ; =>This Inner Loop Header: Depth=1
	v_ashrrev_i32_e32 v1, 31, v0
	v_lshl_add_u64 v[10:11], v[0:1], 2, s[6:7]
	global_load_dword v1, v[10:11], off
	v_add_u32_e32 v8, -11, v6
	v_add_u32_e32 v10, -7, v6
	;; [unrolled: 1-line block ×3, first 2 shown]
	v_mov_b32_e32 v11, v9
	v_mov_b32_e32 v15, v9
	v_lshl_add_u64 v[16:17], v[8:9], 2, s[8:9]
	v_add_u32_e32 v8, -6, v6
	v_mov_b32_e32 v7, v9
	v_lshl_add_u64 v[10:11], v[10:11], 2, s[8:9]
	v_lshl_add_u64 v[20:21], v[14:15], 2, s[8:9]
	global_load_dwordx4 v[14:17], v[16:17], off
	v_lshl_add_u64 v[24:25], v[8:9], 2, s[8:9]
	v_add_u32_e32 v8, -2, v6
	v_lshl_add_u64 v[22:23], v[6:7], 2, s[8:9]
	global_load_dword v27, v[10:11], off
	global_load_dword v7, v[20:21], off
	v_lshl_add_u64 v[10:11], v[8:9], 2, s[8:9]
	v_add_u32_e32 v8, -5, v6
	v_mov_b32_e32 v19, v9
	global_load_dword v25, v[24:25], off
	v_lshl_add_u64 v[20:21], v[8:9], 2, s[8:9]
	global_load_dword v29, v[20:21], off
	v_add_u32_e32 v8, -1, v6
	global_load_dword v36, v[10:11], off
	v_lshl_add_u64 v[10:11], v[8:9], 2, s[8:9]
	v_add_u32_e32 v8, -4, v6
	v_lshl_add_u64 v[30:31], v[8:9], 2, s[8:9]
	v_add_u32_e32 v0, 4, v0
	v_cmp_ge_i32_e32 vcc, v0, v12
	s_or_b64 s[2:3], vcc, s[2:3]
	v_add_u32_e32 v6, 48, v6
	s_waitcnt vmcnt(6)
	v_subrev_u32_e32 v1, s16, v1
	v_lshlrev_b32_e32 v18, 2, v1
	v_lshl_add_u64 v[32:33], v[18:19], 2, s[10:11]
	global_load_dwordx4 v[18:21], v[32:33], off
	global_load_dword v1, v[10:11], off
	global_load_dword v35, v[30:31], off
	;; [unrolled: 1-line block ×3, first 2 shown]
	s_waitcnt vmcnt(9)
	v_mov_b32_e32 v26, v14
	v_mov_b32_e32 v24, v15
	;; [unrolled: 1-line block ×4, first 2 shown]
	s_waitcnt vmcnt(3)
	v_fmac_f32_e32 v13, v7, v18
	v_pk_fma_f32 v[4:5], v[26:27], v[18:19], v[4:5] op_sel_hi:[1,0,1]
	v_fmac_f32_e32 v13, v36, v19
	v_pk_fma_f32 v[4:5], v[24:25], v[18:19], v[4:5] op_sel:[0,1,0]
	v_mov_b32_e32 v8, v21
	v_pk_fma_f32 v[4:5], v[28:29], v[20:21], v[4:5] op_sel_hi:[1,0,1]
	s_waitcnt vmcnt(2)
	v_fmac_f32_e32 v13, v1, v20
	s_waitcnt vmcnt(1)
	v_pk_fma_f32 v[4:5], v[34:35], v[8:9], v[4:5] op_sel_hi:[1,0,1]
	s_waitcnt vmcnt(0)
	v_fmac_f32_e32 v13, v37, v21
	s_andn2_b64 exec, exec, s[2:3]
	s_cbranch_execnz .LBB10_15
; %bb.16:
	s_or_b64 exec, exec, s[2:3]
.LBB10_17:
	s_or_b64 exec, exec, s[4:5]
.LBB10_18:
	v_mov_b32_dpp v0, v4 row_shr:1 row_mask:0xf bank_mask:0xf
	v_mov_b32_dpp v1, v5 row_shr:1 row_mask:0xf bank_mask:0xf
	;; [unrolled: 1-line block ×3, first 2 shown]
	v_pk_add_f32 v[0:1], v[4:5], v[0:1]
	v_add_f32_e32 v6, v13, v6
	v_cmp_eq_u32_e32 vcc, 3, v3
	v_mov_b32_dpp v4, v0 row_shr:2 row_mask:0xf bank_mask:0xf
	v_mov_b32_dpp v5, v1 row_shr:2 row_mask:0xf bank_mask:0xf
	;; [unrolled: 1-line block ×3, first 2 shown]
	s_and_b64 exec, exec, vcc
	s_cbranch_execz .LBB10_22
; %bb.19:
	s_load_dwordx2 s[0:1], s[0:1], 0x38
	v_pk_add_f32 v[4:5], v[0:1], v[4:5]
	v_add_f32_e32 v0, v6, v7
	v_cmp_eq_f32_e64 s[2:3], s12, 0
	v_lshl_add_u32 v6, v2, 1, v2
	s_and_b64 vcc, exec, s[2:3]
	v_mul_f32_e32 v2, s14, v0
	v_ashrrev_i32_e32 v7, 31, v6
	s_cbranch_vccz .LBB10_23
; %bb.20:
	s_waitcnt lgkmcnt(0)
	v_lshl_add_u64 v[8:9], v[6:7], 2, s[0:1]
	v_pk_mul_f32 v[0:1], s[14:15], v[4:5] op_sel_hi:[0,1]
	global_store_dwordx3 v[8:9], v[0:2], off
	s_cbranch_execnz .LBB10_22
.LBB10_21:
	s_waitcnt lgkmcnt(0)
	v_lshl_add_u64 v[10:11], v[6:7], 2, s[0:1]
	global_load_dwordx3 v[6:8], v[10:11], off
	v_pk_mul_f32 v[0:1], s[14:15], v[4:5] op_sel_hi:[0,1]
	s_waitcnt vmcnt(0)
	v_pk_fma_f32 v[0:1], s[12:13], v[6:7], v[0:1] op_sel_hi:[0,1,1]
	v_fmac_f32_e32 v2, s12, v8
	global_store_dwordx3 v[10:11], v[0:2], off
.LBB10_22:
	s_endpgm
.LBB10_23:
	s_branch .LBB10_21
	.section	.rodata,"a",@progbits
	.p2align	6, 0x0
	.amdhsa_kernel _ZN9rocsparseL19gebsrmvn_3xn_kernelILj128ELj4ELj4EfEEvi20rocsparse_direction_NS_24const_host_device_scalarIT2_EEPKiS6_PKS3_S8_S4_PS3_21rocsparse_index_base_b
		.amdhsa_group_segment_fixed_size 0
		.amdhsa_private_segment_fixed_size 0
		.amdhsa_kernarg_size 72
		.amdhsa_user_sgpr_count 2
		.amdhsa_user_sgpr_dispatch_ptr 0
		.amdhsa_user_sgpr_queue_ptr 0
		.amdhsa_user_sgpr_kernarg_segment_ptr 1
		.amdhsa_user_sgpr_dispatch_id 0
		.amdhsa_user_sgpr_kernarg_preload_length 0
		.amdhsa_user_sgpr_kernarg_preload_offset 0
		.amdhsa_user_sgpr_private_segment_size 0
		.amdhsa_uses_dynamic_stack 0
		.amdhsa_enable_private_segment 0
		.amdhsa_system_sgpr_workgroup_id_x 1
		.amdhsa_system_sgpr_workgroup_id_y 0
		.amdhsa_system_sgpr_workgroup_id_z 0
		.amdhsa_system_sgpr_workgroup_info 0
		.amdhsa_system_vgpr_workitem_id 0
		.amdhsa_next_free_vgpr 38
		.amdhsa_next_free_sgpr 20
		.amdhsa_accum_offset 40
		.amdhsa_reserve_vcc 1
		.amdhsa_float_round_mode_32 0
		.amdhsa_float_round_mode_16_64 0
		.amdhsa_float_denorm_mode_32 3
		.amdhsa_float_denorm_mode_16_64 3
		.amdhsa_dx10_clamp 1
		.amdhsa_ieee_mode 1
		.amdhsa_fp16_overflow 0
		.amdhsa_tg_split 0
		.amdhsa_exception_fp_ieee_invalid_op 0
		.amdhsa_exception_fp_denorm_src 0
		.amdhsa_exception_fp_ieee_div_zero 0
		.amdhsa_exception_fp_ieee_overflow 0
		.amdhsa_exception_fp_ieee_underflow 0
		.amdhsa_exception_fp_ieee_inexact 0
		.amdhsa_exception_int_div_zero 0
	.end_amdhsa_kernel
	.section	.text._ZN9rocsparseL19gebsrmvn_3xn_kernelILj128ELj4ELj4EfEEvi20rocsparse_direction_NS_24const_host_device_scalarIT2_EEPKiS6_PKS3_S8_S4_PS3_21rocsparse_index_base_b,"axG",@progbits,_ZN9rocsparseL19gebsrmvn_3xn_kernelILj128ELj4ELj4EfEEvi20rocsparse_direction_NS_24const_host_device_scalarIT2_EEPKiS6_PKS3_S8_S4_PS3_21rocsparse_index_base_b,comdat
.Lfunc_end10:
	.size	_ZN9rocsparseL19gebsrmvn_3xn_kernelILj128ELj4ELj4EfEEvi20rocsparse_direction_NS_24const_host_device_scalarIT2_EEPKiS6_PKS3_S8_S4_PS3_21rocsparse_index_base_b, .Lfunc_end10-_ZN9rocsparseL19gebsrmvn_3xn_kernelILj128ELj4ELj4EfEEvi20rocsparse_direction_NS_24const_host_device_scalarIT2_EEPKiS6_PKS3_S8_S4_PS3_21rocsparse_index_base_b
                                        ; -- End function
	.section	.AMDGPU.csdata,"",@progbits
; Kernel info:
; codeLenInByte = 1228
; NumSgprs: 26
; NumVgprs: 38
; NumAgprs: 0
; TotalNumVgprs: 38
; ScratchSize: 0
; MemoryBound: 0
; FloatMode: 240
; IeeeMode: 1
; LDSByteSize: 0 bytes/workgroup (compile time only)
; SGPRBlocks: 3
; VGPRBlocks: 4
; NumSGPRsForWavesPerEU: 26
; NumVGPRsForWavesPerEU: 38
; AccumOffset: 40
; Occupancy: 8
; WaveLimiterHint : 1
; COMPUTE_PGM_RSRC2:SCRATCH_EN: 0
; COMPUTE_PGM_RSRC2:USER_SGPR: 2
; COMPUTE_PGM_RSRC2:TRAP_HANDLER: 0
; COMPUTE_PGM_RSRC2:TGID_X_EN: 1
; COMPUTE_PGM_RSRC2:TGID_Y_EN: 0
; COMPUTE_PGM_RSRC2:TGID_Z_EN: 0
; COMPUTE_PGM_RSRC2:TIDIG_COMP_CNT: 0
; COMPUTE_PGM_RSRC3_GFX90A:ACCUM_OFFSET: 9
; COMPUTE_PGM_RSRC3_GFX90A:TG_SPLIT: 0
	.section	.text._ZN9rocsparseL19gebsrmvn_3xn_kernelILj128ELj4ELj8EfEEvi20rocsparse_direction_NS_24const_host_device_scalarIT2_EEPKiS6_PKS3_S8_S4_PS3_21rocsparse_index_base_b,"axG",@progbits,_ZN9rocsparseL19gebsrmvn_3xn_kernelILj128ELj4ELj8EfEEvi20rocsparse_direction_NS_24const_host_device_scalarIT2_EEPKiS6_PKS3_S8_S4_PS3_21rocsparse_index_base_b,comdat
	.globl	_ZN9rocsparseL19gebsrmvn_3xn_kernelILj128ELj4ELj8EfEEvi20rocsparse_direction_NS_24const_host_device_scalarIT2_EEPKiS6_PKS3_S8_S4_PS3_21rocsparse_index_base_b ; -- Begin function _ZN9rocsparseL19gebsrmvn_3xn_kernelILj128ELj4ELj8EfEEvi20rocsparse_direction_NS_24const_host_device_scalarIT2_EEPKiS6_PKS3_S8_S4_PS3_21rocsparse_index_base_b
	.p2align	8
	.type	_ZN9rocsparseL19gebsrmvn_3xn_kernelILj128ELj4ELj8EfEEvi20rocsparse_direction_NS_24const_host_device_scalarIT2_EEPKiS6_PKS3_S8_S4_PS3_21rocsparse_index_base_b,@function
_ZN9rocsparseL19gebsrmvn_3xn_kernelILj128ELj4ELj8EfEEvi20rocsparse_direction_NS_24const_host_device_scalarIT2_EEPKiS6_PKS3_S8_S4_PS3_21rocsparse_index_base_b: ; @_ZN9rocsparseL19gebsrmvn_3xn_kernelILj128ELj4ELj8EfEEvi20rocsparse_direction_NS_24const_host_device_scalarIT2_EEPKiS6_PKS3_S8_S4_PS3_21rocsparse_index_base_b
; %bb.0:
	s_load_dwordx2 s[16:17], s[0:1], 0x40
	s_load_dwordx2 s[14:15], s[0:1], 0x8
	;; [unrolled: 1-line block ×3, first 2 shown]
	s_waitcnt lgkmcnt(0)
	s_bitcmp1_b32 s17, 0
	s_cselect_b64 s[6:7], -1, 0
	s_xor_b64 s[4:5], s[6:7], -1
	s_and_b64 vcc, exec, s[6:7]
	s_cbranch_vccnz .LBB11_2
; %bb.1:
	s_load_dword s14, s[14:15], 0x0
.LBB11_2:
	s_andn2_b64 vcc, exec, s[4:5]
	s_cbranch_vccnz .LBB11_4
; %bb.3:
	s_load_dword s12, s[12:13], 0x0
.LBB11_4:
	s_waitcnt lgkmcnt(0)
	v_cmp_eq_f32_e64 s[4:5], s14, 0
	v_cmp_eq_f32_e64 s[6:7], s12, 1.0
	s_and_b64 s[4:5], s[4:5], s[6:7]
	s_and_b64 vcc, exec, s[4:5]
	s_cbranch_vccnz .LBB11_22
; %bb.5:
	s_load_dwordx2 s[18:19], s[0:1], 0x0
	v_lshrrev_b32_e32 v1, 3, v0
	v_lshl_or_b32 v2, s2, 4, v1
	s_waitcnt lgkmcnt(0)
	v_cmp_gt_i32_e32 vcc, s18, v2
	s_and_saveexec_b64 s[2:3], vcc
	s_cbranch_execz .LBB11_22
; %bb.6:
	s_load_dwordx8 s[4:11], s[0:1], 0x10
	v_ashrrev_i32_e32 v3, 31, v2
	s_cmp_lg_u32 s19, 0
	s_waitcnt lgkmcnt(0)
	v_lshl_add_u64 v[4:5], v[2:3], 2, s[4:5]
	global_load_dwordx2 v[4:5], v[4:5], off
	v_and_b32_e32 v3, 7, v0
	s_waitcnt vmcnt(0)
	v_subrev_u32_e32 v0, s16, v4
	v_subrev_u32_e32 v13, s16, v5
	v_add_u32_e32 v0, v0, v3
	v_cmp_lt_i32_e64 s[2:3], v0, v13
	s_cbranch_scc0 .LBB11_12
; %bb.7:
	v_mov_b32_e32 v5, 0
	v_mov_b32_e32 v4, v5
	;; [unrolled: 1-line block ×3, first 2 shown]
	s_and_saveexec_b64 s[4:5], s[2:3]
	s_cbranch_execz .LBB11_11
; %bb.8:
	v_mad_u64_u32 v[6:7], s[18:19], v0, 12, 11
	v_mov_b32_e32 v9, 0
	s_mov_b64 s[18:19], 0
	v_mov_b32_e32 v10, v0
	v_mov_b32_e32 v12, 0
	;; [unrolled: 1-line block ×4, first 2 shown]
.LBB11_9:                               ; =>This Inner Loop Header: Depth=1
	v_ashrrev_i32_e32 v11, 31, v10
	v_lshl_add_u64 v[14:15], v[10:11], 2, s[6:7]
	global_load_dword v1, v[14:15], off
	v_add_u32_e32 v8, -11, v6
	v_lshl_add_u64 v[14:15], v[8:9], 2, s[8:9]
	v_add_u32_e32 v8, -7, v6
	v_lshl_add_u64 v[20:21], v[8:9], 2, s[8:9]
	v_add_u32_e32 v8, -6, v6
	v_mov_b32_e32 v7, v9
	v_lshl_add_u64 v[24:25], v[8:9], 2, s[8:9]
	v_add_u32_e32 v8, -5, v6
	v_lshl_add_u64 v[22:23], v[6:7], 2, s[8:9]
	global_load_dwordx4 v[14:17], v[14:15], off
	v_mov_b32_e32 v19, v9
	global_load_dword v27, v[20:21], off
	global_load_dword v7, v[24:25], off
	v_lshl_add_u64 v[20:21], v[8:9], 2, s[8:9]
	v_add_u32_e32 v8, -4, v6
	v_lshl_add_u64 v[24:25], v[8:9], 2, s[8:9]
	v_add_u32_e32 v8, -3, v6
	global_load_dword v28, v[20:21], off
	global_load_dword v29, v[24:25], off
	v_lshl_add_u64 v[20:21], v[8:9], 2, s[8:9]
	v_add_u32_e32 v8, -2, v6
	v_lshl_add_u64 v[24:25], v[8:9], 2, s[8:9]
	v_add_u32_e32 v8, -1, v6
	global_load_dword v11, v[20:21], off
	v_lshl_add_u64 v[30:31], v[8:9], 2, s[8:9]
	v_add_u32_e32 v10, 8, v10
	v_cmp_ge_i32_e32 vcc, v10, v13
	s_or_b64 s[18:19], vcc, s[18:19]
	v_add_u32_e32 v6, 0x60, v6
	s_waitcnt vmcnt(6)
	v_subrev_u32_e32 v1, s16, v1
	v_lshlrev_b32_e32 v18, 2, v1
	v_lshl_add_u64 v[32:33], v[18:19], 2, s[10:11]
	global_load_dwordx4 v[18:21], v[32:33], off
	global_load_dword v34, v[24:25], off
	global_load_dword v35, v[30:31], off
	;; [unrolled: 1-line block ×3, first 2 shown]
	s_waitcnt vmcnt(9)
	v_mov_b32_e32 v26, v17
	s_waitcnt vmcnt(3)
	v_fmac_f32_e32 v12, v16, v18
	v_pk_fma_f32 v[4:5], v[14:15], v[18:19], v[4:5] op_sel_hi:[1,0,1]
	v_fmac_f32_e32 v12, v7, v19
	v_pk_fma_f32 v[4:5], v[26:27], v[18:19], v[4:5] op_sel:[0,1,0]
	v_mov_b32_e32 v8, v21
	v_pk_fma_f32 v[4:5], v[28:29], v[20:21], v[4:5] op_sel_hi:[1,0,1]
	v_fmac_f32_e32 v12, v11, v20
	s_waitcnt vmcnt(1)
	v_pk_fma_f32 v[4:5], v[34:35], v[8:9], v[4:5] op_sel_hi:[1,0,1]
	s_waitcnt vmcnt(0)
	v_fmac_f32_e32 v12, v1, v21
	s_andn2_b64 exec, exec, s[18:19]
	s_cbranch_execnz .LBB11_9
; %bb.10:
	s_or_b64 exec, exec, s[18:19]
.LBB11_11:
	s_or_b64 exec, exec, s[4:5]
	s_cbranch_execz .LBB11_13
	s_branch .LBB11_18
.LBB11_12:
                                        ; implicit-def: $vgpr5
                                        ; implicit-def: $vgpr12
.LBB11_13:
	v_mov_b32_e32 v5, 0
	v_mov_b32_e32 v4, v5
	;; [unrolled: 1-line block ×3, first 2 shown]
	s_and_saveexec_b64 s[4:5], s[2:3]
	s_cbranch_execz .LBB11_17
; %bb.14:
	v_mad_u64_u32 v[6:7], s[2:3], v0, 12, 11
	v_mov_b32_e32 v9, 0
	s_mov_b64 s[2:3], 0
	v_mov_b32_e32 v12, 0
	v_mov_b32_e32 v4, v9
	;; [unrolled: 1-line block ×3, first 2 shown]
.LBB11_15:                              ; =>This Inner Loop Header: Depth=1
	v_ashrrev_i32_e32 v1, 31, v0
	v_lshl_add_u64 v[10:11], v[0:1], 2, s[6:7]
	global_load_dword v1, v[10:11], off
	v_add_u32_e32 v8, -11, v6
	v_add_u32_e32 v10, -7, v6
	;; [unrolled: 1-line block ×3, first 2 shown]
	v_mov_b32_e32 v11, v9
	v_mov_b32_e32 v15, v9
	v_lshl_add_u64 v[16:17], v[8:9], 2, s[8:9]
	v_add_u32_e32 v8, -6, v6
	v_mov_b32_e32 v7, v9
	v_lshl_add_u64 v[10:11], v[10:11], 2, s[8:9]
	v_lshl_add_u64 v[20:21], v[14:15], 2, s[8:9]
	global_load_dwordx4 v[14:17], v[16:17], off
	v_lshl_add_u64 v[24:25], v[8:9], 2, s[8:9]
	v_add_u32_e32 v8, -2, v6
	v_lshl_add_u64 v[22:23], v[6:7], 2, s[8:9]
	global_load_dword v27, v[10:11], off
	global_load_dword v7, v[20:21], off
	v_lshl_add_u64 v[10:11], v[8:9], 2, s[8:9]
	v_add_u32_e32 v8, -5, v6
	v_mov_b32_e32 v19, v9
	global_load_dword v25, v[24:25], off
	v_lshl_add_u64 v[20:21], v[8:9], 2, s[8:9]
	global_load_dword v29, v[20:21], off
	v_add_u32_e32 v8, -1, v6
	global_load_dword v36, v[10:11], off
	v_lshl_add_u64 v[10:11], v[8:9], 2, s[8:9]
	v_add_u32_e32 v8, -4, v6
	v_lshl_add_u64 v[30:31], v[8:9], 2, s[8:9]
	v_add_u32_e32 v0, 8, v0
	v_cmp_ge_i32_e32 vcc, v0, v13
	s_or_b64 s[2:3], vcc, s[2:3]
	v_add_u32_e32 v6, 0x60, v6
	s_waitcnt vmcnt(6)
	v_subrev_u32_e32 v1, s16, v1
	v_lshlrev_b32_e32 v18, 2, v1
	v_lshl_add_u64 v[32:33], v[18:19], 2, s[10:11]
	global_load_dwordx4 v[18:21], v[32:33], off
	global_load_dword v1, v[10:11], off
	global_load_dword v35, v[30:31], off
	;; [unrolled: 1-line block ×3, first 2 shown]
	s_waitcnt vmcnt(9)
	v_mov_b32_e32 v26, v14
	v_mov_b32_e32 v24, v15
	;; [unrolled: 1-line block ×4, first 2 shown]
	s_waitcnt vmcnt(3)
	v_fmac_f32_e32 v12, v7, v18
	v_pk_fma_f32 v[4:5], v[26:27], v[18:19], v[4:5] op_sel_hi:[1,0,1]
	v_fmac_f32_e32 v12, v36, v19
	v_pk_fma_f32 v[4:5], v[24:25], v[18:19], v[4:5] op_sel:[0,1,0]
	v_mov_b32_e32 v8, v21
	v_pk_fma_f32 v[4:5], v[28:29], v[20:21], v[4:5] op_sel_hi:[1,0,1]
	s_waitcnt vmcnt(2)
	v_fmac_f32_e32 v12, v1, v20
	s_waitcnt vmcnt(1)
	v_pk_fma_f32 v[4:5], v[34:35], v[8:9], v[4:5] op_sel_hi:[1,0,1]
	s_waitcnt vmcnt(0)
	v_fmac_f32_e32 v12, v37, v21
	s_andn2_b64 exec, exec, s[2:3]
	s_cbranch_execnz .LBB11_15
; %bb.16:
	s_or_b64 exec, exec, s[2:3]
.LBB11_17:
	s_or_b64 exec, exec, s[4:5]
.LBB11_18:
	v_mov_b32_dpp v0, v4 row_shr:1 row_mask:0xf bank_mask:0xf
	v_mov_b32_dpp v1, v5 row_shr:1 row_mask:0xf bank_mask:0xf
	;; [unrolled: 1-line block ×3, first 2 shown]
	v_pk_add_f32 v[0:1], v[4:5], v[0:1]
	v_add_f32_e32 v6, v12, v6
	v_cmp_eq_u32_e32 vcc, 7, v3
	v_mov_b32_dpp v4, v0 row_shr:2 row_mask:0xf bank_mask:0xf
	v_mov_b32_dpp v5, v1 row_shr:2 row_mask:0xf bank_mask:0xf
	;; [unrolled: 1-line block ×3, first 2 shown]
	v_pk_add_f32 v[0:1], v[0:1], v[4:5]
	v_add_f32_e32 v6, v6, v7
	s_nop 0
	v_mov_b32_dpp v4, v0 row_shr:4 row_mask:0xf bank_mask:0xe
	v_mov_b32_dpp v5, v1 row_shr:4 row_mask:0xf bank_mask:0xe
	;; [unrolled: 1-line block ×3, first 2 shown]
	s_and_b64 exec, exec, vcc
	s_cbranch_execz .LBB11_22
; %bb.19:
	s_load_dwordx2 s[0:1], s[0:1], 0x38
	v_pk_add_f32 v[4:5], v[0:1], v[4:5]
	v_add_f32_e32 v0, v6, v7
	v_cmp_eq_f32_e64 s[2:3], s12, 0
	v_lshl_add_u32 v6, v2, 1, v2
	s_and_b64 vcc, exec, s[2:3]
	v_mul_f32_e32 v2, s14, v0
	v_ashrrev_i32_e32 v7, 31, v6
	s_cbranch_vccz .LBB11_23
; %bb.20:
	s_waitcnt lgkmcnt(0)
	v_lshl_add_u64 v[8:9], v[6:7], 2, s[0:1]
	v_pk_mul_f32 v[0:1], s[14:15], v[4:5] op_sel_hi:[0,1]
	global_store_dwordx3 v[8:9], v[0:2], off
	s_cbranch_execnz .LBB11_22
.LBB11_21:
	s_waitcnt lgkmcnt(0)
	v_lshl_add_u64 v[10:11], v[6:7], 2, s[0:1]
	global_load_dwordx3 v[6:8], v[10:11], off
	v_pk_mul_f32 v[0:1], s[14:15], v[4:5] op_sel_hi:[0,1]
	s_waitcnt vmcnt(0)
	v_pk_fma_f32 v[0:1], s[12:13], v[6:7], v[0:1] op_sel_hi:[0,1,1]
	v_fmac_f32_e32 v2, s12, v8
	global_store_dwordx3 v[10:11], v[0:2], off
.LBB11_22:
	s_endpgm
.LBB11_23:
	s_branch .LBB11_21
	.section	.rodata,"a",@progbits
	.p2align	6, 0x0
	.amdhsa_kernel _ZN9rocsparseL19gebsrmvn_3xn_kernelILj128ELj4ELj8EfEEvi20rocsparse_direction_NS_24const_host_device_scalarIT2_EEPKiS6_PKS3_S8_S4_PS3_21rocsparse_index_base_b
		.amdhsa_group_segment_fixed_size 0
		.amdhsa_private_segment_fixed_size 0
		.amdhsa_kernarg_size 72
		.amdhsa_user_sgpr_count 2
		.amdhsa_user_sgpr_dispatch_ptr 0
		.amdhsa_user_sgpr_queue_ptr 0
		.amdhsa_user_sgpr_kernarg_segment_ptr 1
		.amdhsa_user_sgpr_dispatch_id 0
		.amdhsa_user_sgpr_kernarg_preload_length 0
		.amdhsa_user_sgpr_kernarg_preload_offset 0
		.amdhsa_user_sgpr_private_segment_size 0
		.amdhsa_uses_dynamic_stack 0
		.amdhsa_enable_private_segment 0
		.amdhsa_system_sgpr_workgroup_id_x 1
		.amdhsa_system_sgpr_workgroup_id_y 0
		.amdhsa_system_sgpr_workgroup_id_z 0
		.amdhsa_system_sgpr_workgroup_info 0
		.amdhsa_system_vgpr_workitem_id 0
		.amdhsa_next_free_vgpr 38
		.amdhsa_next_free_sgpr 20
		.amdhsa_accum_offset 40
		.amdhsa_reserve_vcc 1
		.amdhsa_float_round_mode_32 0
		.amdhsa_float_round_mode_16_64 0
		.amdhsa_float_denorm_mode_32 3
		.amdhsa_float_denorm_mode_16_64 3
		.amdhsa_dx10_clamp 1
		.amdhsa_ieee_mode 1
		.amdhsa_fp16_overflow 0
		.amdhsa_tg_split 0
		.amdhsa_exception_fp_ieee_invalid_op 0
		.amdhsa_exception_fp_denorm_src 0
		.amdhsa_exception_fp_ieee_div_zero 0
		.amdhsa_exception_fp_ieee_overflow 0
		.amdhsa_exception_fp_ieee_underflow 0
		.amdhsa_exception_fp_ieee_inexact 0
		.amdhsa_exception_int_div_zero 0
	.end_amdhsa_kernel
	.section	.text._ZN9rocsparseL19gebsrmvn_3xn_kernelILj128ELj4ELj8EfEEvi20rocsparse_direction_NS_24const_host_device_scalarIT2_EEPKiS6_PKS3_S8_S4_PS3_21rocsparse_index_base_b,"axG",@progbits,_ZN9rocsparseL19gebsrmvn_3xn_kernelILj128ELj4ELj8EfEEvi20rocsparse_direction_NS_24const_host_device_scalarIT2_EEPKiS6_PKS3_S8_S4_PS3_21rocsparse_index_base_b,comdat
.Lfunc_end11:
	.size	_ZN9rocsparseL19gebsrmvn_3xn_kernelILj128ELj4ELj8EfEEvi20rocsparse_direction_NS_24const_host_device_scalarIT2_EEPKiS6_PKS3_S8_S4_PS3_21rocsparse_index_base_b, .Lfunc_end11-_ZN9rocsparseL19gebsrmvn_3xn_kernelILj128ELj4ELj8EfEEvi20rocsparse_direction_NS_24const_host_device_scalarIT2_EEPKiS6_PKS3_S8_S4_PS3_21rocsparse_index_base_b
                                        ; -- End function
	.section	.AMDGPU.csdata,"",@progbits
; Kernel info:
; codeLenInByte = 1276
; NumSgprs: 26
; NumVgprs: 38
; NumAgprs: 0
; TotalNumVgprs: 38
; ScratchSize: 0
; MemoryBound: 0
; FloatMode: 240
; IeeeMode: 1
; LDSByteSize: 0 bytes/workgroup (compile time only)
; SGPRBlocks: 3
; VGPRBlocks: 4
; NumSGPRsForWavesPerEU: 26
; NumVGPRsForWavesPerEU: 38
; AccumOffset: 40
; Occupancy: 8
; WaveLimiterHint : 1
; COMPUTE_PGM_RSRC2:SCRATCH_EN: 0
; COMPUTE_PGM_RSRC2:USER_SGPR: 2
; COMPUTE_PGM_RSRC2:TRAP_HANDLER: 0
; COMPUTE_PGM_RSRC2:TGID_X_EN: 1
; COMPUTE_PGM_RSRC2:TGID_Y_EN: 0
; COMPUTE_PGM_RSRC2:TGID_Z_EN: 0
; COMPUTE_PGM_RSRC2:TIDIG_COMP_CNT: 0
; COMPUTE_PGM_RSRC3_GFX90A:ACCUM_OFFSET: 9
; COMPUTE_PGM_RSRC3_GFX90A:TG_SPLIT: 0
	.section	.text._ZN9rocsparseL19gebsrmvn_3xn_kernelILj128ELj4ELj16EfEEvi20rocsparse_direction_NS_24const_host_device_scalarIT2_EEPKiS6_PKS3_S8_S4_PS3_21rocsparse_index_base_b,"axG",@progbits,_ZN9rocsparseL19gebsrmvn_3xn_kernelILj128ELj4ELj16EfEEvi20rocsparse_direction_NS_24const_host_device_scalarIT2_EEPKiS6_PKS3_S8_S4_PS3_21rocsparse_index_base_b,comdat
	.globl	_ZN9rocsparseL19gebsrmvn_3xn_kernelILj128ELj4ELj16EfEEvi20rocsparse_direction_NS_24const_host_device_scalarIT2_EEPKiS6_PKS3_S8_S4_PS3_21rocsparse_index_base_b ; -- Begin function _ZN9rocsparseL19gebsrmvn_3xn_kernelILj128ELj4ELj16EfEEvi20rocsparse_direction_NS_24const_host_device_scalarIT2_EEPKiS6_PKS3_S8_S4_PS3_21rocsparse_index_base_b
	.p2align	8
	.type	_ZN9rocsparseL19gebsrmvn_3xn_kernelILj128ELj4ELj16EfEEvi20rocsparse_direction_NS_24const_host_device_scalarIT2_EEPKiS6_PKS3_S8_S4_PS3_21rocsparse_index_base_b,@function
_ZN9rocsparseL19gebsrmvn_3xn_kernelILj128ELj4ELj16EfEEvi20rocsparse_direction_NS_24const_host_device_scalarIT2_EEPKiS6_PKS3_S8_S4_PS3_21rocsparse_index_base_b: ; @_ZN9rocsparseL19gebsrmvn_3xn_kernelILj128ELj4ELj16EfEEvi20rocsparse_direction_NS_24const_host_device_scalarIT2_EEPKiS6_PKS3_S8_S4_PS3_21rocsparse_index_base_b
; %bb.0:
	s_load_dwordx2 s[16:17], s[0:1], 0x40
	s_load_dwordx2 s[14:15], s[0:1], 0x8
	;; [unrolled: 1-line block ×3, first 2 shown]
	s_waitcnt lgkmcnt(0)
	s_bitcmp1_b32 s17, 0
	s_cselect_b64 s[6:7], -1, 0
	s_xor_b64 s[4:5], s[6:7], -1
	s_and_b64 vcc, exec, s[6:7]
	s_cbranch_vccnz .LBB12_2
; %bb.1:
	s_load_dword s14, s[14:15], 0x0
.LBB12_2:
	s_andn2_b64 vcc, exec, s[4:5]
	s_cbranch_vccnz .LBB12_4
; %bb.3:
	s_load_dword s12, s[12:13], 0x0
.LBB12_4:
	s_waitcnt lgkmcnt(0)
	v_cmp_eq_f32_e64 s[4:5], s14, 0
	v_cmp_eq_f32_e64 s[6:7], s12, 1.0
	s_and_b64 s[4:5], s[4:5], s[6:7]
	s_and_b64 vcc, exec, s[4:5]
	s_cbranch_vccnz .LBB12_22
; %bb.5:
	s_load_dwordx2 s[18:19], s[0:1], 0x0
	v_lshrrev_b32_e32 v1, 4, v0
	v_lshl_or_b32 v2, s2, 3, v1
	s_waitcnt lgkmcnt(0)
	v_cmp_gt_i32_e32 vcc, s18, v2
	s_and_saveexec_b64 s[2:3], vcc
	s_cbranch_execz .LBB12_22
; %bb.6:
	s_load_dwordx8 s[4:11], s[0:1], 0x10
	v_ashrrev_i32_e32 v3, 31, v2
	s_cmp_lg_u32 s19, 0
	s_waitcnt lgkmcnt(0)
	v_lshl_add_u64 v[4:5], v[2:3], 2, s[4:5]
	global_load_dwordx2 v[4:5], v[4:5], off
	v_and_b32_e32 v3, 15, v0
	s_waitcnt vmcnt(0)
	v_subrev_u32_e32 v0, s16, v4
	v_subrev_u32_e32 v13, s16, v5
	v_add_u32_e32 v0, v0, v3
	v_cmp_lt_i32_e64 s[2:3], v0, v13
	s_cbranch_scc0 .LBB12_12
; %bb.7:
	v_mov_b32_e32 v5, 0
	v_mov_b32_e32 v4, v5
	;; [unrolled: 1-line block ×3, first 2 shown]
	s_and_saveexec_b64 s[4:5], s[2:3]
	s_cbranch_execz .LBB12_11
; %bb.8:
	v_mad_u64_u32 v[6:7], s[18:19], v0, 12, 11
	v_mov_b32_e32 v9, 0
	s_mov_b64 s[18:19], 0
	v_mov_b32_e32 v10, v0
	v_mov_b32_e32 v4, v9
	;; [unrolled: 1-line block ×4, first 2 shown]
.LBB12_9:                               ; =>This Inner Loop Header: Depth=1
	v_ashrrev_i32_e32 v11, 31, v10
	v_lshl_add_u64 v[14:15], v[10:11], 2, s[6:7]
	global_load_dword v1, v[14:15], off
	v_add_u32_e32 v8, -11, v6
	v_lshl_add_u64 v[14:15], v[8:9], 2, s[8:9]
	v_add_u32_e32 v8, -7, v6
	v_lshl_add_u64 v[20:21], v[8:9], 2, s[8:9]
	v_add_u32_e32 v8, -6, v6
	v_mov_b32_e32 v7, v9
	v_lshl_add_u64 v[24:25], v[8:9], 2, s[8:9]
	v_add_u32_e32 v8, -5, v6
	v_lshl_add_u64 v[22:23], v[6:7], 2, s[8:9]
	global_load_dwordx4 v[14:17], v[14:15], off
	v_mov_b32_e32 v19, v9
	global_load_dword v27, v[20:21], off
	global_load_dword v7, v[24:25], off
	v_lshl_add_u64 v[20:21], v[8:9], 2, s[8:9]
	v_add_u32_e32 v8, -4, v6
	v_lshl_add_u64 v[24:25], v[8:9], 2, s[8:9]
	v_add_u32_e32 v8, -3, v6
	global_load_dword v28, v[20:21], off
	global_load_dword v29, v[24:25], off
	v_lshl_add_u64 v[20:21], v[8:9], 2, s[8:9]
	v_add_u32_e32 v8, -2, v6
	v_lshl_add_u64 v[24:25], v[8:9], 2, s[8:9]
	v_add_u32_e32 v8, -1, v6
	global_load_dword v11, v[20:21], off
	v_lshl_add_u64 v[30:31], v[8:9], 2, s[8:9]
	v_add_u32_e32 v10, 16, v10
	v_cmp_ge_i32_e32 vcc, v10, v13
	s_or_b64 s[18:19], vcc, s[18:19]
	v_add_u32_e32 v6, 0xc0, v6
	s_waitcnt vmcnt(6)
	v_subrev_u32_e32 v1, s16, v1
	v_lshlrev_b32_e32 v18, 2, v1
	v_lshl_add_u64 v[32:33], v[18:19], 2, s[10:11]
	global_load_dwordx4 v[18:21], v[32:33], off
	global_load_dword v34, v[24:25], off
	global_load_dword v35, v[30:31], off
	;; [unrolled: 1-line block ×3, first 2 shown]
	s_waitcnt vmcnt(9)
	v_mov_b32_e32 v26, v17
	s_waitcnt vmcnt(3)
	v_fmac_f32_e32 v12, v16, v18
	v_pk_fma_f32 v[4:5], v[14:15], v[18:19], v[4:5] op_sel_hi:[1,0,1]
	v_fmac_f32_e32 v12, v7, v19
	v_pk_fma_f32 v[4:5], v[26:27], v[18:19], v[4:5] op_sel:[0,1,0]
	v_mov_b32_e32 v8, v21
	v_pk_fma_f32 v[4:5], v[28:29], v[20:21], v[4:5] op_sel_hi:[1,0,1]
	v_fmac_f32_e32 v12, v11, v20
	s_waitcnt vmcnt(1)
	v_pk_fma_f32 v[4:5], v[34:35], v[8:9], v[4:5] op_sel_hi:[1,0,1]
	s_waitcnt vmcnt(0)
	v_fmac_f32_e32 v12, v1, v21
	s_andn2_b64 exec, exec, s[18:19]
	s_cbranch_execnz .LBB12_9
; %bb.10:
	s_or_b64 exec, exec, s[18:19]
.LBB12_11:
	s_or_b64 exec, exec, s[4:5]
	s_cbranch_execz .LBB12_13
	s_branch .LBB12_18
.LBB12_12:
                                        ; implicit-def: $vgpr5
                                        ; implicit-def: $vgpr12
.LBB12_13:
	v_mov_b32_e32 v5, 0
	v_mov_b32_e32 v4, v5
	;; [unrolled: 1-line block ×3, first 2 shown]
	s_and_saveexec_b64 s[4:5], s[2:3]
	s_cbranch_execz .LBB12_17
; %bb.14:
	v_mad_u64_u32 v[6:7], s[2:3], v0, 12, 11
	v_mov_b32_e32 v9, 0
	s_mov_b64 s[2:3], 0
	v_mov_b32_e32 v4, v9
	v_mov_b32_e32 v12, 0
	;; [unrolled: 1-line block ×3, first 2 shown]
.LBB12_15:                              ; =>This Inner Loop Header: Depth=1
	v_ashrrev_i32_e32 v1, 31, v0
	v_lshl_add_u64 v[10:11], v[0:1], 2, s[6:7]
	global_load_dword v1, v[10:11], off
	v_add_u32_e32 v8, -11, v6
	v_add_u32_e32 v10, -7, v6
	;; [unrolled: 1-line block ×3, first 2 shown]
	v_mov_b32_e32 v11, v9
	v_mov_b32_e32 v15, v9
	v_lshl_add_u64 v[16:17], v[8:9], 2, s[8:9]
	v_add_u32_e32 v8, -6, v6
	v_mov_b32_e32 v7, v9
	v_lshl_add_u64 v[10:11], v[10:11], 2, s[8:9]
	v_lshl_add_u64 v[20:21], v[14:15], 2, s[8:9]
	global_load_dwordx4 v[14:17], v[16:17], off
	v_lshl_add_u64 v[24:25], v[8:9], 2, s[8:9]
	v_add_u32_e32 v8, -2, v6
	v_lshl_add_u64 v[22:23], v[6:7], 2, s[8:9]
	global_load_dword v27, v[10:11], off
	global_load_dword v7, v[20:21], off
	v_lshl_add_u64 v[10:11], v[8:9], 2, s[8:9]
	v_add_u32_e32 v8, -5, v6
	v_mov_b32_e32 v19, v9
	global_load_dword v25, v[24:25], off
	v_lshl_add_u64 v[20:21], v[8:9], 2, s[8:9]
	global_load_dword v29, v[20:21], off
	v_add_u32_e32 v8, -1, v6
	global_load_dword v36, v[10:11], off
	v_lshl_add_u64 v[10:11], v[8:9], 2, s[8:9]
	v_add_u32_e32 v8, -4, v6
	v_lshl_add_u64 v[30:31], v[8:9], 2, s[8:9]
	v_add_u32_e32 v0, 16, v0
	v_cmp_ge_i32_e32 vcc, v0, v13
	s_or_b64 s[2:3], vcc, s[2:3]
	v_add_u32_e32 v6, 0xc0, v6
	s_waitcnt vmcnt(6)
	v_subrev_u32_e32 v1, s16, v1
	v_lshlrev_b32_e32 v18, 2, v1
	v_lshl_add_u64 v[32:33], v[18:19], 2, s[10:11]
	global_load_dwordx4 v[18:21], v[32:33], off
	global_load_dword v1, v[10:11], off
	global_load_dword v35, v[30:31], off
	;; [unrolled: 1-line block ×3, first 2 shown]
	s_waitcnt vmcnt(9)
	v_mov_b32_e32 v26, v14
	v_mov_b32_e32 v24, v15
	;; [unrolled: 1-line block ×4, first 2 shown]
	s_waitcnt vmcnt(3)
	v_fmac_f32_e32 v12, v7, v18
	v_pk_fma_f32 v[4:5], v[26:27], v[18:19], v[4:5] op_sel_hi:[1,0,1]
	v_fmac_f32_e32 v12, v36, v19
	v_pk_fma_f32 v[4:5], v[24:25], v[18:19], v[4:5] op_sel:[0,1,0]
	v_mov_b32_e32 v8, v21
	v_pk_fma_f32 v[4:5], v[28:29], v[20:21], v[4:5] op_sel_hi:[1,0,1]
	s_waitcnt vmcnt(2)
	v_fmac_f32_e32 v12, v1, v20
	s_waitcnt vmcnt(1)
	v_pk_fma_f32 v[4:5], v[34:35], v[8:9], v[4:5] op_sel_hi:[1,0,1]
	s_waitcnt vmcnt(0)
	v_fmac_f32_e32 v12, v37, v21
	s_andn2_b64 exec, exec, s[2:3]
	s_cbranch_execnz .LBB12_15
; %bb.16:
	s_or_b64 exec, exec, s[2:3]
.LBB12_17:
	s_or_b64 exec, exec, s[4:5]
.LBB12_18:
	v_mov_b32_dpp v0, v4 row_shr:1 row_mask:0xf bank_mask:0xf
	v_mov_b32_dpp v1, v5 row_shr:1 row_mask:0xf bank_mask:0xf
	;; [unrolled: 1-line block ×3, first 2 shown]
	v_pk_add_f32 v[0:1], v[4:5], v[0:1]
	v_add_f32_e32 v6, v12, v6
	v_cmp_eq_u32_e32 vcc, 15, v3
	v_mov_b32_dpp v4, v0 row_shr:2 row_mask:0xf bank_mask:0xf
	v_mov_b32_dpp v5, v1 row_shr:2 row_mask:0xf bank_mask:0xf
	;; [unrolled: 1-line block ×3, first 2 shown]
	v_pk_add_f32 v[0:1], v[0:1], v[4:5]
	v_add_f32_e32 v6, v6, v7
	s_nop 0
	v_mov_b32_dpp v4, v0 row_shr:4 row_mask:0xf bank_mask:0xe
	v_mov_b32_dpp v5, v1 row_shr:4 row_mask:0xf bank_mask:0xe
	;; [unrolled: 1-line block ×3, first 2 shown]
	v_pk_add_f32 v[0:1], v[0:1], v[4:5]
	v_add_f32_e32 v6, v6, v7
	s_nop 0
	v_mov_b32_dpp v4, v0 row_shr:8 row_mask:0xf bank_mask:0xc
	v_mov_b32_dpp v5, v1 row_shr:8 row_mask:0xf bank_mask:0xc
	;; [unrolled: 1-line block ×3, first 2 shown]
	s_and_b64 exec, exec, vcc
	s_cbranch_execz .LBB12_22
; %bb.19:
	s_load_dwordx2 s[0:1], s[0:1], 0x38
	v_pk_add_f32 v[4:5], v[0:1], v[4:5]
	v_add_f32_e32 v0, v6, v7
	v_cmp_eq_f32_e64 s[2:3], s12, 0
	v_lshl_add_u32 v6, v2, 1, v2
	s_and_b64 vcc, exec, s[2:3]
	v_mul_f32_e32 v2, s14, v0
	v_ashrrev_i32_e32 v7, 31, v6
	s_cbranch_vccz .LBB12_23
; %bb.20:
	s_waitcnt lgkmcnt(0)
	v_lshl_add_u64 v[8:9], v[6:7], 2, s[0:1]
	v_pk_mul_f32 v[0:1], s[14:15], v[4:5] op_sel_hi:[0,1]
	global_store_dwordx3 v[8:9], v[0:2], off
	s_cbranch_execnz .LBB12_22
.LBB12_21:
	s_waitcnt lgkmcnt(0)
	v_lshl_add_u64 v[10:11], v[6:7], 2, s[0:1]
	global_load_dwordx3 v[6:8], v[10:11], off
	v_pk_mul_f32 v[0:1], s[14:15], v[4:5] op_sel_hi:[0,1]
	s_waitcnt vmcnt(0)
	v_pk_fma_f32 v[0:1], s[12:13], v[6:7], v[0:1] op_sel_hi:[0,1,1]
	v_fmac_f32_e32 v2, s12, v8
	global_store_dwordx3 v[10:11], v[0:2], off
.LBB12_22:
	s_endpgm
.LBB12_23:
	s_branch .LBB12_21
	.section	.rodata,"a",@progbits
	.p2align	6, 0x0
	.amdhsa_kernel _ZN9rocsparseL19gebsrmvn_3xn_kernelILj128ELj4ELj16EfEEvi20rocsparse_direction_NS_24const_host_device_scalarIT2_EEPKiS6_PKS3_S8_S4_PS3_21rocsparse_index_base_b
		.amdhsa_group_segment_fixed_size 0
		.amdhsa_private_segment_fixed_size 0
		.amdhsa_kernarg_size 72
		.amdhsa_user_sgpr_count 2
		.amdhsa_user_sgpr_dispatch_ptr 0
		.amdhsa_user_sgpr_queue_ptr 0
		.amdhsa_user_sgpr_kernarg_segment_ptr 1
		.amdhsa_user_sgpr_dispatch_id 0
		.amdhsa_user_sgpr_kernarg_preload_length 0
		.amdhsa_user_sgpr_kernarg_preload_offset 0
		.amdhsa_user_sgpr_private_segment_size 0
		.amdhsa_uses_dynamic_stack 0
		.amdhsa_enable_private_segment 0
		.amdhsa_system_sgpr_workgroup_id_x 1
		.amdhsa_system_sgpr_workgroup_id_y 0
		.amdhsa_system_sgpr_workgroup_id_z 0
		.amdhsa_system_sgpr_workgroup_info 0
		.amdhsa_system_vgpr_workitem_id 0
		.amdhsa_next_free_vgpr 38
		.amdhsa_next_free_sgpr 20
		.amdhsa_accum_offset 40
		.amdhsa_reserve_vcc 1
		.amdhsa_float_round_mode_32 0
		.amdhsa_float_round_mode_16_64 0
		.amdhsa_float_denorm_mode_32 3
		.amdhsa_float_denorm_mode_16_64 3
		.amdhsa_dx10_clamp 1
		.amdhsa_ieee_mode 1
		.amdhsa_fp16_overflow 0
		.amdhsa_tg_split 0
		.amdhsa_exception_fp_ieee_invalid_op 0
		.amdhsa_exception_fp_denorm_src 0
		.amdhsa_exception_fp_ieee_div_zero 0
		.amdhsa_exception_fp_ieee_overflow 0
		.amdhsa_exception_fp_ieee_underflow 0
		.amdhsa_exception_fp_ieee_inexact 0
		.amdhsa_exception_int_div_zero 0
	.end_amdhsa_kernel
	.section	.text._ZN9rocsparseL19gebsrmvn_3xn_kernelILj128ELj4ELj16EfEEvi20rocsparse_direction_NS_24const_host_device_scalarIT2_EEPKiS6_PKS3_S8_S4_PS3_21rocsparse_index_base_b,"axG",@progbits,_ZN9rocsparseL19gebsrmvn_3xn_kernelILj128ELj4ELj16EfEEvi20rocsparse_direction_NS_24const_host_device_scalarIT2_EEPKiS6_PKS3_S8_S4_PS3_21rocsparse_index_base_b,comdat
.Lfunc_end12:
	.size	_ZN9rocsparseL19gebsrmvn_3xn_kernelILj128ELj4ELj16EfEEvi20rocsparse_direction_NS_24const_host_device_scalarIT2_EEPKiS6_PKS3_S8_S4_PS3_21rocsparse_index_base_b, .Lfunc_end12-_ZN9rocsparseL19gebsrmvn_3xn_kernelILj128ELj4ELj16EfEEvi20rocsparse_direction_NS_24const_host_device_scalarIT2_EEPKiS6_PKS3_S8_S4_PS3_21rocsparse_index_base_b
                                        ; -- End function
	.section	.AMDGPU.csdata,"",@progbits
; Kernel info:
; codeLenInByte = 1316
; NumSgprs: 26
; NumVgprs: 38
; NumAgprs: 0
; TotalNumVgprs: 38
; ScratchSize: 0
; MemoryBound: 0
; FloatMode: 240
; IeeeMode: 1
; LDSByteSize: 0 bytes/workgroup (compile time only)
; SGPRBlocks: 3
; VGPRBlocks: 4
; NumSGPRsForWavesPerEU: 26
; NumVGPRsForWavesPerEU: 38
; AccumOffset: 40
; Occupancy: 8
; WaveLimiterHint : 1
; COMPUTE_PGM_RSRC2:SCRATCH_EN: 0
; COMPUTE_PGM_RSRC2:USER_SGPR: 2
; COMPUTE_PGM_RSRC2:TRAP_HANDLER: 0
; COMPUTE_PGM_RSRC2:TGID_X_EN: 1
; COMPUTE_PGM_RSRC2:TGID_Y_EN: 0
; COMPUTE_PGM_RSRC2:TGID_Z_EN: 0
; COMPUTE_PGM_RSRC2:TIDIG_COMP_CNT: 0
; COMPUTE_PGM_RSRC3_GFX90A:ACCUM_OFFSET: 9
; COMPUTE_PGM_RSRC3_GFX90A:TG_SPLIT: 0
	.section	.text._ZN9rocsparseL19gebsrmvn_3xn_kernelILj128ELj4ELj32EfEEvi20rocsparse_direction_NS_24const_host_device_scalarIT2_EEPKiS6_PKS3_S8_S4_PS3_21rocsparse_index_base_b,"axG",@progbits,_ZN9rocsparseL19gebsrmvn_3xn_kernelILj128ELj4ELj32EfEEvi20rocsparse_direction_NS_24const_host_device_scalarIT2_EEPKiS6_PKS3_S8_S4_PS3_21rocsparse_index_base_b,comdat
	.globl	_ZN9rocsparseL19gebsrmvn_3xn_kernelILj128ELj4ELj32EfEEvi20rocsparse_direction_NS_24const_host_device_scalarIT2_EEPKiS6_PKS3_S8_S4_PS3_21rocsparse_index_base_b ; -- Begin function _ZN9rocsparseL19gebsrmvn_3xn_kernelILj128ELj4ELj32EfEEvi20rocsparse_direction_NS_24const_host_device_scalarIT2_EEPKiS6_PKS3_S8_S4_PS3_21rocsparse_index_base_b
	.p2align	8
	.type	_ZN9rocsparseL19gebsrmvn_3xn_kernelILj128ELj4ELj32EfEEvi20rocsparse_direction_NS_24const_host_device_scalarIT2_EEPKiS6_PKS3_S8_S4_PS3_21rocsparse_index_base_b,@function
_ZN9rocsparseL19gebsrmvn_3xn_kernelILj128ELj4ELj32EfEEvi20rocsparse_direction_NS_24const_host_device_scalarIT2_EEPKiS6_PKS3_S8_S4_PS3_21rocsparse_index_base_b: ; @_ZN9rocsparseL19gebsrmvn_3xn_kernelILj128ELj4ELj32EfEEvi20rocsparse_direction_NS_24const_host_device_scalarIT2_EEPKiS6_PKS3_S8_S4_PS3_21rocsparse_index_base_b
; %bb.0:
	s_load_dwordx2 s[16:17], s[0:1], 0x40
	s_load_dwordx2 s[14:15], s[0:1], 0x8
	;; [unrolled: 1-line block ×3, first 2 shown]
	s_waitcnt lgkmcnt(0)
	s_bitcmp1_b32 s17, 0
	s_cselect_b64 s[6:7], -1, 0
	s_xor_b64 s[4:5], s[6:7], -1
	s_and_b64 vcc, exec, s[6:7]
	s_cbranch_vccnz .LBB13_2
; %bb.1:
	s_load_dword s14, s[14:15], 0x0
.LBB13_2:
	s_andn2_b64 vcc, exec, s[4:5]
	s_cbranch_vccnz .LBB13_4
; %bb.3:
	s_load_dword s12, s[12:13], 0x0
.LBB13_4:
	s_waitcnt lgkmcnt(0)
	v_cmp_eq_f32_e64 s[4:5], s14, 0
	v_cmp_eq_f32_e64 s[6:7], s12, 1.0
	s_and_b64 s[4:5], s[4:5], s[6:7]
	s_and_b64 vcc, exec, s[4:5]
	s_cbranch_vccnz .LBB13_22
; %bb.5:
	s_load_dwordx2 s[18:19], s[0:1], 0x0
	v_lshrrev_b32_e32 v1, 5, v0
	v_lshl_or_b32 v2, s2, 2, v1
	s_waitcnt lgkmcnt(0)
	v_cmp_gt_i32_e32 vcc, s18, v2
	s_and_saveexec_b64 s[2:3], vcc
	s_cbranch_execz .LBB13_22
; %bb.6:
	s_load_dwordx8 s[4:11], s[0:1], 0x10
	v_ashrrev_i32_e32 v3, 31, v2
	s_cmp_lg_u32 s19, 0
	s_waitcnt lgkmcnt(0)
	v_lshl_add_u64 v[4:5], v[2:3], 2, s[4:5]
	global_load_dwordx2 v[4:5], v[4:5], off
	v_and_b32_e32 v3, 31, v0
	s_waitcnt vmcnt(0)
	v_subrev_u32_e32 v0, s16, v4
	v_subrev_u32_e32 v13, s16, v5
	v_add_u32_e32 v0, v0, v3
	v_cmp_lt_i32_e64 s[2:3], v0, v13
	s_cbranch_scc0 .LBB13_12
; %bb.7:
	v_mov_b32_e32 v5, 0
	v_mov_b32_e32 v4, v5
	;; [unrolled: 1-line block ×3, first 2 shown]
	s_and_saveexec_b64 s[4:5], s[2:3]
	s_cbranch_execz .LBB13_11
; %bb.8:
	v_mad_u64_u32 v[6:7], s[18:19], v0, 12, 11
	v_mov_b32_e32 v9, 0
	s_mov_b64 s[18:19], 0
	v_mov_b32_e32 v10, v0
	v_mov_b32_e32 v12, 0
	;; [unrolled: 1-line block ×4, first 2 shown]
.LBB13_9:                               ; =>This Inner Loop Header: Depth=1
	v_ashrrev_i32_e32 v11, 31, v10
	v_lshl_add_u64 v[14:15], v[10:11], 2, s[6:7]
	global_load_dword v1, v[14:15], off
	v_add_u32_e32 v8, -11, v6
	v_lshl_add_u64 v[14:15], v[8:9], 2, s[8:9]
	v_add_u32_e32 v8, -7, v6
	v_lshl_add_u64 v[20:21], v[8:9], 2, s[8:9]
	v_add_u32_e32 v8, -6, v6
	v_mov_b32_e32 v7, v9
	v_lshl_add_u64 v[24:25], v[8:9], 2, s[8:9]
	v_add_u32_e32 v8, -5, v6
	v_lshl_add_u64 v[22:23], v[6:7], 2, s[8:9]
	global_load_dwordx4 v[14:17], v[14:15], off
	v_mov_b32_e32 v19, v9
	global_load_dword v27, v[20:21], off
	global_load_dword v7, v[24:25], off
	v_lshl_add_u64 v[20:21], v[8:9], 2, s[8:9]
	v_add_u32_e32 v8, -4, v6
	v_lshl_add_u64 v[24:25], v[8:9], 2, s[8:9]
	v_add_u32_e32 v8, -3, v6
	global_load_dword v28, v[20:21], off
	global_load_dword v29, v[24:25], off
	v_lshl_add_u64 v[20:21], v[8:9], 2, s[8:9]
	v_add_u32_e32 v8, -2, v6
	v_lshl_add_u64 v[24:25], v[8:9], 2, s[8:9]
	v_add_u32_e32 v8, -1, v6
	global_load_dword v11, v[20:21], off
	v_lshl_add_u64 v[30:31], v[8:9], 2, s[8:9]
	v_add_u32_e32 v10, 32, v10
	v_cmp_ge_i32_e32 vcc, v10, v13
	s_or_b64 s[18:19], vcc, s[18:19]
	v_add_u32_e32 v6, 0x180, v6
	s_waitcnt vmcnt(6)
	v_subrev_u32_e32 v1, s16, v1
	v_lshlrev_b32_e32 v18, 2, v1
	v_lshl_add_u64 v[32:33], v[18:19], 2, s[10:11]
	global_load_dwordx4 v[18:21], v[32:33], off
	global_load_dword v34, v[24:25], off
	global_load_dword v35, v[30:31], off
	;; [unrolled: 1-line block ×3, first 2 shown]
	s_waitcnt vmcnt(9)
	v_mov_b32_e32 v26, v17
	s_waitcnt vmcnt(3)
	v_pk_fma_f32 v[4:5], v[14:15], v[18:19], v[4:5] op_sel_hi:[1,0,1]
	v_fmac_f32_e32 v12, v16, v18
	v_fmac_f32_e32 v12, v7, v19
	v_pk_fma_f32 v[4:5], v[26:27], v[18:19], v[4:5] op_sel:[0,1,0]
	v_mov_b32_e32 v8, v21
	v_pk_fma_f32 v[4:5], v[28:29], v[20:21], v[4:5] op_sel_hi:[1,0,1]
	v_fmac_f32_e32 v12, v11, v20
	s_waitcnt vmcnt(1)
	v_pk_fma_f32 v[4:5], v[34:35], v[8:9], v[4:5] op_sel_hi:[1,0,1]
	s_waitcnt vmcnt(0)
	v_fmac_f32_e32 v12, v1, v21
	s_andn2_b64 exec, exec, s[18:19]
	s_cbranch_execnz .LBB13_9
; %bb.10:
	s_or_b64 exec, exec, s[18:19]
.LBB13_11:
	s_or_b64 exec, exec, s[4:5]
	s_cbranch_execz .LBB13_13
	s_branch .LBB13_18
.LBB13_12:
                                        ; implicit-def: $vgpr5
                                        ; implicit-def: $vgpr12
.LBB13_13:
	v_mov_b32_e32 v5, 0
	v_mov_b32_e32 v4, v5
	;; [unrolled: 1-line block ×3, first 2 shown]
	s_and_saveexec_b64 s[4:5], s[2:3]
	s_cbranch_execz .LBB13_17
; %bb.14:
	v_mad_u64_u32 v[6:7], s[2:3], v0, 12, 11
	v_mov_b32_e32 v9, 0
	s_mov_b64 s[2:3], 0
	v_mov_b32_e32 v12, 0
	v_mov_b32_e32 v4, v9
	;; [unrolled: 1-line block ×3, first 2 shown]
.LBB13_15:                              ; =>This Inner Loop Header: Depth=1
	v_ashrrev_i32_e32 v1, 31, v0
	v_lshl_add_u64 v[10:11], v[0:1], 2, s[6:7]
	global_load_dword v1, v[10:11], off
	v_add_u32_e32 v8, -11, v6
	v_add_u32_e32 v10, -7, v6
	;; [unrolled: 1-line block ×3, first 2 shown]
	v_mov_b32_e32 v11, v9
	v_mov_b32_e32 v15, v9
	v_lshl_add_u64 v[16:17], v[8:9], 2, s[8:9]
	v_add_u32_e32 v8, -6, v6
	v_mov_b32_e32 v7, v9
	v_lshl_add_u64 v[10:11], v[10:11], 2, s[8:9]
	v_lshl_add_u64 v[20:21], v[14:15], 2, s[8:9]
	global_load_dwordx4 v[14:17], v[16:17], off
	v_lshl_add_u64 v[24:25], v[8:9], 2, s[8:9]
	v_add_u32_e32 v8, -2, v6
	v_lshl_add_u64 v[22:23], v[6:7], 2, s[8:9]
	global_load_dword v27, v[10:11], off
	global_load_dword v7, v[20:21], off
	v_lshl_add_u64 v[10:11], v[8:9], 2, s[8:9]
	v_add_u32_e32 v8, -5, v6
	v_mov_b32_e32 v19, v9
	global_load_dword v25, v[24:25], off
	v_lshl_add_u64 v[20:21], v[8:9], 2, s[8:9]
	global_load_dword v29, v[20:21], off
	v_add_u32_e32 v8, -1, v6
	global_load_dword v36, v[10:11], off
	v_lshl_add_u64 v[10:11], v[8:9], 2, s[8:9]
	v_add_u32_e32 v8, -4, v6
	v_lshl_add_u64 v[30:31], v[8:9], 2, s[8:9]
	v_add_u32_e32 v0, 32, v0
	v_cmp_ge_i32_e32 vcc, v0, v13
	s_or_b64 s[2:3], vcc, s[2:3]
	v_add_u32_e32 v6, 0x180, v6
	s_waitcnt vmcnt(6)
	v_subrev_u32_e32 v1, s16, v1
	v_lshlrev_b32_e32 v18, 2, v1
	v_lshl_add_u64 v[32:33], v[18:19], 2, s[10:11]
	global_load_dwordx4 v[18:21], v[32:33], off
	global_load_dword v1, v[10:11], off
	global_load_dword v35, v[30:31], off
	;; [unrolled: 1-line block ×3, first 2 shown]
	s_waitcnt vmcnt(9)
	v_mov_b32_e32 v26, v14
	v_mov_b32_e32 v24, v15
	;; [unrolled: 1-line block ×4, first 2 shown]
	s_waitcnt vmcnt(3)
	v_pk_fma_f32 v[4:5], v[26:27], v[18:19], v[4:5] op_sel_hi:[1,0,1]
	v_fmac_f32_e32 v12, v7, v18
	v_fmac_f32_e32 v12, v36, v19
	v_pk_fma_f32 v[4:5], v[24:25], v[18:19], v[4:5] op_sel:[0,1,0]
	v_mov_b32_e32 v8, v21
	v_pk_fma_f32 v[4:5], v[28:29], v[20:21], v[4:5] op_sel_hi:[1,0,1]
	s_waitcnt vmcnt(2)
	v_fmac_f32_e32 v12, v1, v20
	s_waitcnt vmcnt(1)
	v_pk_fma_f32 v[4:5], v[34:35], v[8:9], v[4:5] op_sel_hi:[1,0,1]
	s_waitcnt vmcnt(0)
	v_fmac_f32_e32 v12, v37, v21
	s_andn2_b64 exec, exec, s[2:3]
	s_cbranch_execnz .LBB13_15
; %bb.16:
	s_or_b64 exec, exec, s[2:3]
.LBB13_17:
	s_or_b64 exec, exec, s[4:5]
.LBB13_18:
	v_mov_b32_dpp v0, v4 row_shr:1 row_mask:0xf bank_mask:0xf
	v_mov_b32_dpp v1, v5 row_shr:1 row_mask:0xf bank_mask:0xf
	;; [unrolled: 1-line block ×3, first 2 shown]
	v_pk_add_f32 v[0:1], v[4:5], v[0:1]
	v_add_f32_e32 v6, v12, v6
	v_cmp_eq_u32_e32 vcc, 31, v3
	v_mov_b32_dpp v4, v0 row_shr:2 row_mask:0xf bank_mask:0xf
	v_mov_b32_dpp v5, v1 row_shr:2 row_mask:0xf bank_mask:0xf
	v_mov_b32_dpp v7, v6 row_shr:2 row_mask:0xf bank_mask:0xf
	v_pk_add_f32 v[0:1], v[0:1], v[4:5]
	v_add_f32_e32 v6, v6, v7
	s_nop 0
	v_mov_b32_dpp v4, v0 row_shr:4 row_mask:0xf bank_mask:0xe
	v_mov_b32_dpp v5, v1 row_shr:4 row_mask:0xf bank_mask:0xe
	v_mov_b32_dpp v7, v6 row_shr:4 row_mask:0xf bank_mask:0xe
	v_pk_add_f32 v[0:1], v[0:1], v[4:5]
	v_add_f32_e32 v6, v6, v7
	s_nop 0
	v_mov_b32_dpp v4, v0 row_shr:8 row_mask:0xf bank_mask:0xc
	v_mov_b32_dpp v5, v1 row_shr:8 row_mask:0xf bank_mask:0xc
	v_mov_b32_dpp v7, v6 row_shr:8 row_mask:0xf bank_mask:0xc
	v_pk_add_f32 v[0:1], v[0:1], v[4:5]
	v_add_f32_e32 v6, v6, v7
	s_nop 0
	v_mov_b32_dpp v4, v0 row_bcast:15 row_mask:0xa bank_mask:0xf
	v_mov_b32_dpp v5, v1 row_bcast:15 row_mask:0xa bank_mask:0xf
	;; [unrolled: 1-line block ×3, first 2 shown]
	s_and_b64 exec, exec, vcc
	s_cbranch_execz .LBB13_22
; %bb.19:
	s_load_dwordx2 s[0:1], s[0:1], 0x38
	v_pk_add_f32 v[4:5], v[0:1], v[4:5]
	v_add_f32_e32 v0, v6, v7
	v_cmp_eq_f32_e64 s[2:3], s12, 0
	v_lshl_add_u32 v6, v2, 1, v2
	s_and_b64 vcc, exec, s[2:3]
	v_mul_f32_e32 v2, s14, v0
	v_ashrrev_i32_e32 v7, 31, v6
	s_cbranch_vccz .LBB13_23
; %bb.20:
	s_waitcnt lgkmcnt(0)
	v_lshl_add_u64 v[8:9], v[6:7], 2, s[0:1]
	v_pk_mul_f32 v[0:1], s[14:15], v[4:5] op_sel_hi:[0,1]
	global_store_dwordx3 v[8:9], v[0:2], off
	s_cbranch_execnz .LBB13_22
.LBB13_21:
	s_waitcnt lgkmcnt(0)
	v_lshl_add_u64 v[10:11], v[6:7], 2, s[0:1]
	global_load_dwordx3 v[6:8], v[10:11], off
	v_pk_mul_f32 v[0:1], s[14:15], v[4:5] op_sel_hi:[0,1]
	s_waitcnt vmcnt(0)
	v_pk_fma_f32 v[0:1], s[12:13], v[6:7], v[0:1] op_sel_hi:[0,1,1]
	v_fmac_f32_e32 v2, s12, v8
	global_store_dwordx3 v[10:11], v[0:2], off
.LBB13_22:
	s_endpgm
.LBB13_23:
	s_branch .LBB13_21
	.section	.rodata,"a",@progbits
	.p2align	6, 0x0
	.amdhsa_kernel _ZN9rocsparseL19gebsrmvn_3xn_kernelILj128ELj4ELj32EfEEvi20rocsparse_direction_NS_24const_host_device_scalarIT2_EEPKiS6_PKS3_S8_S4_PS3_21rocsparse_index_base_b
		.amdhsa_group_segment_fixed_size 0
		.amdhsa_private_segment_fixed_size 0
		.amdhsa_kernarg_size 72
		.amdhsa_user_sgpr_count 2
		.amdhsa_user_sgpr_dispatch_ptr 0
		.amdhsa_user_sgpr_queue_ptr 0
		.amdhsa_user_sgpr_kernarg_segment_ptr 1
		.amdhsa_user_sgpr_dispatch_id 0
		.amdhsa_user_sgpr_kernarg_preload_length 0
		.amdhsa_user_sgpr_kernarg_preload_offset 0
		.amdhsa_user_sgpr_private_segment_size 0
		.amdhsa_uses_dynamic_stack 0
		.amdhsa_enable_private_segment 0
		.amdhsa_system_sgpr_workgroup_id_x 1
		.amdhsa_system_sgpr_workgroup_id_y 0
		.amdhsa_system_sgpr_workgroup_id_z 0
		.amdhsa_system_sgpr_workgroup_info 0
		.amdhsa_system_vgpr_workitem_id 0
		.amdhsa_next_free_vgpr 38
		.amdhsa_next_free_sgpr 20
		.amdhsa_accum_offset 40
		.amdhsa_reserve_vcc 1
		.amdhsa_float_round_mode_32 0
		.amdhsa_float_round_mode_16_64 0
		.amdhsa_float_denorm_mode_32 3
		.amdhsa_float_denorm_mode_16_64 3
		.amdhsa_dx10_clamp 1
		.amdhsa_ieee_mode 1
		.amdhsa_fp16_overflow 0
		.amdhsa_tg_split 0
		.amdhsa_exception_fp_ieee_invalid_op 0
		.amdhsa_exception_fp_denorm_src 0
		.amdhsa_exception_fp_ieee_div_zero 0
		.amdhsa_exception_fp_ieee_overflow 0
		.amdhsa_exception_fp_ieee_underflow 0
		.amdhsa_exception_fp_ieee_inexact 0
		.amdhsa_exception_int_div_zero 0
	.end_amdhsa_kernel
	.section	.text._ZN9rocsparseL19gebsrmvn_3xn_kernelILj128ELj4ELj32EfEEvi20rocsparse_direction_NS_24const_host_device_scalarIT2_EEPKiS6_PKS3_S8_S4_PS3_21rocsparse_index_base_b,"axG",@progbits,_ZN9rocsparseL19gebsrmvn_3xn_kernelILj128ELj4ELj32EfEEvi20rocsparse_direction_NS_24const_host_device_scalarIT2_EEPKiS6_PKS3_S8_S4_PS3_21rocsparse_index_base_b,comdat
.Lfunc_end13:
	.size	_ZN9rocsparseL19gebsrmvn_3xn_kernelILj128ELj4ELj32EfEEvi20rocsparse_direction_NS_24const_host_device_scalarIT2_EEPKiS6_PKS3_S8_S4_PS3_21rocsparse_index_base_b, .Lfunc_end13-_ZN9rocsparseL19gebsrmvn_3xn_kernelILj128ELj4ELj32EfEEvi20rocsparse_direction_NS_24const_host_device_scalarIT2_EEPKiS6_PKS3_S8_S4_PS3_21rocsparse_index_base_b
                                        ; -- End function
	.section	.AMDGPU.csdata,"",@progbits
; Kernel info:
; codeLenInByte = 1356
; NumSgprs: 26
; NumVgprs: 38
; NumAgprs: 0
; TotalNumVgprs: 38
; ScratchSize: 0
; MemoryBound: 0
; FloatMode: 240
; IeeeMode: 1
; LDSByteSize: 0 bytes/workgroup (compile time only)
; SGPRBlocks: 3
; VGPRBlocks: 4
; NumSGPRsForWavesPerEU: 26
; NumVGPRsForWavesPerEU: 38
; AccumOffset: 40
; Occupancy: 8
; WaveLimiterHint : 1
; COMPUTE_PGM_RSRC2:SCRATCH_EN: 0
; COMPUTE_PGM_RSRC2:USER_SGPR: 2
; COMPUTE_PGM_RSRC2:TRAP_HANDLER: 0
; COMPUTE_PGM_RSRC2:TGID_X_EN: 1
; COMPUTE_PGM_RSRC2:TGID_Y_EN: 0
; COMPUTE_PGM_RSRC2:TGID_Z_EN: 0
; COMPUTE_PGM_RSRC2:TIDIG_COMP_CNT: 0
; COMPUTE_PGM_RSRC3_GFX90A:ACCUM_OFFSET: 9
; COMPUTE_PGM_RSRC3_GFX90A:TG_SPLIT: 0
	.section	.text._ZN9rocsparseL19gebsrmvn_3xn_kernelILj128ELj4ELj64EfEEvi20rocsparse_direction_NS_24const_host_device_scalarIT2_EEPKiS6_PKS3_S8_S4_PS3_21rocsparse_index_base_b,"axG",@progbits,_ZN9rocsparseL19gebsrmvn_3xn_kernelILj128ELj4ELj64EfEEvi20rocsparse_direction_NS_24const_host_device_scalarIT2_EEPKiS6_PKS3_S8_S4_PS3_21rocsparse_index_base_b,comdat
	.globl	_ZN9rocsparseL19gebsrmvn_3xn_kernelILj128ELj4ELj64EfEEvi20rocsparse_direction_NS_24const_host_device_scalarIT2_EEPKiS6_PKS3_S8_S4_PS3_21rocsparse_index_base_b ; -- Begin function _ZN9rocsparseL19gebsrmvn_3xn_kernelILj128ELj4ELj64EfEEvi20rocsparse_direction_NS_24const_host_device_scalarIT2_EEPKiS6_PKS3_S8_S4_PS3_21rocsparse_index_base_b
	.p2align	8
	.type	_ZN9rocsparseL19gebsrmvn_3xn_kernelILj128ELj4ELj64EfEEvi20rocsparse_direction_NS_24const_host_device_scalarIT2_EEPKiS6_PKS3_S8_S4_PS3_21rocsparse_index_base_b,@function
_ZN9rocsparseL19gebsrmvn_3xn_kernelILj128ELj4ELj64EfEEvi20rocsparse_direction_NS_24const_host_device_scalarIT2_EEPKiS6_PKS3_S8_S4_PS3_21rocsparse_index_base_b: ; @_ZN9rocsparseL19gebsrmvn_3xn_kernelILj128ELj4ELj64EfEEvi20rocsparse_direction_NS_24const_host_device_scalarIT2_EEPKiS6_PKS3_S8_S4_PS3_21rocsparse_index_base_b
; %bb.0:
	s_load_dwordx2 s[16:17], s[0:1], 0x40
	s_load_dwordx2 s[14:15], s[0:1], 0x8
	;; [unrolled: 1-line block ×3, first 2 shown]
	s_waitcnt lgkmcnt(0)
	s_bitcmp1_b32 s17, 0
	s_cselect_b64 s[6:7], -1, 0
	s_xor_b64 s[4:5], s[6:7], -1
	s_and_b64 vcc, exec, s[6:7]
	s_cbranch_vccnz .LBB14_2
; %bb.1:
	s_load_dword s14, s[14:15], 0x0
.LBB14_2:
	s_andn2_b64 vcc, exec, s[4:5]
	s_cbranch_vccnz .LBB14_4
; %bb.3:
	s_load_dword s12, s[12:13], 0x0
.LBB14_4:
	s_waitcnt lgkmcnt(0)
	v_cmp_eq_f32_e64 s[4:5], s14, 0
	v_cmp_eq_f32_e64 s[6:7], s12, 1.0
	s_and_b64 s[4:5], s[4:5], s[6:7]
	s_and_b64 vcc, exec, s[4:5]
	s_cbranch_vccnz .LBB14_22
; %bb.5:
	s_load_dwordx2 s[18:19], s[0:1], 0x0
	v_lshrrev_b32_e32 v1, 6, v0
	v_lshl_or_b32 v2, s2, 1, v1
	s_waitcnt lgkmcnt(0)
	v_cmp_gt_i32_e32 vcc, s18, v2
	s_and_saveexec_b64 s[2:3], vcc
	s_cbranch_execz .LBB14_22
; %bb.6:
	s_load_dwordx8 s[4:11], s[0:1], 0x10
	v_ashrrev_i32_e32 v3, 31, v2
	s_cmp_lg_u32 s19, 0
	s_waitcnt lgkmcnt(0)
	v_lshl_add_u64 v[4:5], v[2:3], 2, s[4:5]
	global_load_dwordx2 v[4:5], v[4:5], off
	v_and_b32_e32 v3, 63, v0
	s_waitcnt vmcnt(0)
	v_subrev_u32_e32 v0, s16, v4
	v_subrev_u32_e32 v13, s16, v5
	v_add_u32_e32 v0, v0, v3
	v_cmp_lt_i32_e64 s[2:3], v0, v13
	s_cbranch_scc0 .LBB14_12
; %bb.7:
	v_mov_b32_e32 v5, 0
	v_mov_b32_e32 v4, v5
	;; [unrolled: 1-line block ×3, first 2 shown]
	s_and_saveexec_b64 s[4:5], s[2:3]
	s_cbranch_execz .LBB14_11
; %bb.8:
	v_mad_u64_u32 v[6:7], s[18:19], v0, 12, 11
	v_mov_b32_e32 v9, 0
	s_mov_b64 s[18:19], 0
	v_mov_b32_e32 v10, v0
	v_mov_b32_e32 v12, 0
	;; [unrolled: 1-line block ×4, first 2 shown]
.LBB14_9:                               ; =>This Inner Loop Header: Depth=1
	v_ashrrev_i32_e32 v11, 31, v10
	v_lshl_add_u64 v[14:15], v[10:11], 2, s[6:7]
	global_load_dword v1, v[14:15], off
	v_add_u32_e32 v8, -11, v6
	v_lshl_add_u64 v[14:15], v[8:9], 2, s[8:9]
	v_add_u32_e32 v8, -7, v6
	v_lshl_add_u64 v[20:21], v[8:9], 2, s[8:9]
	v_add_u32_e32 v8, -6, v6
	v_mov_b32_e32 v7, v9
	v_lshl_add_u64 v[24:25], v[8:9], 2, s[8:9]
	v_add_u32_e32 v8, -5, v6
	v_lshl_add_u64 v[22:23], v[6:7], 2, s[8:9]
	global_load_dwordx4 v[14:17], v[14:15], off
	v_mov_b32_e32 v19, v9
	global_load_dword v27, v[20:21], off
	global_load_dword v7, v[24:25], off
	v_lshl_add_u64 v[20:21], v[8:9], 2, s[8:9]
	v_add_u32_e32 v8, -4, v6
	v_lshl_add_u64 v[24:25], v[8:9], 2, s[8:9]
	v_add_u32_e32 v8, -3, v6
	global_load_dword v28, v[20:21], off
	global_load_dword v29, v[24:25], off
	v_lshl_add_u64 v[20:21], v[8:9], 2, s[8:9]
	v_add_u32_e32 v8, -2, v6
	v_lshl_add_u64 v[24:25], v[8:9], 2, s[8:9]
	v_add_u32_e32 v8, -1, v6
	global_load_dword v11, v[20:21], off
	v_lshl_add_u64 v[30:31], v[8:9], 2, s[8:9]
	v_add_u32_e32 v10, 64, v10
	v_cmp_ge_i32_e32 vcc, v10, v13
	s_or_b64 s[18:19], vcc, s[18:19]
	v_add_u32_e32 v6, 0x300, v6
	s_waitcnt vmcnt(6)
	v_subrev_u32_e32 v1, s16, v1
	v_lshlrev_b32_e32 v18, 2, v1
	v_lshl_add_u64 v[32:33], v[18:19], 2, s[10:11]
	global_load_dwordx4 v[18:21], v[32:33], off
	global_load_dword v34, v[24:25], off
	global_load_dword v35, v[30:31], off
	;; [unrolled: 1-line block ×3, first 2 shown]
	s_waitcnt vmcnt(9)
	v_mov_b32_e32 v26, v17
	s_waitcnt vmcnt(3)
	v_fmac_f32_e32 v12, v16, v18
	v_pk_fma_f32 v[4:5], v[14:15], v[18:19], v[4:5] op_sel_hi:[1,0,1]
	v_fmac_f32_e32 v12, v7, v19
	v_pk_fma_f32 v[4:5], v[26:27], v[18:19], v[4:5] op_sel:[0,1,0]
	v_mov_b32_e32 v8, v21
	v_pk_fma_f32 v[4:5], v[28:29], v[20:21], v[4:5] op_sel_hi:[1,0,1]
	v_fmac_f32_e32 v12, v11, v20
	s_waitcnt vmcnt(1)
	v_pk_fma_f32 v[4:5], v[34:35], v[8:9], v[4:5] op_sel_hi:[1,0,1]
	s_waitcnt vmcnt(0)
	v_fmac_f32_e32 v12, v1, v21
	s_andn2_b64 exec, exec, s[18:19]
	s_cbranch_execnz .LBB14_9
; %bb.10:
	s_or_b64 exec, exec, s[18:19]
.LBB14_11:
	s_or_b64 exec, exec, s[4:5]
	s_cbranch_execz .LBB14_13
	s_branch .LBB14_18
.LBB14_12:
                                        ; implicit-def: $vgpr5
                                        ; implicit-def: $vgpr12
.LBB14_13:
	v_mov_b32_e32 v5, 0
	v_mov_b32_e32 v4, v5
	;; [unrolled: 1-line block ×3, first 2 shown]
	s_and_saveexec_b64 s[4:5], s[2:3]
	s_cbranch_execz .LBB14_17
; %bb.14:
	v_mad_u64_u32 v[6:7], s[2:3], v0, 12, 11
	v_mov_b32_e32 v9, 0
	s_mov_b64 s[2:3], 0
	v_mov_b32_e32 v12, 0
	v_mov_b32_e32 v4, v9
	;; [unrolled: 1-line block ×3, first 2 shown]
.LBB14_15:                              ; =>This Inner Loop Header: Depth=1
	v_ashrrev_i32_e32 v1, 31, v0
	v_lshl_add_u64 v[10:11], v[0:1], 2, s[6:7]
	global_load_dword v1, v[10:11], off
	v_add_u32_e32 v8, -11, v6
	v_add_u32_e32 v10, -7, v6
	v_add_u32_e32 v14, -3, v6
	v_mov_b32_e32 v11, v9
	v_mov_b32_e32 v15, v9
	v_lshl_add_u64 v[16:17], v[8:9], 2, s[8:9]
	v_add_u32_e32 v8, -6, v6
	v_mov_b32_e32 v7, v9
	v_lshl_add_u64 v[10:11], v[10:11], 2, s[8:9]
	v_lshl_add_u64 v[20:21], v[14:15], 2, s[8:9]
	global_load_dwordx4 v[14:17], v[16:17], off
	v_lshl_add_u64 v[24:25], v[8:9], 2, s[8:9]
	v_add_u32_e32 v8, -2, v6
	v_lshl_add_u64 v[22:23], v[6:7], 2, s[8:9]
	global_load_dword v27, v[10:11], off
	global_load_dword v7, v[20:21], off
	v_lshl_add_u64 v[10:11], v[8:9], 2, s[8:9]
	v_add_u32_e32 v8, -5, v6
	v_mov_b32_e32 v19, v9
	global_load_dword v25, v[24:25], off
	v_lshl_add_u64 v[20:21], v[8:9], 2, s[8:9]
	global_load_dword v29, v[20:21], off
	v_add_u32_e32 v8, -1, v6
	global_load_dword v36, v[10:11], off
	v_lshl_add_u64 v[10:11], v[8:9], 2, s[8:9]
	v_add_u32_e32 v8, -4, v6
	v_lshl_add_u64 v[30:31], v[8:9], 2, s[8:9]
	v_add_u32_e32 v0, 64, v0
	v_cmp_ge_i32_e32 vcc, v0, v13
	s_or_b64 s[2:3], vcc, s[2:3]
	v_add_u32_e32 v6, 0x300, v6
	s_waitcnt vmcnt(6)
	v_subrev_u32_e32 v1, s16, v1
	v_lshlrev_b32_e32 v18, 2, v1
	v_lshl_add_u64 v[32:33], v[18:19], 2, s[10:11]
	global_load_dwordx4 v[18:21], v[32:33], off
	global_load_dword v1, v[10:11], off
	global_load_dword v35, v[30:31], off
	;; [unrolled: 1-line block ×3, first 2 shown]
	s_waitcnt vmcnt(9)
	v_mov_b32_e32 v26, v14
	v_mov_b32_e32 v24, v15
	;; [unrolled: 1-line block ×4, first 2 shown]
	s_waitcnt vmcnt(3)
	v_fmac_f32_e32 v12, v7, v18
	v_pk_fma_f32 v[4:5], v[26:27], v[18:19], v[4:5] op_sel_hi:[1,0,1]
	v_fmac_f32_e32 v12, v36, v19
	v_pk_fma_f32 v[4:5], v[24:25], v[18:19], v[4:5] op_sel:[0,1,0]
	v_mov_b32_e32 v8, v21
	v_pk_fma_f32 v[4:5], v[28:29], v[20:21], v[4:5] op_sel_hi:[1,0,1]
	s_waitcnt vmcnt(2)
	v_fmac_f32_e32 v12, v1, v20
	s_waitcnt vmcnt(1)
	v_pk_fma_f32 v[4:5], v[34:35], v[8:9], v[4:5] op_sel_hi:[1,0,1]
	s_waitcnt vmcnt(0)
	v_fmac_f32_e32 v12, v37, v21
	s_andn2_b64 exec, exec, s[2:3]
	s_cbranch_execnz .LBB14_15
; %bb.16:
	s_or_b64 exec, exec, s[2:3]
.LBB14_17:
	s_or_b64 exec, exec, s[4:5]
.LBB14_18:
	v_mov_b32_dpp v0, v4 row_shr:1 row_mask:0xf bank_mask:0xf
	v_mov_b32_dpp v1, v5 row_shr:1 row_mask:0xf bank_mask:0xf
	;; [unrolled: 1-line block ×3, first 2 shown]
	v_pk_add_f32 v[0:1], v[4:5], v[0:1]
	v_add_f32_e32 v6, v12, v6
	v_cmp_eq_u32_e32 vcc, 63, v3
	v_mov_b32_dpp v4, v0 row_shr:2 row_mask:0xf bank_mask:0xf
	v_mov_b32_dpp v5, v1 row_shr:2 row_mask:0xf bank_mask:0xf
	v_mov_b32_dpp v7, v6 row_shr:2 row_mask:0xf bank_mask:0xf
	v_pk_add_f32 v[0:1], v[0:1], v[4:5]
	v_add_f32_e32 v6, v6, v7
	s_nop 0
	v_mov_b32_dpp v4, v0 row_shr:4 row_mask:0xf bank_mask:0xe
	v_mov_b32_dpp v5, v1 row_shr:4 row_mask:0xf bank_mask:0xe
	v_mov_b32_dpp v7, v6 row_shr:4 row_mask:0xf bank_mask:0xe
	v_pk_add_f32 v[0:1], v[0:1], v[4:5]
	v_add_f32_e32 v6, v6, v7
	s_nop 0
	;; [unrolled: 6-line block ×3, first 2 shown]
	v_mov_b32_dpp v4, v0 row_bcast:15 row_mask:0xa bank_mask:0xf
	v_mov_b32_dpp v5, v1 row_bcast:15 row_mask:0xa bank_mask:0xf
	;; [unrolled: 1-line block ×3, first 2 shown]
	v_pk_add_f32 v[0:1], v[0:1], v[4:5]
	v_add_f32_e32 v6, v6, v7
	s_nop 0
	v_mov_b32_dpp v4, v0 row_bcast:31 row_mask:0xc bank_mask:0xf
	v_mov_b32_dpp v5, v1 row_bcast:31 row_mask:0xc bank_mask:0xf
	;; [unrolled: 1-line block ×3, first 2 shown]
	s_and_b64 exec, exec, vcc
	s_cbranch_execz .LBB14_22
; %bb.19:
	s_load_dwordx2 s[0:1], s[0:1], 0x38
	v_pk_add_f32 v[4:5], v[0:1], v[4:5]
	v_add_f32_e32 v0, v6, v7
	v_cmp_eq_f32_e64 s[2:3], s12, 0
	v_lshl_add_u32 v6, v2, 1, v2
	s_and_b64 vcc, exec, s[2:3]
	v_mul_f32_e32 v2, s14, v0
	v_ashrrev_i32_e32 v7, 31, v6
	s_cbranch_vccz .LBB14_23
; %bb.20:
	s_waitcnt lgkmcnt(0)
	v_lshl_add_u64 v[8:9], v[6:7], 2, s[0:1]
	v_pk_mul_f32 v[0:1], s[14:15], v[4:5] op_sel_hi:[0,1]
	global_store_dwordx3 v[8:9], v[0:2], off
	s_cbranch_execnz .LBB14_22
.LBB14_21:
	s_waitcnt lgkmcnt(0)
	v_lshl_add_u64 v[10:11], v[6:7], 2, s[0:1]
	global_load_dwordx3 v[6:8], v[10:11], off
	v_pk_mul_f32 v[0:1], s[14:15], v[4:5] op_sel_hi:[0,1]
	s_waitcnt vmcnt(0)
	v_pk_fma_f32 v[0:1], s[12:13], v[6:7], v[0:1] op_sel_hi:[0,1,1]
	v_fmac_f32_e32 v2, s12, v8
	global_store_dwordx3 v[10:11], v[0:2], off
.LBB14_22:
	s_endpgm
.LBB14_23:
	s_branch .LBB14_21
	.section	.rodata,"a",@progbits
	.p2align	6, 0x0
	.amdhsa_kernel _ZN9rocsparseL19gebsrmvn_3xn_kernelILj128ELj4ELj64EfEEvi20rocsparse_direction_NS_24const_host_device_scalarIT2_EEPKiS6_PKS3_S8_S4_PS3_21rocsparse_index_base_b
		.amdhsa_group_segment_fixed_size 0
		.amdhsa_private_segment_fixed_size 0
		.amdhsa_kernarg_size 72
		.amdhsa_user_sgpr_count 2
		.amdhsa_user_sgpr_dispatch_ptr 0
		.amdhsa_user_sgpr_queue_ptr 0
		.amdhsa_user_sgpr_kernarg_segment_ptr 1
		.amdhsa_user_sgpr_dispatch_id 0
		.amdhsa_user_sgpr_kernarg_preload_length 0
		.amdhsa_user_sgpr_kernarg_preload_offset 0
		.amdhsa_user_sgpr_private_segment_size 0
		.amdhsa_uses_dynamic_stack 0
		.amdhsa_enable_private_segment 0
		.amdhsa_system_sgpr_workgroup_id_x 1
		.amdhsa_system_sgpr_workgroup_id_y 0
		.amdhsa_system_sgpr_workgroup_id_z 0
		.amdhsa_system_sgpr_workgroup_info 0
		.amdhsa_system_vgpr_workitem_id 0
		.amdhsa_next_free_vgpr 38
		.amdhsa_next_free_sgpr 20
		.amdhsa_accum_offset 40
		.amdhsa_reserve_vcc 1
		.amdhsa_float_round_mode_32 0
		.amdhsa_float_round_mode_16_64 0
		.amdhsa_float_denorm_mode_32 3
		.amdhsa_float_denorm_mode_16_64 3
		.amdhsa_dx10_clamp 1
		.amdhsa_ieee_mode 1
		.amdhsa_fp16_overflow 0
		.amdhsa_tg_split 0
		.amdhsa_exception_fp_ieee_invalid_op 0
		.amdhsa_exception_fp_denorm_src 0
		.amdhsa_exception_fp_ieee_div_zero 0
		.amdhsa_exception_fp_ieee_overflow 0
		.amdhsa_exception_fp_ieee_underflow 0
		.amdhsa_exception_fp_ieee_inexact 0
		.amdhsa_exception_int_div_zero 0
	.end_amdhsa_kernel
	.section	.text._ZN9rocsparseL19gebsrmvn_3xn_kernelILj128ELj4ELj64EfEEvi20rocsparse_direction_NS_24const_host_device_scalarIT2_EEPKiS6_PKS3_S8_S4_PS3_21rocsparse_index_base_b,"axG",@progbits,_ZN9rocsparseL19gebsrmvn_3xn_kernelILj128ELj4ELj64EfEEvi20rocsparse_direction_NS_24const_host_device_scalarIT2_EEPKiS6_PKS3_S8_S4_PS3_21rocsparse_index_base_b,comdat
.Lfunc_end14:
	.size	_ZN9rocsparseL19gebsrmvn_3xn_kernelILj128ELj4ELj64EfEEvi20rocsparse_direction_NS_24const_host_device_scalarIT2_EEPKiS6_PKS3_S8_S4_PS3_21rocsparse_index_base_b, .Lfunc_end14-_ZN9rocsparseL19gebsrmvn_3xn_kernelILj128ELj4ELj64EfEEvi20rocsparse_direction_NS_24const_host_device_scalarIT2_EEPKiS6_PKS3_S8_S4_PS3_21rocsparse_index_base_b
                                        ; -- End function
	.section	.AMDGPU.csdata,"",@progbits
; Kernel info:
; codeLenInByte = 1396
; NumSgprs: 26
; NumVgprs: 38
; NumAgprs: 0
; TotalNumVgprs: 38
; ScratchSize: 0
; MemoryBound: 0
; FloatMode: 240
; IeeeMode: 1
; LDSByteSize: 0 bytes/workgroup (compile time only)
; SGPRBlocks: 3
; VGPRBlocks: 4
; NumSGPRsForWavesPerEU: 26
; NumVGPRsForWavesPerEU: 38
; AccumOffset: 40
; Occupancy: 8
; WaveLimiterHint : 1
; COMPUTE_PGM_RSRC2:SCRATCH_EN: 0
; COMPUTE_PGM_RSRC2:USER_SGPR: 2
; COMPUTE_PGM_RSRC2:TRAP_HANDLER: 0
; COMPUTE_PGM_RSRC2:TGID_X_EN: 1
; COMPUTE_PGM_RSRC2:TGID_Y_EN: 0
; COMPUTE_PGM_RSRC2:TGID_Z_EN: 0
; COMPUTE_PGM_RSRC2:TIDIG_COMP_CNT: 0
; COMPUTE_PGM_RSRC3_GFX90A:ACCUM_OFFSET: 9
; COMPUTE_PGM_RSRC3_GFX90A:TG_SPLIT: 0
	.section	.text._ZN9rocsparseL19gebsrmvn_3xn_kernelILj128ELj5ELj4EfEEvi20rocsparse_direction_NS_24const_host_device_scalarIT2_EEPKiS6_PKS3_S8_S4_PS3_21rocsparse_index_base_b,"axG",@progbits,_ZN9rocsparseL19gebsrmvn_3xn_kernelILj128ELj5ELj4EfEEvi20rocsparse_direction_NS_24const_host_device_scalarIT2_EEPKiS6_PKS3_S8_S4_PS3_21rocsparse_index_base_b,comdat
	.globl	_ZN9rocsparseL19gebsrmvn_3xn_kernelILj128ELj5ELj4EfEEvi20rocsparse_direction_NS_24const_host_device_scalarIT2_EEPKiS6_PKS3_S8_S4_PS3_21rocsparse_index_base_b ; -- Begin function _ZN9rocsparseL19gebsrmvn_3xn_kernelILj128ELj5ELj4EfEEvi20rocsparse_direction_NS_24const_host_device_scalarIT2_EEPKiS6_PKS3_S8_S4_PS3_21rocsparse_index_base_b
	.p2align	8
	.type	_ZN9rocsparseL19gebsrmvn_3xn_kernelILj128ELj5ELj4EfEEvi20rocsparse_direction_NS_24const_host_device_scalarIT2_EEPKiS6_PKS3_S8_S4_PS3_21rocsparse_index_base_b,@function
_ZN9rocsparseL19gebsrmvn_3xn_kernelILj128ELj5ELj4EfEEvi20rocsparse_direction_NS_24const_host_device_scalarIT2_EEPKiS6_PKS3_S8_S4_PS3_21rocsparse_index_base_b: ; @_ZN9rocsparseL19gebsrmvn_3xn_kernelILj128ELj5ELj4EfEEvi20rocsparse_direction_NS_24const_host_device_scalarIT2_EEPKiS6_PKS3_S8_S4_PS3_21rocsparse_index_base_b
; %bb.0:
	s_load_dwordx2 s[16:17], s[0:1], 0x40
	s_load_dwordx2 s[14:15], s[0:1], 0x8
	;; [unrolled: 1-line block ×3, first 2 shown]
	s_waitcnt lgkmcnt(0)
	s_bitcmp1_b32 s17, 0
	s_cselect_b64 s[6:7], -1, 0
	s_xor_b64 s[4:5], s[6:7], -1
	s_and_b64 vcc, exec, s[6:7]
	s_cbranch_vccnz .LBB15_2
; %bb.1:
	s_load_dword s14, s[14:15], 0x0
.LBB15_2:
	s_andn2_b64 vcc, exec, s[4:5]
	s_cbranch_vccnz .LBB15_4
; %bb.3:
	s_load_dword s12, s[12:13], 0x0
.LBB15_4:
	s_waitcnt lgkmcnt(0)
	v_cmp_eq_f32_e64 s[4:5], s14, 0
	v_cmp_eq_f32_e64 s[6:7], s12, 1.0
	s_and_b64 s[4:5], s[4:5], s[6:7]
	s_and_b64 vcc, exec, s[4:5]
	s_cbranch_vccnz .LBB15_22
; %bb.5:
	s_load_dwordx2 s[18:19], s[0:1], 0x0
	v_lshrrev_b32_e32 v1, 2, v0
	v_lshl_or_b32 v2, s2, 5, v1
	s_waitcnt lgkmcnt(0)
	v_cmp_gt_i32_e32 vcc, s18, v2
	s_and_saveexec_b64 s[2:3], vcc
	s_cbranch_execz .LBB15_22
; %bb.6:
	s_load_dwordx8 s[4:11], s[0:1], 0x10
	v_ashrrev_i32_e32 v3, 31, v2
	s_cmp_lg_u32 s19, 0
	s_waitcnt lgkmcnt(0)
	v_lshl_add_u64 v[4:5], v[2:3], 2, s[4:5]
	global_load_dwordx2 v[4:5], v[4:5], off
	v_and_b32_e32 v3, 3, v0
	s_waitcnt vmcnt(0)
	v_subrev_u32_e32 v0, s16, v4
	v_subrev_u32_e32 v12, s16, v5
	v_add_u32_e32 v0, v0, v3
	v_cmp_lt_i32_e64 s[2:3], v0, v12
	s_cbranch_scc0 .LBB15_12
; %bb.7:
	v_mov_b32_e32 v5, 0
	v_mov_b32_e32 v4, v5
	;; [unrolled: 1-line block ×3, first 2 shown]
	s_and_saveexec_b64 s[4:5], s[2:3]
	s_cbranch_execz .LBB15_11
; %bb.8:
	v_mad_u64_u32 v[6:7], s[18:19], v0, 15, 14
	v_mov_b32_e32 v9, 0
	s_mov_b64 s[18:19], 0
	v_mov_b32_e32 v10, v0
	v_mov_b32_e32 v13, 0
	;; [unrolled: 1-line block ×4, first 2 shown]
.LBB15_9:                               ; =>This Inner Loop Header: Depth=1
	v_ashrrev_i32_e32 v11, 31, v10
	v_lshl_add_u64 v[14:15], v[10:11], 2, s[6:7]
	global_load_dword v1, v[14:15], off
	v_add_u32_e32 v8, -14, v6
	v_lshl_add_u64 v[16:17], v[8:9], 2, s[8:9]
	v_add_u32_e32 v8, -13, v6
	v_lshl_add_u64 v[20:21], v[8:9], 2, s[8:9]
	;; [unrolled: 2-line block ×3, first 2 shown]
	v_add_u32_e32 v8, -11, v6
	v_mov_b32_e32 v7, v9
	global_load_dword v16, v[16:17], off
	v_lshl_add_u64 v[18:19], v[6:7], 2, s[8:9]
	global_load_dword v17, v[20:21], off
	v_lshl_add_u64 v[20:21], v[8:9], 2, s[8:9]
	global_load_dword v7, v[22:23], off
	global_load_dword v24, v[20:21], off
	v_mov_b32_e32 v15, v9
	v_add_u32_e32 v10, 4, v10
	v_cmp_ge_i32_e32 vcc, v10, v12
	s_or_b64 s[18:19], vcc, s[18:19]
	s_waitcnt vmcnt(4)
	v_subrev_u32_e32 v1, s16, v1
	v_lshl_add_u32 v14, v1, 2, v1
	v_add_u32_e32 v8, 1, v14
	v_lshl_add_u64 v[22:23], v[8:9], 2, s[10:11]
	v_add_u32_e32 v8, -10, v6
	v_lshl_add_u64 v[26:27], v[8:9], 2, s[8:9]
	v_add_u32_e32 v8, -9, v6
	;; [unrolled: 2-line block ×3, first 2 shown]
	v_lshl_add_u64 v[20:21], v[14:15], 2, s[10:11]
	global_load_dword v25, v[26:27], off
	v_lshl_add_u64 v[26:27], v[8:9], 2, s[8:9]
	v_add_u32_e32 v8, 2, v14
	global_load_dword v20, v[20:21], off
	s_nop 0
	global_load_dword v22, v[22:23], off
	s_nop 0
	global_load_dword v1, v[28:29], off
	global_load_dword v30, v[26:27], off
	v_lshl_add_u64 v[26:27], v[8:9], 2, s[10:11]
	v_add_u32_e32 v8, -7, v6
	v_lshl_add_u64 v[28:29], v[8:9], 2, s[8:9]
	v_add_u32_e32 v8, -6, v6
	;; [unrolled: 2-line block ×3, first 2 shown]
	global_load_dword v31, v[28:29], off
	v_lshl_add_u64 v[28:29], v[8:9], 2, s[8:9]
	v_add_u32_e32 v8, 3, v14
	global_load_dword v26, v[26:27], off
	s_nop 0
	global_load_dword v11, v[32:33], off
	global_load_dword v34, v[28:29], off
	v_lshl_add_u64 v[28:29], v[8:9], 2, s[10:11]
	v_add_u32_e32 v8, -4, v6
	v_lshl_add_u64 v[32:33], v[8:9], 2, s[8:9]
	v_add_u32_e32 v8, -3, v6
	;; [unrolled: 2-line block ×3, first 2 shown]
	global_load_dword v28, v[28:29], off
	s_waitcnt vmcnt(8)
	v_fmac_f32_e32 v13, v7, v20
	global_load_dword v35, v[32:33], off
	v_lshl_add_u64 v[32:33], v[8:9], 2, s[8:9]
	v_add_u32_e32 v8, 4, v14
	global_load_dword v21, v[36:37], off
	global_load_dword v14, v[32:33], off
	v_lshl_add_u64 v[32:33], v[8:9], 2, s[10:11]
	v_add_u32_e32 v8, -1, v6
	v_lshl_add_u64 v[36:37], v[8:9], 2, s[8:9]
	global_load_dword v32, v[32:33], off
	s_nop 0
	global_load_dword v15, v[36:37], off
	global_load_dword v8, v[18:19], off
	s_waitcnt vmcnt(12)
	v_fmac_f32_e32 v13, v1, v22
	v_add_u32_e32 v6, 60, v6
	s_waitcnt vmcnt(8)
	v_fmac_f32_e32 v13, v11, v26
	s_waitcnt vmcnt(4)
	v_pk_fma_f32 v[4:5], v[16:17], v[20:21], v[4:5] op_sel_hi:[1,0,1]
	s_nop 0
	v_pk_fma_f32 v[4:5], v[24:25], v[22:23], v[4:5] op_sel_hi:[1,0,1]
	v_fmac_f32_e32 v13, v21, v28
	v_pk_fma_f32 v[4:5], v[30:31], v[26:27], v[4:5] op_sel_hi:[1,0,1]
	s_waitcnt vmcnt(0)
	v_fmac_f32_e32 v13, v8, v32
	v_pk_fma_f32 v[4:5], v[34:35], v[28:29], v[4:5] op_sel_hi:[1,0,1]
	s_nop 0
	v_pk_fma_f32 v[4:5], v[14:15], v[32:33], v[4:5] op_sel_hi:[1,0,1]
	s_andn2_b64 exec, exec, s[18:19]
	s_cbranch_execnz .LBB15_9
; %bb.10:
	s_or_b64 exec, exec, s[18:19]
.LBB15_11:
	s_or_b64 exec, exec, s[4:5]
	s_cbranch_execz .LBB15_13
	s_branch .LBB15_18
.LBB15_12:
                                        ; implicit-def: $vgpr5
                                        ; implicit-def: $vgpr13
.LBB15_13:
	v_mov_b32_e32 v5, 0
	v_mov_b32_e32 v4, v5
	;; [unrolled: 1-line block ×3, first 2 shown]
	s_and_saveexec_b64 s[4:5], s[2:3]
	s_cbranch_execz .LBB15_17
; %bb.14:
	v_mad_u64_u32 v[6:7], s[2:3], v0, 15, 14
	v_mov_b32_e32 v9, 0
	s_mov_b64 s[2:3], 0
	v_mov_b32_e32 v13, 0
	v_mov_b32_e32 v4, v9
	;; [unrolled: 1-line block ×3, first 2 shown]
.LBB15_15:                              ; =>This Inner Loop Header: Depth=1
	v_ashrrev_i32_e32 v1, 31, v0
	v_lshl_add_u64 v[10:11], v[0:1], 2, s[6:7]
	global_load_dword v1, v[10:11], off
	v_add_u32_e32 v8, -14, v6
	v_add_u32_e32 v10, -9, v6
	;; [unrolled: 1-line block ×3, first 2 shown]
	v_mov_b32_e32 v11, v9
	v_mov_b32_e32 v15, v9
	v_lshl_add_u64 v[18:19], v[8:9], 2, s[8:9]
	v_add_u32_e32 v8, -13, v6
	v_mov_b32_e32 v7, v9
	v_lshl_add_u64 v[10:11], v[10:11], 2, s[8:9]
	v_lshl_add_u64 v[14:15], v[14:15], 2, s[8:9]
	;; [unrolled: 1-line block ×4, first 2 shown]
	global_load_dword v18, v[18:19], off
	s_nop 0
	global_load_dword v19, v[10:11], off
	global_load_dword v7, v[14:15], off
	;; [unrolled: 1-line block ×3, first 2 shown]
	v_mov_b32_e32 v17, v9
	v_add_u32_e32 v0, 4, v0
	v_cmp_ge_i32_e32 vcc, v0, v12
	s_or_b64 s[2:3], vcc, s[2:3]
	s_waitcnt vmcnt(4)
	v_subrev_u32_e32 v1, s16, v1
	v_lshl_add_u32 v16, v1, 2, v1
	v_add_u32_e32 v8, 1, v16
	v_lshl_add_u64 v[14:15], v[8:9], 2, s[10:11]
	v_add_u32_e32 v8, -8, v6
	v_lshl_add_u64 v[22:23], v[8:9], 2, s[8:9]
	v_add_u32_e32 v8, -3, v6
	;; [unrolled: 2-line block ×3, first 2 shown]
	v_lshl_add_u64 v[10:11], v[16:17], 2, s[10:11]
	global_load_dword v25, v[22:23], off
	v_lshl_add_u64 v[22:23], v[8:9], 2, s[8:9]
	v_add_u32_e32 v8, 2, v16
	global_load_dword v10, v[10:11], off
	s_nop 0
	global_load_dword v14, v[14:15], off
	s_nop 0
	global_load_dword v1, v[26:27], off
	global_load_dword v28, v[22:23], off
	v_lshl_add_u64 v[22:23], v[8:9], 2, s[10:11]
	v_add_u32_e32 v8, -7, v6
	v_lshl_add_u64 v[26:27], v[8:9], 2, s[8:9]
	v_add_u32_e32 v8, -2, v6
	;; [unrolled: 2-line block ×3, first 2 shown]
	global_load_dword v29, v[26:27], off
	v_lshl_add_u64 v[26:27], v[8:9], 2, s[8:9]
	v_add_u32_e32 v8, 3, v16
	global_load_dword v22, v[22:23], off
	s_nop 0
	global_load_dword v11, v[30:31], off
	global_load_dword v32, v[26:27], off
	v_lshl_add_u64 v[26:27], v[8:9], 2, s[10:11]
	v_add_u32_e32 v8, -6, v6
	v_lshl_add_u64 v[30:31], v[8:9], 2, s[8:9]
	v_add_u32_e32 v8, -1, v6
	;; [unrolled: 2-line block ×3, first 2 shown]
	global_load_dword v33, v[30:31], off
	v_lshl_add_u64 v[30:31], v[8:9], 2, s[8:9]
	v_add_u32_e32 v8, 4, v16
	global_load_dword v26, v[26:27], off
	s_nop 0
	global_load_dword v15, v[34:35], off
	global_load_dword v16, v[30:31], off
	v_lshl_add_u64 v[30:31], v[8:9], 2, s[10:11]
	v_add_u32_e32 v8, -5, v6
	v_lshl_add_u64 v[34:35], v[8:9], 2, s[8:9]
	global_load_dword v30, v[30:31], off
	s_nop 0
	global_load_dword v17, v[34:35], off
	global_load_dword v8, v[20:21], off
	v_add_u32_e32 v6, 60, v6
	s_waitcnt vmcnt(14)
	v_fmac_f32_e32 v13, v7, v10
	s_waitcnt vmcnt(12)
	v_fmac_f32_e32 v13, v1, v14
	s_waitcnt vmcnt(8)
	v_pk_fma_f32 v[4:5], v[18:19], v[10:11], v[4:5] op_sel_hi:[1,0,1]
	v_fmac_f32_e32 v13, v11, v22
	s_waitcnt vmcnt(4)
	v_pk_fma_f32 v[4:5], v[24:25], v[14:15], v[4:5] op_sel_hi:[1,0,1]
	s_nop 0
	v_pk_fma_f32 v[4:5], v[28:29], v[22:23], v[4:5] op_sel_hi:[1,0,1]
	v_fmac_f32_e32 v13, v15, v26
	v_pk_fma_f32 v[4:5], v[32:33], v[26:27], v[4:5] op_sel_hi:[1,0,1]
	s_waitcnt vmcnt(0)
	v_fmac_f32_e32 v13, v8, v30
	v_pk_fma_f32 v[4:5], v[16:17], v[30:31], v[4:5] op_sel_hi:[1,0,1]
	s_andn2_b64 exec, exec, s[2:3]
	s_cbranch_execnz .LBB15_15
; %bb.16:
	s_or_b64 exec, exec, s[2:3]
.LBB15_17:
	s_or_b64 exec, exec, s[4:5]
.LBB15_18:
	v_mov_b32_dpp v0, v4 row_shr:1 row_mask:0xf bank_mask:0xf
	v_mov_b32_dpp v1, v5 row_shr:1 row_mask:0xf bank_mask:0xf
	v_mov_b32_dpp v6, v13 row_shr:1 row_mask:0xf bank_mask:0xf
	v_pk_add_f32 v[0:1], v[4:5], v[0:1]
	v_add_f32_e32 v6, v13, v6
	v_cmp_eq_u32_e32 vcc, 3, v3
	v_mov_b32_dpp v4, v0 row_shr:2 row_mask:0xf bank_mask:0xf
	v_mov_b32_dpp v5, v1 row_shr:2 row_mask:0xf bank_mask:0xf
	;; [unrolled: 1-line block ×3, first 2 shown]
	s_and_b64 exec, exec, vcc
	s_cbranch_execz .LBB15_22
; %bb.19:
	s_load_dwordx2 s[0:1], s[0:1], 0x38
	v_pk_add_f32 v[4:5], v[0:1], v[4:5]
	v_add_f32_e32 v0, v6, v7
	v_cmp_eq_f32_e64 s[2:3], s12, 0
	v_lshl_add_u32 v6, v2, 1, v2
	s_and_b64 vcc, exec, s[2:3]
	v_mul_f32_e32 v2, s14, v0
	v_ashrrev_i32_e32 v7, 31, v6
	s_cbranch_vccz .LBB15_23
; %bb.20:
	s_waitcnt lgkmcnt(0)
	v_lshl_add_u64 v[8:9], v[6:7], 2, s[0:1]
	v_pk_mul_f32 v[0:1], s[14:15], v[4:5] op_sel_hi:[0,1]
	global_store_dwordx3 v[8:9], v[0:2], off
	s_cbranch_execnz .LBB15_22
.LBB15_21:
	s_waitcnt lgkmcnt(0)
	v_lshl_add_u64 v[10:11], v[6:7], 2, s[0:1]
	global_load_dwordx3 v[6:8], v[10:11], off
	v_pk_mul_f32 v[0:1], s[14:15], v[4:5] op_sel_hi:[0,1]
	s_waitcnt vmcnt(0)
	v_pk_fma_f32 v[0:1], s[12:13], v[6:7], v[0:1] op_sel_hi:[0,1,1]
	v_fmac_f32_e32 v2, s12, v8
	global_store_dwordx3 v[10:11], v[0:2], off
.LBB15_22:
	s_endpgm
.LBB15_23:
	s_branch .LBB15_21
	.section	.rodata,"a",@progbits
	.p2align	6, 0x0
	.amdhsa_kernel _ZN9rocsparseL19gebsrmvn_3xn_kernelILj128ELj5ELj4EfEEvi20rocsparse_direction_NS_24const_host_device_scalarIT2_EEPKiS6_PKS3_S8_S4_PS3_21rocsparse_index_base_b
		.amdhsa_group_segment_fixed_size 0
		.amdhsa_private_segment_fixed_size 0
		.amdhsa_kernarg_size 72
		.amdhsa_user_sgpr_count 2
		.amdhsa_user_sgpr_dispatch_ptr 0
		.amdhsa_user_sgpr_queue_ptr 0
		.amdhsa_user_sgpr_kernarg_segment_ptr 1
		.amdhsa_user_sgpr_dispatch_id 0
		.amdhsa_user_sgpr_kernarg_preload_length 0
		.amdhsa_user_sgpr_kernarg_preload_offset 0
		.amdhsa_user_sgpr_private_segment_size 0
		.amdhsa_uses_dynamic_stack 0
		.amdhsa_enable_private_segment 0
		.amdhsa_system_sgpr_workgroup_id_x 1
		.amdhsa_system_sgpr_workgroup_id_y 0
		.amdhsa_system_sgpr_workgroup_id_z 0
		.amdhsa_system_sgpr_workgroup_info 0
		.amdhsa_system_vgpr_workitem_id 0
		.amdhsa_next_free_vgpr 38
		.amdhsa_next_free_sgpr 20
		.amdhsa_accum_offset 40
		.amdhsa_reserve_vcc 1
		.amdhsa_float_round_mode_32 0
		.amdhsa_float_round_mode_16_64 0
		.amdhsa_float_denorm_mode_32 3
		.amdhsa_float_denorm_mode_16_64 3
		.amdhsa_dx10_clamp 1
		.amdhsa_ieee_mode 1
		.amdhsa_fp16_overflow 0
		.amdhsa_tg_split 0
		.amdhsa_exception_fp_ieee_invalid_op 0
		.amdhsa_exception_fp_denorm_src 0
		.amdhsa_exception_fp_ieee_div_zero 0
		.amdhsa_exception_fp_ieee_overflow 0
		.amdhsa_exception_fp_ieee_underflow 0
		.amdhsa_exception_fp_ieee_inexact 0
		.amdhsa_exception_int_div_zero 0
	.end_amdhsa_kernel
	.section	.text._ZN9rocsparseL19gebsrmvn_3xn_kernelILj128ELj5ELj4EfEEvi20rocsparse_direction_NS_24const_host_device_scalarIT2_EEPKiS6_PKS3_S8_S4_PS3_21rocsparse_index_base_b,"axG",@progbits,_ZN9rocsparseL19gebsrmvn_3xn_kernelILj128ELj5ELj4EfEEvi20rocsparse_direction_NS_24const_host_device_scalarIT2_EEPKiS6_PKS3_S8_S4_PS3_21rocsparse_index_base_b,comdat
.Lfunc_end15:
	.size	_ZN9rocsparseL19gebsrmvn_3xn_kernelILj128ELj5ELj4EfEEvi20rocsparse_direction_NS_24const_host_device_scalarIT2_EEPKiS6_PKS3_S8_S4_PS3_21rocsparse_index_base_b, .Lfunc_end15-_ZN9rocsparseL19gebsrmvn_3xn_kernelILj128ELj5ELj4EfEEvi20rocsparse_direction_NS_24const_host_device_scalarIT2_EEPKiS6_PKS3_S8_S4_PS3_21rocsparse_index_base_b
                                        ; -- End function
	.section	.AMDGPU.csdata,"",@progbits
; Kernel info:
; codeLenInByte = 1688
; NumSgprs: 26
; NumVgprs: 38
; NumAgprs: 0
; TotalNumVgprs: 38
; ScratchSize: 0
; MemoryBound: 0
; FloatMode: 240
; IeeeMode: 1
; LDSByteSize: 0 bytes/workgroup (compile time only)
; SGPRBlocks: 3
; VGPRBlocks: 4
; NumSGPRsForWavesPerEU: 26
; NumVGPRsForWavesPerEU: 38
; AccumOffset: 40
; Occupancy: 8
; WaveLimiterHint : 1
; COMPUTE_PGM_RSRC2:SCRATCH_EN: 0
; COMPUTE_PGM_RSRC2:USER_SGPR: 2
; COMPUTE_PGM_RSRC2:TRAP_HANDLER: 0
; COMPUTE_PGM_RSRC2:TGID_X_EN: 1
; COMPUTE_PGM_RSRC2:TGID_Y_EN: 0
; COMPUTE_PGM_RSRC2:TGID_Z_EN: 0
; COMPUTE_PGM_RSRC2:TIDIG_COMP_CNT: 0
; COMPUTE_PGM_RSRC3_GFX90A:ACCUM_OFFSET: 9
; COMPUTE_PGM_RSRC3_GFX90A:TG_SPLIT: 0
	.section	.text._ZN9rocsparseL19gebsrmvn_3xn_kernelILj128ELj5ELj8EfEEvi20rocsparse_direction_NS_24const_host_device_scalarIT2_EEPKiS6_PKS3_S8_S4_PS3_21rocsparse_index_base_b,"axG",@progbits,_ZN9rocsparseL19gebsrmvn_3xn_kernelILj128ELj5ELj8EfEEvi20rocsparse_direction_NS_24const_host_device_scalarIT2_EEPKiS6_PKS3_S8_S4_PS3_21rocsparse_index_base_b,comdat
	.globl	_ZN9rocsparseL19gebsrmvn_3xn_kernelILj128ELj5ELj8EfEEvi20rocsparse_direction_NS_24const_host_device_scalarIT2_EEPKiS6_PKS3_S8_S4_PS3_21rocsparse_index_base_b ; -- Begin function _ZN9rocsparseL19gebsrmvn_3xn_kernelILj128ELj5ELj8EfEEvi20rocsparse_direction_NS_24const_host_device_scalarIT2_EEPKiS6_PKS3_S8_S4_PS3_21rocsparse_index_base_b
	.p2align	8
	.type	_ZN9rocsparseL19gebsrmvn_3xn_kernelILj128ELj5ELj8EfEEvi20rocsparse_direction_NS_24const_host_device_scalarIT2_EEPKiS6_PKS3_S8_S4_PS3_21rocsparse_index_base_b,@function
_ZN9rocsparseL19gebsrmvn_3xn_kernelILj128ELj5ELj8EfEEvi20rocsparse_direction_NS_24const_host_device_scalarIT2_EEPKiS6_PKS3_S8_S4_PS3_21rocsparse_index_base_b: ; @_ZN9rocsparseL19gebsrmvn_3xn_kernelILj128ELj5ELj8EfEEvi20rocsparse_direction_NS_24const_host_device_scalarIT2_EEPKiS6_PKS3_S8_S4_PS3_21rocsparse_index_base_b
; %bb.0:
	s_load_dwordx2 s[16:17], s[0:1], 0x40
	s_load_dwordx2 s[14:15], s[0:1], 0x8
	;; [unrolled: 1-line block ×3, first 2 shown]
	s_waitcnt lgkmcnt(0)
	s_bitcmp1_b32 s17, 0
	s_cselect_b64 s[6:7], -1, 0
	s_xor_b64 s[4:5], s[6:7], -1
	s_and_b64 vcc, exec, s[6:7]
	s_cbranch_vccnz .LBB16_2
; %bb.1:
	s_load_dword s14, s[14:15], 0x0
.LBB16_2:
	s_andn2_b64 vcc, exec, s[4:5]
	s_cbranch_vccnz .LBB16_4
; %bb.3:
	s_load_dword s12, s[12:13], 0x0
.LBB16_4:
	s_waitcnt lgkmcnt(0)
	v_cmp_eq_f32_e64 s[4:5], s14, 0
	v_cmp_eq_f32_e64 s[6:7], s12, 1.0
	s_and_b64 s[4:5], s[4:5], s[6:7]
	s_and_b64 vcc, exec, s[4:5]
	s_cbranch_vccnz .LBB16_22
; %bb.5:
	s_load_dwordx2 s[18:19], s[0:1], 0x0
	v_lshrrev_b32_e32 v1, 3, v0
	v_lshl_or_b32 v2, s2, 4, v1
	s_waitcnt lgkmcnt(0)
	v_cmp_gt_i32_e32 vcc, s18, v2
	s_and_saveexec_b64 s[2:3], vcc
	s_cbranch_execz .LBB16_22
; %bb.6:
	s_load_dwordx8 s[4:11], s[0:1], 0x10
	v_ashrrev_i32_e32 v3, 31, v2
	s_cmp_lg_u32 s19, 0
	s_waitcnt lgkmcnt(0)
	v_lshl_add_u64 v[4:5], v[2:3], 2, s[4:5]
	global_load_dwordx2 v[4:5], v[4:5], off
	v_and_b32_e32 v3, 7, v0
	s_waitcnt vmcnt(0)
	v_subrev_u32_e32 v0, s16, v4
	v_subrev_u32_e32 v12, s16, v5
	v_add_u32_e32 v0, v0, v3
	v_cmp_lt_i32_e64 s[2:3], v0, v12
	s_cbranch_scc0 .LBB16_12
; %bb.7:
	v_mov_b32_e32 v5, 0
	v_mov_b32_e32 v4, v5
	;; [unrolled: 1-line block ×3, first 2 shown]
	s_and_saveexec_b64 s[4:5], s[2:3]
	s_cbranch_execz .LBB16_11
; %bb.8:
	v_mad_u64_u32 v[6:7], s[18:19], v0, 15, 14
	v_mov_b32_e32 v9, 0
	s_mov_b64 s[18:19], 0
	v_mov_b32_e32 v10, v0
	v_mov_b32_e32 v4, v9
	;; [unrolled: 1-line block ×4, first 2 shown]
.LBB16_9:                               ; =>This Inner Loop Header: Depth=1
	v_ashrrev_i32_e32 v11, 31, v10
	v_lshl_add_u64 v[14:15], v[10:11], 2, s[6:7]
	global_load_dword v1, v[14:15], off
	v_add_u32_e32 v8, -14, v6
	v_lshl_add_u64 v[16:17], v[8:9], 2, s[8:9]
	v_add_u32_e32 v8, -13, v6
	v_lshl_add_u64 v[20:21], v[8:9], 2, s[8:9]
	;; [unrolled: 2-line block ×3, first 2 shown]
	v_add_u32_e32 v8, -11, v6
	v_mov_b32_e32 v7, v9
	global_load_dword v16, v[16:17], off
	v_lshl_add_u64 v[18:19], v[6:7], 2, s[8:9]
	global_load_dword v17, v[20:21], off
	v_lshl_add_u64 v[20:21], v[8:9], 2, s[8:9]
	global_load_dword v7, v[22:23], off
	global_load_dword v24, v[20:21], off
	v_mov_b32_e32 v15, v9
	v_add_u32_e32 v10, 8, v10
	v_cmp_ge_i32_e32 vcc, v10, v12
	s_or_b64 s[18:19], vcc, s[18:19]
	s_waitcnt vmcnt(4)
	v_subrev_u32_e32 v1, s16, v1
	v_lshl_add_u32 v14, v1, 2, v1
	v_add_u32_e32 v8, 1, v14
	v_lshl_add_u64 v[22:23], v[8:9], 2, s[10:11]
	v_add_u32_e32 v8, -10, v6
	v_lshl_add_u64 v[26:27], v[8:9], 2, s[8:9]
	v_add_u32_e32 v8, -9, v6
	v_lshl_add_u64 v[28:29], v[8:9], 2, s[8:9]
	v_add_u32_e32 v8, -8, v6
	v_lshl_add_u64 v[20:21], v[14:15], 2, s[10:11]
	global_load_dword v25, v[26:27], off
	v_lshl_add_u64 v[26:27], v[8:9], 2, s[8:9]
	v_add_u32_e32 v8, 2, v14
	global_load_dword v20, v[20:21], off
	s_nop 0
	global_load_dword v22, v[22:23], off
	s_nop 0
	global_load_dword v1, v[28:29], off
	global_load_dword v30, v[26:27], off
	v_lshl_add_u64 v[26:27], v[8:9], 2, s[10:11]
	v_add_u32_e32 v8, -7, v6
	v_lshl_add_u64 v[28:29], v[8:9], 2, s[8:9]
	v_add_u32_e32 v8, -6, v6
	;; [unrolled: 2-line block ×3, first 2 shown]
	global_load_dword v31, v[28:29], off
	v_lshl_add_u64 v[28:29], v[8:9], 2, s[8:9]
	v_add_u32_e32 v8, 3, v14
	global_load_dword v26, v[26:27], off
	s_nop 0
	global_load_dword v11, v[32:33], off
	global_load_dword v34, v[28:29], off
	v_lshl_add_u64 v[28:29], v[8:9], 2, s[10:11]
	v_add_u32_e32 v8, -4, v6
	v_lshl_add_u64 v[32:33], v[8:9], 2, s[8:9]
	v_add_u32_e32 v8, -3, v6
	;; [unrolled: 2-line block ×3, first 2 shown]
	global_load_dword v28, v[28:29], off
	s_waitcnt vmcnt(8)
	v_fmac_f32_e32 v13, v7, v20
	global_load_dword v35, v[32:33], off
	v_lshl_add_u64 v[32:33], v[8:9], 2, s[8:9]
	v_add_u32_e32 v8, 4, v14
	global_load_dword v21, v[36:37], off
	global_load_dword v14, v[32:33], off
	v_lshl_add_u64 v[32:33], v[8:9], 2, s[10:11]
	v_add_u32_e32 v8, -1, v6
	v_lshl_add_u64 v[36:37], v[8:9], 2, s[8:9]
	global_load_dword v32, v[32:33], off
	s_nop 0
	global_load_dword v15, v[36:37], off
	global_load_dword v8, v[18:19], off
	s_waitcnt vmcnt(12)
	v_fmac_f32_e32 v13, v1, v22
	v_add_u32_e32 v6, 0x78, v6
	s_waitcnt vmcnt(8)
	v_fmac_f32_e32 v13, v11, v26
	s_waitcnt vmcnt(4)
	v_pk_fma_f32 v[4:5], v[16:17], v[20:21], v[4:5] op_sel_hi:[1,0,1]
	s_nop 0
	v_pk_fma_f32 v[4:5], v[24:25], v[22:23], v[4:5] op_sel_hi:[1,0,1]
	v_fmac_f32_e32 v13, v21, v28
	v_pk_fma_f32 v[4:5], v[30:31], v[26:27], v[4:5] op_sel_hi:[1,0,1]
	s_waitcnt vmcnt(0)
	v_fmac_f32_e32 v13, v8, v32
	v_pk_fma_f32 v[4:5], v[34:35], v[28:29], v[4:5] op_sel_hi:[1,0,1]
	s_nop 0
	v_pk_fma_f32 v[4:5], v[14:15], v[32:33], v[4:5] op_sel_hi:[1,0,1]
	s_andn2_b64 exec, exec, s[18:19]
	s_cbranch_execnz .LBB16_9
; %bb.10:
	s_or_b64 exec, exec, s[18:19]
.LBB16_11:
	s_or_b64 exec, exec, s[4:5]
	s_cbranch_execz .LBB16_13
	s_branch .LBB16_18
.LBB16_12:
                                        ; implicit-def: $vgpr5
                                        ; implicit-def: $vgpr13
.LBB16_13:
	v_mov_b32_e32 v5, 0
	v_mov_b32_e32 v4, v5
	;; [unrolled: 1-line block ×3, first 2 shown]
	s_and_saveexec_b64 s[4:5], s[2:3]
	s_cbranch_execz .LBB16_17
; %bb.14:
	v_mad_u64_u32 v[6:7], s[2:3], v0, 15, 14
	v_mov_b32_e32 v9, 0
	s_mov_b64 s[2:3], 0
	v_mov_b32_e32 v4, v9
	v_mov_b32_e32 v13, 0
	;; [unrolled: 1-line block ×3, first 2 shown]
.LBB16_15:                              ; =>This Inner Loop Header: Depth=1
	v_ashrrev_i32_e32 v1, 31, v0
	v_lshl_add_u64 v[10:11], v[0:1], 2, s[6:7]
	global_load_dword v1, v[10:11], off
	v_add_u32_e32 v8, -14, v6
	v_add_u32_e32 v10, -9, v6
	;; [unrolled: 1-line block ×3, first 2 shown]
	v_mov_b32_e32 v11, v9
	v_mov_b32_e32 v15, v9
	v_lshl_add_u64 v[18:19], v[8:9], 2, s[8:9]
	v_add_u32_e32 v8, -13, v6
	v_mov_b32_e32 v7, v9
	v_lshl_add_u64 v[10:11], v[10:11], 2, s[8:9]
	v_lshl_add_u64 v[14:15], v[14:15], 2, s[8:9]
	;; [unrolled: 1-line block ×4, first 2 shown]
	global_load_dword v18, v[18:19], off
	s_nop 0
	global_load_dword v19, v[10:11], off
	global_load_dword v7, v[14:15], off
	;; [unrolled: 1-line block ×3, first 2 shown]
	v_mov_b32_e32 v17, v9
	v_add_u32_e32 v0, 8, v0
	v_cmp_ge_i32_e32 vcc, v0, v12
	s_or_b64 s[2:3], vcc, s[2:3]
	s_waitcnt vmcnt(4)
	v_subrev_u32_e32 v1, s16, v1
	v_lshl_add_u32 v16, v1, 2, v1
	v_add_u32_e32 v8, 1, v16
	v_lshl_add_u64 v[14:15], v[8:9], 2, s[10:11]
	v_add_u32_e32 v8, -8, v6
	v_lshl_add_u64 v[22:23], v[8:9], 2, s[8:9]
	v_add_u32_e32 v8, -3, v6
	;; [unrolled: 2-line block ×3, first 2 shown]
	v_lshl_add_u64 v[10:11], v[16:17], 2, s[10:11]
	global_load_dword v25, v[22:23], off
	v_lshl_add_u64 v[22:23], v[8:9], 2, s[8:9]
	v_add_u32_e32 v8, 2, v16
	global_load_dword v10, v[10:11], off
	s_nop 0
	global_load_dword v14, v[14:15], off
	s_nop 0
	global_load_dword v1, v[26:27], off
	global_load_dword v28, v[22:23], off
	v_lshl_add_u64 v[22:23], v[8:9], 2, s[10:11]
	v_add_u32_e32 v8, -7, v6
	v_lshl_add_u64 v[26:27], v[8:9], 2, s[8:9]
	v_add_u32_e32 v8, -2, v6
	;; [unrolled: 2-line block ×3, first 2 shown]
	global_load_dword v29, v[26:27], off
	v_lshl_add_u64 v[26:27], v[8:9], 2, s[8:9]
	v_add_u32_e32 v8, 3, v16
	global_load_dword v22, v[22:23], off
	s_nop 0
	global_load_dword v11, v[30:31], off
	global_load_dword v32, v[26:27], off
	v_lshl_add_u64 v[26:27], v[8:9], 2, s[10:11]
	v_add_u32_e32 v8, -6, v6
	v_lshl_add_u64 v[30:31], v[8:9], 2, s[8:9]
	v_add_u32_e32 v8, -1, v6
	;; [unrolled: 2-line block ×3, first 2 shown]
	global_load_dword v33, v[30:31], off
	v_lshl_add_u64 v[30:31], v[8:9], 2, s[8:9]
	v_add_u32_e32 v8, 4, v16
	global_load_dword v26, v[26:27], off
	s_nop 0
	global_load_dword v15, v[34:35], off
	global_load_dword v16, v[30:31], off
	v_lshl_add_u64 v[30:31], v[8:9], 2, s[10:11]
	v_add_u32_e32 v8, -5, v6
	v_lshl_add_u64 v[34:35], v[8:9], 2, s[8:9]
	global_load_dword v30, v[30:31], off
	s_nop 0
	global_load_dword v17, v[34:35], off
	global_load_dword v8, v[20:21], off
	v_add_u32_e32 v6, 0x78, v6
	s_waitcnt vmcnt(14)
	v_fmac_f32_e32 v13, v7, v10
	s_waitcnt vmcnt(12)
	v_fmac_f32_e32 v13, v1, v14
	s_waitcnt vmcnt(8)
	v_pk_fma_f32 v[4:5], v[18:19], v[10:11], v[4:5] op_sel_hi:[1,0,1]
	v_fmac_f32_e32 v13, v11, v22
	s_waitcnt vmcnt(4)
	v_pk_fma_f32 v[4:5], v[24:25], v[14:15], v[4:5] op_sel_hi:[1,0,1]
	s_nop 0
	v_pk_fma_f32 v[4:5], v[28:29], v[22:23], v[4:5] op_sel_hi:[1,0,1]
	v_fmac_f32_e32 v13, v15, v26
	v_pk_fma_f32 v[4:5], v[32:33], v[26:27], v[4:5] op_sel_hi:[1,0,1]
	s_waitcnt vmcnt(0)
	v_fmac_f32_e32 v13, v8, v30
	v_pk_fma_f32 v[4:5], v[16:17], v[30:31], v[4:5] op_sel_hi:[1,0,1]
	s_andn2_b64 exec, exec, s[2:3]
	s_cbranch_execnz .LBB16_15
; %bb.16:
	s_or_b64 exec, exec, s[2:3]
.LBB16_17:
	s_or_b64 exec, exec, s[4:5]
.LBB16_18:
	v_mov_b32_dpp v0, v4 row_shr:1 row_mask:0xf bank_mask:0xf
	v_mov_b32_dpp v1, v5 row_shr:1 row_mask:0xf bank_mask:0xf
	;; [unrolled: 1-line block ×3, first 2 shown]
	v_pk_add_f32 v[0:1], v[4:5], v[0:1]
	v_add_f32_e32 v6, v13, v6
	v_cmp_eq_u32_e32 vcc, 7, v3
	v_mov_b32_dpp v4, v0 row_shr:2 row_mask:0xf bank_mask:0xf
	v_mov_b32_dpp v5, v1 row_shr:2 row_mask:0xf bank_mask:0xf
	;; [unrolled: 1-line block ×3, first 2 shown]
	v_pk_add_f32 v[0:1], v[0:1], v[4:5]
	v_add_f32_e32 v6, v6, v7
	s_nop 0
	v_mov_b32_dpp v4, v0 row_shr:4 row_mask:0xf bank_mask:0xe
	v_mov_b32_dpp v5, v1 row_shr:4 row_mask:0xf bank_mask:0xe
	;; [unrolled: 1-line block ×3, first 2 shown]
	s_and_b64 exec, exec, vcc
	s_cbranch_execz .LBB16_22
; %bb.19:
	s_load_dwordx2 s[0:1], s[0:1], 0x38
	v_pk_add_f32 v[4:5], v[0:1], v[4:5]
	v_add_f32_e32 v0, v6, v7
	v_cmp_eq_f32_e64 s[2:3], s12, 0
	v_lshl_add_u32 v6, v2, 1, v2
	s_and_b64 vcc, exec, s[2:3]
	v_mul_f32_e32 v2, s14, v0
	v_ashrrev_i32_e32 v7, 31, v6
	s_cbranch_vccz .LBB16_23
; %bb.20:
	s_waitcnt lgkmcnt(0)
	v_lshl_add_u64 v[8:9], v[6:7], 2, s[0:1]
	v_pk_mul_f32 v[0:1], s[14:15], v[4:5] op_sel_hi:[0,1]
	global_store_dwordx3 v[8:9], v[0:2], off
	s_cbranch_execnz .LBB16_22
.LBB16_21:
	s_waitcnt lgkmcnt(0)
	v_lshl_add_u64 v[10:11], v[6:7], 2, s[0:1]
	global_load_dwordx3 v[6:8], v[10:11], off
	v_pk_mul_f32 v[0:1], s[14:15], v[4:5] op_sel_hi:[0,1]
	s_waitcnt vmcnt(0)
	v_pk_fma_f32 v[0:1], s[12:13], v[6:7], v[0:1] op_sel_hi:[0,1,1]
	v_fmac_f32_e32 v2, s12, v8
	global_store_dwordx3 v[10:11], v[0:2], off
.LBB16_22:
	s_endpgm
.LBB16_23:
	s_branch .LBB16_21
	.section	.rodata,"a",@progbits
	.p2align	6, 0x0
	.amdhsa_kernel _ZN9rocsparseL19gebsrmvn_3xn_kernelILj128ELj5ELj8EfEEvi20rocsparse_direction_NS_24const_host_device_scalarIT2_EEPKiS6_PKS3_S8_S4_PS3_21rocsparse_index_base_b
		.amdhsa_group_segment_fixed_size 0
		.amdhsa_private_segment_fixed_size 0
		.amdhsa_kernarg_size 72
		.amdhsa_user_sgpr_count 2
		.amdhsa_user_sgpr_dispatch_ptr 0
		.amdhsa_user_sgpr_queue_ptr 0
		.amdhsa_user_sgpr_kernarg_segment_ptr 1
		.amdhsa_user_sgpr_dispatch_id 0
		.amdhsa_user_sgpr_kernarg_preload_length 0
		.amdhsa_user_sgpr_kernarg_preload_offset 0
		.amdhsa_user_sgpr_private_segment_size 0
		.amdhsa_uses_dynamic_stack 0
		.amdhsa_enable_private_segment 0
		.amdhsa_system_sgpr_workgroup_id_x 1
		.amdhsa_system_sgpr_workgroup_id_y 0
		.amdhsa_system_sgpr_workgroup_id_z 0
		.amdhsa_system_sgpr_workgroup_info 0
		.amdhsa_system_vgpr_workitem_id 0
		.amdhsa_next_free_vgpr 38
		.amdhsa_next_free_sgpr 20
		.amdhsa_accum_offset 40
		.amdhsa_reserve_vcc 1
		.amdhsa_float_round_mode_32 0
		.amdhsa_float_round_mode_16_64 0
		.amdhsa_float_denorm_mode_32 3
		.amdhsa_float_denorm_mode_16_64 3
		.amdhsa_dx10_clamp 1
		.amdhsa_ieee_mode 1
		.amdhsa_fp16_overflow 0
		.amdhsa_tg_split 0
		.amdhsa_exception_fp_ieee_invalid_op 0
		.amdhsa_exception_fp_denorm_src 0
		.amdhsa_exception_fp_ieee_div_zero 0
		.amdhsa_exception_fp_ieee_overflow 0
		.amdhsa_exception_fp_ieee_underflow 0
		.amdhsa_exception_fp_ieee_inexact 0
		.amdhsa_exception_int_div_zero 0
	.end_amdhsa_kernel
	.section	.text._ZN9rocsparseL19gebsrmvn_3xn_kernelILj128ELj5ELj8EfEEvi20rocsparse_direction_NS_24const_host_device_scalarIT2_EEPKiS6_PKS3_S8_S4_PS3_21rocsparse_index_base_b,"axG",@progbits,_ZN9rocsparseL19gebsrmvn_3xn_kernelILj128ELj5ELj8EfEEvi20rocsparse_direction_NS_24const_host_device_scalarIT2_EEPKiS6_PKS3_S8_S4_PS3_21rocsparse_index_base_b,comdat
.Lfunc_end16:
	.size	_ZN9rocsparseL19gebsrmvn_3xn_kernelILj128ELj5ELj8EfEEvi20rocsparse_direction_NS_24const_host_device_scalarIT2_EEPKiS6_PKS3_S8_S4_PS3_21rocsparse_index_base_b, .Lfunc_end16-_ZN9rocsparseL19gebsrmvn_3xn_kernelILj128ELj5ELj8EfEEvi20rocsparse_direction_NS_24const_host_device_scalarIT2_EEPKiS6_PKS3_S8_S4_PS3_21rocsparse_index_base_b
                                        ; -- End function
	.section	.AMDGPU.csdata,"",@progbits
; Kernel info:
; codeLenInByte = 1736
; NumSgprs: 26
; NumVgprs: 38
; NumAgprs: 0
; TotalNumVgprs: 38
; ScratchSize: 0
; MemoryBound: 0
; FloatMode: 240
; IeeeMode: 1
; LDSByteSize: 0 bytes/workgroup (compile time only)
; SGPRBlocks: 3
; VGPRBlocks: 4
; NumSGPRsForWavesPerEU: 26
; NumVGPRsForWavesPerEU: 38
; AccumOffset: 40
; Occupancy: 8
; WaveLimiterHint : 1
; COMPUTE_PGM_RSRC2:SCRATCH_EN: 0
; COMPUTE_PGM_RSRC2:USER_SGPR: 2
; COMPUTE_PGM_RSRC2:TRAP_HANDLER: 0
; COMPUTE_PGM_RSRC2:TGID_X_EN: 1
; COMPUTE_PGM_RSRC2:TGID_Y_EN: 0
; COMPUTE_PGM_RSRC2:TGID_Z_EN: 0
; COMPUTE_PGM_RSRC2:TIDIG_COMP_CNT: 0
; COMPUTE_PGM_RSRC3_GFX90A:ACCUM_OFFSET: 9
; COMPUTE_PGM_RSRC3_GFX90A:TG_SPLIT: 0
	.section	.text._ZN9rocsparseL19gebsrmvn_3xn_kernelILj128ELj5ELj16EfEEvi20rocsparse_direction_NS_24const_host_device_scalarIT2_EEPKiS6_PKS3_S8_S4_PS3_21rocsparse_index_base_b,"axG",@progbits,_ZN9rocsparseL19gebsrmvn_3xn_kernelILj128ELj5ELj16EfEEvi20rocsparse_direction_NS_24const_host_device_scalarIT2_EEPKiS6_PKS3_S8_S4_PS3_21rocsparse_index_base_b,comdat
	.globl	_ZN9rocsparseL19gebsrmvn_3xn_kernelILj128ELj5ELj16EfEEvi20rocsparse_direction_NS_24const_host_device_scalarIT2_EEPKiS6_PKS3_S8_S4_PS3_21rocsparse_index_base_b ; -- Begin function _ZN9rocsparseL19gebsrmvn_3xn_kernelILj128ELj5ELj16EfEEvi20rocsparse_direction_NS_24const_host_device_scalarIT2_EEPKiS6_PKS3_S8_S4_PS3_21rocsparse_index_base_b
	.p2align	8
	.type	_ZN9rocsparseL19gebsrmvn_3xn_kernelILj128ELj5ELj16EfEEvi20rocsparse_direction_NS_24const_host_device_scalarIT2_EEPKiS6_PKS3_S8_S4_PS3_21rocsparse_index_base_b,@function
_ZN9rocsparseL19gebsrmvn_3xn_kernelILj128ELj5ELj16EfEEvi20rocsparse_direction_NS_24const_host_device_scalarIT2_EEPKiS6_PKS3_S8_S4_PS3_21rocsparse_index_base_b: ; @_ZN9rocsparseL19gebsrmvn_3xn_kernelILj128ELj5ELj16EfEEvi20rocsparse_direction_NS_24const_host_device_scalarIT2_EEPKiS6_PKS3_S8_S4_PS3_21rocsparse_index_base_b
; %bb.0:
	s_load_dwordx2 s[16:17], s[0:1], 0x40
	s_load_dwordx2 s[14:15], s[0:1], 0x8
	;; [unrolled: 1-line block ×3, first 2 shown]
	s_waitcnt lgkmcnt(0)
	s_bitcmp1_b32 s17, 0
	s_cselect_b64 s[6:7], -1, 0
	s_xor_b64 s[4:5], s[6:7], -1
	s_and_b64 vcc, exec, s[6:7]
	s_cbranch_vccnz .LBB17_2
; %bb.1:
	s_load_dword s14, s[14:15], 0x0
.LBB17_2:
	s_andn2_b64 vcc, exec, s[4:5]
	s_cbranch_vccnz .LBB17_4
; %bb.3:
	s_load_dword s12, s[12:13], 0x0
.LBB17_4:
	s_waitcnt lgkmcnt(0)
	v_cmp_eq_f32_e64 s[4:5], s14, 0
	v_cmp_eq_f32_e64 s[6:7], s12, 1.0
	s_and_b64 s[4:5], s[4:5], s[6:7]
	s_and_b64 vcc, exec, s[4:5]
	s_cbranch_vccnz .LBB17_22
; %bb.5:
	s_load_dwordx2 s[18:19], s[0:1], 0x0
	v_lshrrev_b32_e32 v1, 4, v0
	v_lshl_or_b32 v2, s2, 3, v1
	s_waitcnt lgkmcnt(0)
	v_cmp_gt_i32_e32 vcc, s18, v2
	s_and_saveexec_b64 s[2:3], vcc
	s_cbranch_execz .LBB17_22
; %bb.6:
	s_load_dwordx8 s[4:11], s[0:1], 0x10
	v_ashrrev_i32_e32 v3, 31, v2
	s_cmp_lg_u32 s19, 0
	s_waitcnt lgkmcnt(0)
	v_lshl_add_u64 v[4:5], v[2:3], 2, s[4:5]
	global_load_dwordx2 v[4:5], v[4:5], off
	v_and_b32_e32 v3, 15, v0
	s_waitcnt vmcnt(0)
	v_subrev_u32_e32 v0, s16, v4
	v_subrev_u32_e32 v13, s16, v5
	v_add_u32_e32 v0, v0, v3
	v_cmp_lt_i32_e64 s[2:3], v0, v13
	s_cbranch_scc0 .LBB17_12
; %bb.7:
	v_mov_b32_e32 v5, 0
	v_mov_b32_e32 v4, v5
	;; [unrolled: 1-line block ×3, first 2 shown]
	s_and_saveexec_b64 s[4:5], s[2:3]
	s_cbranch_execz .LBB17_11
; %bb.8:
	v_mad_u64_u32 v[6:7], s[18:19], v0, 15, 14
	v_mov_b32_e32 v9, 0
	s_mov_b64 s[18:19], 0
	v_mov_b32_e32 v10, v0
	v_mov_b32_e32 v12, 0
	;; [unrolled: 1-line block ×4, first 2 shown]
.LBB17_9:                               ; =>This Inner Loop Header: Depth=1
	v_ashrrev_i32_e32 v11, 31, v10
	v_lshl_add_u64 v[14:15], v[10:11], 2, s[6:7]
	global_load_dword v1, v[14:15], off
	v_add_u32_e32 v8, -14, v6
	v_lshl_add_u64 v[16:17], v[8:9], 2, s[8:9]
	v_add_u32_e32 v8, -13, v6
	v_lshl_add_u64 v[20:21], v[8:9], 2, s[8:9]
	;; [unrolled: 2-line block ×3, first 2 shown]
	v_add_u32_e32 v8, -11, v6
	v_mov_b32_e32 v7, v9
	global_load_dword v16, v[16:17], off
	v_lshl_add_u64 v[18:19], v[6:7], 2, s[8:9]
	global_load_dword v17, v[20:21], off
	v_lshl_add_u64 v[20:21], v[8:9], 2, s[8:9]
	global_load_dword v7, v[22:23], off
	global_load_dword v24, v[20:21], off
	v_mov_b32_e32 v15, v9
	v_add_u32_e32 v10, 16, v10
	v_cmp_ge_i32_e32 vcc, v10, v13
	s_or_b64 s[18:19], vcc, s[18:19]
	s_waitcnt vmcnt(4)
	v_subrev_u32_e32 v1, s16, v1
	v_lshl_add_u32 v14, v1, 2, v1
	v_add_u32_e32 v8, 1, v14
	v_lshl_add_u64 v[22:23], v[8:9], 2, s[10:11]
	v_add_u32_e32 v8, -10, v6
	v_lshl_add_u64 v[26:27], v[8:9], 2, s[8:9]
	v_add_u32_e32 v8, -9, v6
	;; [unrolled: 2-line block ×3, first 2 shown]
	v_lshl_add_u64 v[20:21], v[14:15], 2, s[10:11]
	global_load_dword v25, v[26:27], off
	v_lshl_add_u64 v[26:27], v[8:9], 2, s[8:9]
	v_add_u32_e32 v8, 2, v14
	global_load_dword v20, v[20:21], off
	s_nop 0
	global_load_dword v22, v[22:23], off
	s_nop 0
	global_load_dword v1, v[28:29], off
	global_load_dword v30, v[26:27], off
	v_lshl_add_u64 v[26:27], v[8:9], 2, s[10:11]
	v_add_u32_e32 v8, -7, v6
	v_lshl_add_u64 v[28:29], v[8:9], 2, s[8:9]
	v_add_u32_e32 v8, -6, v6
	;; [unrolled: 2-line block ×3, first 2 shown]
	global_load_dword v31, v[28:29], off
	v_lshl_add_u64 v[28:29], v[8:9], 2, s[8:9]
	v_add_u32_e32 v8, 3, v14
	global_load_dword v26, v[26:27], off
	s_nop 0
	global_load_dword v11, v[32:33], off
	global_load_dword v34, v[28:29], off
	v_lshl_add_u64 v[28:29], v[8:9], 2, s[10:11]
	v_add_u32_e32 v8, -4, v6
	v_lshl_add_u64 v[32:33], v[8:9], 2, s[8:9]
	v_add_u32_e32 v8, -3, v6
	;; [unrolled: 2-line block ×3, first 2 shown]
	global_load_dword v28, v[28:29], off
	s_waitcnt vmcnt(8)
	v_fmac_f32_e32 v12, v7, v20
	global_load_dword v35, v[32:33], off
	v_lshl_add_u64 v[32:33], v[8:9], 2, s[8:9]
	v_add_u32_e32 v8, 4, v14
	global_load_dword v21, v[36:37], off
	global_load_dword v14, v[32:33], off
	v_lshl_add_u64 v[32:33], v[8:9], 2, s[10:11]
	v_add_u32_e32 v8, -1, v6
	v_lshl_add_u64 v[36:37], v[8:9], 2, s[8:9]
	global_load_dword v32, v[32:33], off
	s_nop 0
	global_load_dword v15, v[36:37], off
	global_load_dword v8, v[18:19], off
	s_waitcnt vmcnt(12)
	v_fmac_f32_e32 v12, v1, v22
	v_add_u32_e32 v6, 0xf0, v6
	s_waitcnt vmcnt(8)
	v_fmac_f32_e32 v12, v11, v26
	s_waitcnt vmcnt(4)
	v_pk_fma_f32 v[4:5], v[16:17], v[20:21], v[4:5] op_sel_hi:[1,0,1]
	s_nop 0
	v_pk_fma_f32 v[4:5], v[24:25], v[22:23], v[4:5] op_sel_hi:[1,0,1]
	v_fmac_f32_e32 v12, v21, v28
	v_pk_fma_f32 v[4:5], v[30:31], v[26:27], v[4:5] op_sel_hi:[1,0,1]
	s_waitcnt vmcnt(0)
	v_fmac_f32_e32 v12, v8, v32
	v_pk_fma_f32 v[4:5], v[34:35], v[28:29], v[4:5] op_sel_hi:[1,0,1]
	s_nop 0
	v_pk_fma_f32 v[4:5], v[14:15], v[32:33], v[4:5] op_sel_hi:[1,0,1]
	s_andn2_b64 exec, exec, s[18:19]
	s_cbranch_execnz .LBB17_9
; %bb.10:
	s_or_b64 exec, exec, s[18:19]
.LBB17_11:
	s_or_b64 exec, exec, s[4:5]
	s_cbranch_execz .LBB17_13
	s_branch .LBB17_18
.LBB17_12:
                                        ; implicit-def: $vgpr5
                                        ; implicit-def: $vgpr12
.LBB17_13:
	v_mov_b32_e32 v5, 0
	v_mov_b32_e32 v4, v5
	;; [unrolled: 1-line block ×3, first 2 shown]
	s_and_saveexec_b64 s[4:5], s[2:3]
	s_cbranch_execz .LBB17_17
; %bb.14:
	v_mad_u64_u32 v[6:7], s[2:3], v0, 15, 14
	v_mov_b32_e32 v9, 0
	s_mov_b64 s[2:3], 0
	v_mov_b32_e32 v12, 0
	v_mov_b32_e32 v4, v9
	;; [unrolled: 1-line block ×3, first 2 shown]
.LBB17_15:                              ; =>This Inner Loop Header: Depth=1
	v_ashrrev_i32_e32 v1, 31, v0
	v_lshl_add_u64 v[10:11], v[0:1], 2, s[6:7]
	global_load_dword v1, v[10:11], off
	v_add_u32_e32 v8, -14, v6
	v_add_u32_e32 v10, -9, v6
	;; [unrolled: 1-line block ×3, first 2 shown]
	v_mov_b32_e32 v11, v9
	v_mov_b32_e32 v15, v9
	v_lshl_add_u64 v[18:19], v[8:9], 2, s[8:9]
	v_add_u32_e32 v8, -13, v6
	v_mov_b32_e32 v7, v9
	v_lshl_add_u64 v[10:11], v[10:11], 2, s[8:9]
	v_lshl_add_u64 v[14:15], v[14:15], 2, s[8:9]
	;; [unrolled: 1-line block ×4, first 2 shown]
	global_load_dword v18, v[18:19], off
	s_nop 0
	global_load_dword v19, v[10:11], off
	global_load_dword v7, v[14:15], off
	;; [unrolled: 1-line block ×3, first 2 shown]
	v_mov_b32_e32 v17, v9
	v_add_u32_e32 v0, 16, v0
	v_cmp_ge_i32_e32 vcc, v0, v13
	s_or_b64 s[2:3], vcc, s[2:3]
	s_waitcnt vmcnt(4)
	v_subrev_u32_e32 v1, s16, v1
	v_lshl_add_u32 v16, v1, 2, v1
	v_add_u32_e32 v8, 1, v16
	v_lshl_add_u64 v[14:15], v[8:9], 2, s[10:11]
	v_add_u32_e32 v8, -8, v6
	v_lshl_add_u64 v[22:23], v[8:9], 2, s[8:9]
	v_add_u32_e32 v8, -3, v6
	;; [unrolled: 2-line block ×3, first 2 shown]
	v_lshl_add_u64 v[10:11], v[16:17], 2, s[10:11]
	global_load_dword v25, v[22:23], off
	v_lshl_add_u64 v[22:23], v[8:9], 2, s[8:9]
	v_add_u32_e32 v8, 2, v16
	global_load_dword v10, v[10:11], off
	s_nop 0
	global_load_dword v14, v[14:15], off
	s_nop 0
	global_load_dword v1, v[26:27], off
	global_load_dword v28, v[22:23], off
	v_lshl_add_u64 v[22:23], v[8:9], 2, s[10:11]
	v_add_u32_e32 v8, -7, v6
	v_lshl_add_u64 v[26:27], v[8:9], 2, s[8:9]
	v_add_u32_e32 v8, -2, v6
	;; [unrolled: 2-line block ×3, first 2 shown]
	global_load_dword v29, v[26:27], off
	v_lshl_add_u64 v[26:27], v[8:9], 2, s[8:9]
	v_add_u32_e32 v8, 3, v16
	global_load_dword v22, v[22:23], off
	s_nop 0
	global_load_dword v11, v[30:31], off
	global_load_dword v32, v[26:27], off
	v_lshl_add_u64 v[26:27], v[8:9], 2, s[10:11]
	v_add_u32_e32 v8, -6, v6
	v_lshl_add_u64 v[30:31], v[8:9], 2, s[8:9]
	v_add_u32_e32 v8, -1, v6
	;; [unrolled: 2-line block ×3, first 2 shown]
	global_load_dword v33, v[30:31], off
	v_lshl_add_u64 v[30:31], v[8:9], 2, s[8:9]
	v_add_u32_e32 v8, 4, v16
	global_load_dword v26, v[26:27], off
	s_nop 0
	global_load_dword v15, v[34:35], off
	global_load_dword v16, v[30:31], off
	v_lshl_add_u64 v[30:31], v[8:9], 2, s[10:11]
	v_add_u32_e32 v8, -5, v6
	v_lshl_add_u64 v[34:35], v[8:9], 2, s[8:9]
	global_load_dword v30, v[30:31], off
	s_nop 0
	global_load_dword v17, v[34:35], off
	global_load_dword v8, v[20:21], off
	v_add_u32_e32 v6, 0xf0, v6
	s_waitcnt vmcnt(14)
	v_fmac_f32_e32 v12, v7, v10
	s_waitcnt vmcnt(12)
	v_fmac_f32_e32 v12, v1, v14
	s_waitcnt vmcnt(8)
	v_pk_fma_f32 v[4:5], v[18:19], v[10:11], v[4:5] op_sel_hi:[1,0,1]
	v_fmac_f32_e32 v12, v11, v22
	s_waitcnt vmcnt(4)
	v_pk_fma_f32 v[4:5], v[24:25], v[14:15], v[4:5] op_sel_hi:[1,0,1]
	s_nop 0
	v_pk_fma_f32 v[4:5], v[28:29], v[22:23], v[4:5] op_sel_hi:[1,0,1]
	v_fmac_f32_e32 v12, v15, v26
	v_pk_fma_f32 v[4:5], v[32:33], v[26:27], v[4:5] op_sel_hi:[1,0,1]
	s_waitcnt vmcnt(0)
	v_fmac_f32_e32 v12, v8, v30
	v_pk_fma_f32 v[4:5], v[16:17], v[30:31], v[4:5] op_sel_hi:[1,0,1]
	s_andn2_b64 exec, exec, s[2:3]
	s_cbranch_execnz .LBB17_15
; %bb.16:
	s_or_b64 exec, exec, s[2:3]
.LBB17_17:
	s_or_b64 exec, exec, s[4:5]
.LBB17_18:
	v_mov_b32_dpp v0, v4 row_shr:1 row_mask:0xf bank_mask:0xf
	v_mov_b32_dpp v1, v5 row_shr:1 row_mask:0xf bank_mask:0xf
	;; [unrolled: 1-line block ×3, first 2 shown]
	v_pk_add_f32 v[0:1], v[4:5], v[0:1]
	v_add_f32_e32 v6, v12, v6
	v_cmp_eq_u32_e32 vcc, 15, v3
	v_mov_b32_dpp v4, v0 row_shr:2 row_mask:0xf bank_mask:0xf
	v_mov_b32_dpp v5, v1 row_shr:2 row_mask:0xf bank_mask:0xf
	;; [unrolled: 1-line block ×3, first 2 shown]
	v_pk_add_f32 v[0:1], v[0:1], v[4:5]
	v_add_f32_e32 v6, v6, v7
	s_nop 0
	v_mov_b32_dpp v4, v0 row_shr:4 row_mask:0xf bank_mask:0xe
	v_mov_b32_dpp v5, v1 row_shr:4 row_mask:0xf bank_mask:0xe
	;; [unrolled: 1-line block ×3, first 2 shown]
	v_pk_add_f32 v[0:1], v[0:1], v[4:5]
	v_add_f32_e32 v6, v6, v7
	s_nop 0
	v_mov_b32_dpp v4, v0 row_shr:8 row_mask:0xf bank_mask:0xc
	v_mov_b32_dpp v5, v1 row_shr:8 row_mask:0xf bank_mask:0xc
	;; [unrolled: 1-line block ×3, first 2 shown]
	s_and_b64 exec, exec, vcc
	s_cbranch_execz .LBB17_22
; %bb.19:
	s_load_dwordx2 s[0:1], s[0:1], 0x38
	v_pk_add_f32 v[4:5], v[0:1], v[4:5]
	v_add_f32_e32 v0, v6, v7
	v_cmp_eq_f32_e64 s[2:3], s12, 0
	v_lshl_add_u32 v6, v2, 1, v2
	s_and_b64 vcc, exec, s[2:3]
	v_mul_f32_e32 v2, s14, v0
	v_ashrrev_i32_e32 v7, 31, v6
	s_cbranch_vccz .LBB17_23
; %bb.20:
	s_waitcnt lgkmcnt(0)
	v_lshl_add_u64 v[8:9], v[6:7], 2, s[0:1]
	v_pk_mul_f32 v[0:1], s[14:15], v[4:5] op_sel_hi:[0,1]
	global_store_dwordx3 v[8:9], v[0:2], off
	s_cbranch_execnz .LBB17_22
.LBB17_21:
	s_waitcnt lgkmcnt(0)
	v_lshl_add_u64 v[10:11], v[6:7], 2, s[0:1]
	global_load_dwordx3 v[6:8], v[10:11], off
	v_pk_mul_f32 v[0:1], s[14:15], v[4:5] op_sel_hi:[0,1]
	s_waitcnt vmcnt(0)
	v_pk_fma_f32 v[0:1], s[12:13], v[6:7], v[0:1] op_sel_hi:[0,1,1]
	v_fmac_f32_e32 v2, s12, v8
	global_store_dwordx3 v[10:11], v[0:2], off
.LBB17_22:
	s_endpgm
.LBB17_23:
	s_branch .LBB17_21
	.section	.rodata,"a",@progbits
	.p2align	6, 0x0
	.amdhsa_kernel _ZN9rocsparseL19gebsrmvn_3xn_kernelILj128ELj5ELj16EfEEvi20rocsparse_direction_NS_24const_host_device_scalarIT2_EEPKiS6_PKS3_S8_S4_PS3_21rocsparse_index_base_b
		.amdhsa_group_segment_fixed_size 0
		.amdhsa_private_segment_fixed_size 0
		.amdhsa_kernarg_size 72
		.amdhsa_user_sgpr_count 2
		.amdhsa_user_sgpr_dispatch_ptr 0
		.amdhsa_user_sgpr_queue_ptr 0
		.amdhsa_user_sgpr_kernarg_segment_ptr 1
		.amdhsa_user_sgpr_dispatch_id 0
		.amdhsa_user_sgpr_kernarg_preload_length 0
		.amdhsa_user_sgpr_kernarg_preload_offset 0
		.amdhsa_user_sgpr_private_segment_size 0
		.amdhsa_uses_dynamic_stack 0
		.amdhsa_enable_private_segment 0
		.amdhsa_system_sgpr_workgroup_id_x 1
		.amdhsa_system_sgpr_workgroup_id_y 0
		.amdhsa_system_sgpr_workgroup_id_z 0
		.amdhsa_system_sgpr_workgroup_info 0
		.amdhsa_system_vgpr_workitem_id 0
		.amdhsa_next_free_vgpr 38
		.amdhsa_next_free_sgpr 20
		.amdhsa_accum_offset 40
		.amdhsa_reserve_vcc 1
		.amdhsa_float_round_mode_32 0
		.amdhsa_float_round_mode_16_64 0
		.amdhsa_float_denorm_mode_32 3
		.amdhsa_float_denorm_mode_16_64 3
		.amdhsa_dx10_clamp 1
		.amdhsa_ieee_mode 1
		.amdhsa_fp16_overflow 0
		.amdhsa_tg_split 0
		.amdhsa_exception_fp_ieee_invalid_op 0
		.amdhsa_exception_fp_denorm_src 0
		.amdhsa_exception_fp_ieee_div_zero 0
		.amdhsa_exception_fp_ieee_overflow 0
		.amdhsa_exception_fp_ieee_underflow 0
		.amdhsa_exception_fp_ieee_inexact 0
		.amdhsa_exception_int_div_zero 0
	.end_amdhsa_kernel
	.section	.text._ZN9rocsparseL19gebsrmvn_3xn_kernelILj128ELj5ELj16EfEEvi20rocsparse_direction_NS_24const_host_device_scalarIT2_EEPKiS6_PKS3_S8_S4_PS3_21rocsparse_index_base_b,"axG",@progbits,_ZN9rocsparseL19gebsrmvn_3xn_kernelILj128ELj5ELj16EfEEvi20rocsparse_direction_NS_24const_host_device_scalarIT2_EEPKiS6_PKS3_S8_S4_PS3_21rocsparse_index_base_b,comdat
.Lfunc_end17:
	.size	_ZN9rocsparseL19gebsrmvn_3xn_kernelILj128ELj5ELj16EfEEvi20rocsparse_direction_NS_24const_host_device_scalarIT2_EEPKiS6_PKS3_S8_S4_PS3_21rocsparse_index_base_b, .Lfunc_end17-_ZN9rocsparseL19gebsrmvn_3xn_kernelILj128ELj5ELj16EfEEvi20rocsparse_direction_NS_24const_host_device_scalarIT2_EEPKiS6_PKS3_S8_S4_PS3_21rocsparse_index_base_b
                                        ; -- End function
	.section	.AMDGPU.csdata,"",@progbits
; Kernel info:
; codeLenInByte = 1776
; NumSgprs: 26
; NumVgprs: 38
; NumAgprs: 0
; TotalNumVgprs: 38
; ScratchSize: 0
; MemoryBound: 0
; FloatMode: 240
; IeeeMode: 1
; LDSByteSize: 0 bytes/workgroup (compile time only)
; SGPRBlocks: 3
; VGPRBlocks: 4
; NumSGPRsForWavesPerEU: 26
; NumVGPRsForWavesPerEU: 38
; AccumOffset: 40
; Occupancy: 8
; WaveLimiterHint : 1
; COMPUTE_PGM_RSRC2:SCRATCH_EN: 0
; COMPUTE_PGM_RSRC2:USER_SGPR: 2
; COMPUTE_PGM_RSRC2:TRAP_HANDLER: 0
; COMPUTE_PGM_RSRC2:TGID_X_EN: 1
; COMPUTE_PGM_RSRC2:TGID_Y_EN: 0
; COMPUTE_PGM_RSRC2:TGID_Z_EN: 0
; COMPUTE_PGM_RSRC2:TIDIG_COMP_CNT: 0
; COMPUTE_PGM_RSRC3_GFX90A:ACCUM_OFFSET: 9
; COMPUTE_PGM_RSRC3_GFX90A:TG_SPLIT: 0
	.section	.text._ZN9rocsparseL19gebsrmvn_3xn_kernelILj128ELj5ELj32EfEEvi20rocsparse_direction_NS_24const_host_device_scalarIT2_EEPKiS6_PKS3_S8_S4_PS3_21rocsparse_index_base_b,"axG",@progbits,_ZN9rocsparseL19gebsrmvn_3xn_kernelILj128ELj5ELj32EfEEvi20rocsparse_direction_NS_24const_host_device_scalarIT2_EEPKiS6_PKS3_S8_S4_PS3_21rocsparse_index_base_b,comdat
	.globl	_ZN9rocsparseL19gebsrmvn_3xn_kernelILj128ELj5ELj32EfEEvi20rocsparse_direction_NS_24const_host_device_scalarIT2_EEPKiS6_PKS3_S8_S4_PS3_21rocsparse_index_base_b ; -- Begin function _ZN9rocsparseL19gebsrmvn_3xn_kernelILj128ELj5ELj32EfEEvi20rocsparse_direction_NS_24const_host_device_scalarIT2_EEPKiS6_PKS3_S8_S4_PS3_21rocsparse_index_base_b
	.p2align	8
	.type	_ZN9rocsparseL19gebsrmvn_3xn_kernelILj128ELj5ELj32EfEEvi20rocsparse_direction_NS_24const_host_device_scalarIT2_EEPKiS6_PKS3_S8_S4_PS3_21rocsparse_index_base_b,@function
_ZN9rocsparseL19gebsrmvn_3xn_kernelILj128ELj5ELj32EfEEvi20rocsparse_direction_NS_24const_host_device_scalarIT2_EEPKiS6_PKS3_S8_S4_PS3_21rocsparse_index_base_b: ; @_ZN9rocsparseL19gebsrmvn_3xn_kernelILj128ELj5ELj32EfEEvi20rocsparse_direction_NS_24const_host_device_scalarIT2_EEPKiS6_PKS3_S8_S4_PS3_21rocsparse_index_base_b
; %bb.0:
	s_load_dwordx2 s[16:17], s[0:1], 0x40
	s_load_dwordx2 s[14:15], s[0:1], 0x8
	;; [unrolled: 1-line block ×3, first 2 shown]
	s_waitcnt lgkmcnt(0)
	s_bitcmp1_b32 s17, 0
	s_cselect_b64 s[6:7], -1, 0
	s_xor_b64 s[4:5], s[6:7], -1
	s_and_b64 vcc, exec, s[6:7]
	s_cbranch_vccnz .LBB18_2
; %bb.1:
	s_load_dword s14, s[14:15], 0x0
.LBB18_2:
	s_andn2_b64 vcc, exec, s[4:5]
	s_cbranch_vccnz .LBB18_4
; %bb.3:
	s_load_dword s12, s[12:13], 0x0
.LBB18_4:
	s_waitcnt lgkmcnt(0)
	v_cmp_eq_f32_e64 s[4:5], s14, 0
	v_cmp_eq_f32_e64 s[6:7], s12, 1.0
	s_and_b64 s[4:5], s[4:5], s[6:7]
	s_and_b64 vcc, exec, s[4:5]
	s_cbranch_vccnz .LBB18_22
; %bb.5:
	s_load_dwordx2 s[18:19], s[0:1], 0x0
	v_lshrrev_b32_e32 v1, 5, v0
	v_lshl_or_b32 v2, s2, 2, v1
	s_waitcnt lgkmcnt(0)
	v_cmp_gt_i32_e32 vcc, s18, v2
	s_and_saveexec_b64 s[2:3], vcc
	s_cbranch_execz .LBB18_22
; %bb.6:
	s_load_dwordx8 s[4:11], s[0:1], 0x10
	v_ashrrev_i32_e32 v3, 31, v2
	s_cmp_lg_u32 s19, 0
	s_waitcnt lgkmcnt(0)
	v_lshl_add_u64 v[4:5], v[2:3], 2, s[4:5]
	global_load_dwordx2 v[4:5], v[4:5], off
	v_and_b32_e32 v3, 31, v0
	s_waitcnt vmcnt(0)
	v_subrev_u32_e32 v0, s16, v4
	v_subrev_u32_e32 v13, s16, v5
	v_add_u32_e32 v0, v0, v3
	v_cmp_lt_i32_e64 s[2:3], v0, v13
	s_cbranch_scc0 .LBB18_12
; %bb.7:
	v_mov_b32_e32 v5, 0
	v_mov_b32_e32 v4, v5
	;; [unrolled: 1-line block ×3, first 2 shown]
	s_and_saveexec_b64 s[4:5], s[2:3]
	s_cbranch_execz .LBB18_11
; %bb.8:
	v_mad_u64_u32 v[6:7], s[18:19], v0, 15, 14
	v_mov_b32_e32 v9, 0
	s_mov_b64 s[18:19], 0
	v_mov_b32_e32 v10, v0
	v_mov_b32_e32 v12, 0
	;; [unrolled: 1-line block ×4, first 2 shown]
.LBB18_9:                               ; =>This Inner Loop Header: Depth=1
	v_ashrrev_i32_e32 v11, 31, v10
	v_lshl_add_u64 v[14:15], v[10:11], 2, s[6:7]
	global_load_dword v1, v[14:15], off
	v_add_u32_e32 v8, -14, v6
	v_lshl_add_u64 v[16:17], v[8:9], 2, s[8:9]
	v_add_u32_e32 v8, -13, v6
	v_lshl_add_u64 v[20:21], v[8:9], 2, s[8:9]
	;; [unrolled: 2-line block ×3, first 2 shown]
	v_add_u32_e32 v8, -11, v6
	v_mov_b32_e32 v7, v9
	global_load_dword v16, v[16:17], off
	v_lshl_add_u64 v[18:19], v[6:7], 2, s[8:9]
	global_load_dword v17, v[20:21], off
	v_lshl_add_u64 v[20:21], v[8:9], 2, s[8:9]
	global_load_dword v7, v[22:23], off
	global_load_dword v24, v[20:21], off
	v_mov_b32_e32 v15, v9
	v_add_u32_e32 v10, 32, v10
	v_cmp_ge_i32_e32 vcc, v10, v13
	s_or_b64 s[18:19], vcc, s[18:19]
	s_waitcnt vmcnt(4)
	v_subrev_u32_e32 v1, s16, v1
	v_lshl_add_u32 v14, v1, 2, v1
	v_add_u32_e32 v8, 1, v14
	v_lshl_add_u64 v[22:23], v[8:9], 2, s[10:11]
	v_add_u32_e32 v8, -10, v6
	v_lshl_add_u64 v[26:27], v[8:9], 2, s[8:9]
	v_add_u32_e32 v8, -9, v6
	v_lshl_add_u64 v[28:29], v[8:9], 2, s[8:9]
	v_add_u32_e32 v8, -8, v6
	v_lshl_add_u64 v[20:21], v[14:15], 2, s[10:11]
	global_load_dword v25, v[26:27], off
	v_lshl_add_u64 v[26:27], v[8:9], 2, s[8:9]
	v_add_u32_e32 v8, 2, v14
	global_load_dword v20, v[20:21], off
	s_nop 0
	global_load_dword v22, v[22:23], off
	s_nop 0
	global_load_dword v1, v[28:29], off
	global_load_dword v30, v[26:27], off
	v_lshl_add_u64 v[26:27], v[8:9], 2, s[10:11]
	v_add_u32_e32 v8, -7, v6
	v_lshl_add_u64 v[28:29], v[8:9], 2, s[8:9]
	v_add_u32_e32 v8, -6, v6
	;; [unrolled: 2-line block ×3, first 2 shown]
	global_load_dword v31, v[28:29], off
	v_lshl_add_u64 v[28:29], v[8:9], 2, s[8:9]
	v_add_u32_e32 v8, 3, v14
	global_load_dword v26, v[26:27], off
	s_nop 0
	global_load_dword v11, v[32:33], off
	global_load_dword v34, v[28:29], off
	v_lshl_add_u64 v[28:29], v[8:9], 2, s[10:11]
	v_add_u32_e32 v8, -4, v6
	v_lshl_add_u64 v[32:33], v[8:9], 2, s[8:9]
	v_add_u32_e32 v8, -3, v6
	;; [unrolled: 2-line block ×3, first 2 shown]
	global_load_dword v28, v[28:29], off
	s_waitcnt vmcnt(8)
	v_fmac_f32_e32 v12, v7, v20
	global_load_dword v35, v[32:33], off
	v_lshl_add_u64 v[32:33], v[8:9], 2, s[8:9]
	v_add_u32_e32 v8, 4, v14
	global_load_dword v21, v[36:37], off
	global_load_dword v14, v[32:33], off
	v_lshl_add_u64 v[32:33], v[8:9], 2, s[10:11]
	v_add_u32_e32 v8, -1, v6
	v_lshl_add_u64 v[36:37], v[8:9], 2, s[8:9]
	global_load_dword v32, v[32:33], off
	s_nop 0
	global_load_dword v15, v[36:37], off
	global_load_dword v8, v[18:19], off
	s_waitcnt vmcnt(12)
	v_fmac_f32_e32 v12, v1, v22
	v_add_u32_e32 v6, 0x1e0, v6
	s_waitcnt vmcnt(8)
	v_fmac_f32_e32 v12, v11, v26
	s_waitcnt vmcnt(4)
	v_pk_fma_f32 v[4:5], v[16:17], v[20:21], v[4:5] op_sel_hi:[1,0,1]
	s_nop 0
	v_pk_fma_f32 v[4:5], v[24:25], v[22:23], v[4:5] op_sel_hi:[1,0,1]
	v_fmac_f32_e32 v12, v21, v28
	v_pk_fma_f32 v[4:5], v[30:31], v[26:27], v[4:5] op_sel_hi:[1,0,1]
	s_waitcnt vmcnt(0)
	v_fmac_f32_e32 v12, v8, v32
	v_pk_fma_f32 v[4:5], v[34:35], v[28:29], v[4:5] op_sel_hi:[1,0,1]
	s_nop 0
	v_pk_fma_f32 v[4:5], v[14:15], v[32:33], v[4:5] op_sel_hi:[1,0,1]
	s_andn2_b64 exec, exec, s[18:19]
	s_cbranch_execnz .LBB18_9
; %bb.10:
	s_or_b64 exec, exec, s[18:19]
.LBB18_11:
	s_or_b64 exec, exec, s[4:5]
	s_cbranch_execz .LBB18_13
	s_branch .LBB18_18
.LBB18_12:
                                        ; implicit-def: $vgpr5
                                        ; implicit-def: $vgpr12
.LBB18_13:
	v_mov_b32_e32 v5, 0
	v_mov_b32_e32 v4, v5
	v_mov_b32_e32 v12, v5
	s_and_saveexec_b64 s[4:5], s[2:3]
	s_cbranch_execz .LBB18_17
; %bb.14:
	v_mad_u64_u32 v[6:7], s[2:3], v0, 15, 14
	v_mov_b32_e32 v9, 0
	s_mov_b64 s[2:3], 0
	v_mov_b32_e32 v12, 0
	v_mov_b32_e32 v4, v9
	;; [unrolled: 1-line block ×3, first 2 shown]
.LBB18_15:                              ; =>This Inner Loop Header: Depth=1
	v_ashrrev_i32_e32 v1, 31, v0
	v_lshl_add_u64 v[10:11], v[0:1], 2, s[6:7]
	global_load_dword v1, v[10:11], off
	v_add_u32_e32 v8, -14, v6
	v_add_u32_e32 v10, -9, v6
	;; [unrolled: 1-line block ×3, first 2 shown]
	v_mov_b32_e32 v11, v9
	v_mov_b32_e32 v15, v9
	v_lshl_add_u64 v[18:19], v[8:9], 2, s[8:9]
	v_add_u32_e32 v8, -13, v6
	v_mov_b32_e32 v7, v9
	v_lshl_add_u64 v[10:11], v[10:11], 2, s[8:9]
	v_lshl_add_u64 v[14:15], v[14:15], 2, s[8:9]
	;; [unrolled: 1-line block ×4, first 2 shown]
	global_load_dword v18, v[18:19], off
	s_nop 0
	global_load_dword v19, v[10:11], off
	global_load_dword v7, v[14:15], off
	;; [unrolled: 1-line block ×3, first 2 shown]
	v_mov_b32_e32 v17, v9
	v_add_u32_e32 v0, 32, v0
	v_cmp_ge_i32_e32 vcc, v0, v13
	s_or_b64 s[2:3], vcc, s[2:3]
	s_waitcnt vmcnt(4)
	v_subrev_u32_e32 v1, s16, v1
	v_lshl_add_u32 v16, v1, 2, v1
	v_add_u32_e32 v8, 1, v16
	v_lshl_add_u64 v[14:15], v[8:9], 2, s[10:11]
	v_add_u32_e32 v8, -8, v6
	v_lshl_add_u64 v[22:23], v[8:9], 2, s[8:9]
	v_add_u32_e32 v8, -3, v6
	;; [unrolled: 2-line block ×3, first 2 shown]
	v_lshl_add_u64 v[10:11], v[16:17], 2, s[10:11]
	global_load_dword v25, v[22:23], off
	v_lshl_add_u64 v[22:23], v[8:9], 2, s[8:9]
	v_add_u32_e32 v8, 2, v16
	global_load_dword v10, v[10:11], off
	s_nop 0
	global_load_dword v14, v[14:15], off
	s_nop 0
	global_load_dword v1, v[26:27], off
	global_load_dword v28, v[22:23], off
	v_lshl_add_u64 v[22:23], v[8:9], 2, s[10:11]
	v_add_u32_e32 v8, -7, v6
	v_lshl_add_u64 v[26:27], v[8:9], 2, s[8:9]
	v_add_u32_e32 v8, -2, v6
	;; [unrolled: 2-line block ×3, first 2 shown]
	global_load_dword v29, v[26:27], off
	v_lshl_add_u64 v[26:27], v[8:9], 2, s[8:9]
	v_add_u32_e32 v8, 3, v16
	global_load_dword v22, v[22:23], off
	s_nop 0
	global_load_dword v11, v[30:31], off
	global_load_dword v32, v[26:27], off
	v_lshl_add_u64 v[26:27], v[8:9], 2, s[10:11]
	v_add_u32_e32 v8, -6, v6
	v_lshl_add_u64 v[30:31], v[8:9], 2, s[8:9]
	v_add_u32_e32 v8, -1, v6
	;; [unrolled: 2-line block ×3, first 2 shown]
	global_load_dword v33, v[30:31], off
	v_lshl_add_u64 v[30:31], v[8:9], 2, s[8:9]
	v_add_u32_e32 v8, 4, v16
	global_load_dword v26, v[26:27], off
	s_nop 0
	global_load_dword v15, v[34:35], off
	global_load_dword v16, v[30:31], off
	v_lshl_add_u64 v[30:31], v[8:9], 2, s[10:11]
	v_add_u32_e32 v8, -5, v6
	v_lshl_add_u64 v[34:35], v[8:9], 2, s[8:9]
	global_load_dword v30, v[30:31], off
	s_nop 0
	global_load_dword v17, v[34:35], off
	global_load_dword v8, v[20:21], off
	v_add_u32_e32 v6, 0x1e0, v6
	s_waitcnt vmcnt(14)
	v_fmac_f32_e32 v12, v7, v10
	s_waitcnt vmcnt(12)
	v_fmac_f32_e32 v12, v1, v14
	s_waitcnt vmcnt(8)
	v_pk_fma_f32 v[4:5], v[18:19], v[10:11], v[4:5] op_sel_hi:[1,0,1]
	v_fmac_f32_e32 v12, v11, v22
	s_waitcnt vmcnt(4)
	v_pk_fma_f32 v[4:5], v[24:25], v[14:15], v[4:5] op_sel_hi:[1,0,1]
	s_nop 0
	v_pk_fma_f32 v[4:5], v[28:29], v[22:23], v[4:5] op_sel_hi:[1,0,1]
	v_fmac_f32_e32 v12, v15, v26
	v_pk_fma_f32 v[4:5], v[32:33], v[26:27], v[4:5] op_sel_hi:[1,0,1]
	s_waitcnt vmcnt(0)
	v_fmac_f32_e32 v12, v8, v30
	v_pk_fma_f32 v[4:5], v[16:17], v[30:31], v[4:5] op_sel_hi:[1,0,1]
	s_andn2_b64 exec, exec, s[2:3]
	s_cbranch_execnz .LBB18_15
; %bb.16:
	s_or_b64 exec, exec, s[2:3]
.LBB18_17:
	s_or_b64 exec, exec, s[4:5]
.LBB18_18:
	v_mov_b32_dpp v0, v4 row_shr:1 row_mask:0xf bank_mask:0xf
	v_mov_b32_dpp v1, v5 row_shr:1 row_mask:0xf bank_mask:0xf
	;; [unrolled: 1-line block ×3, first 2 shown]
	v_pk_add_f32 v[0:1], v[4:5], v[0:1]
	v_add_f32_e32 v6, v12, v6
	v_cmp_eq_u32_e32 vcc, 31, v3
	v_mov_b32_dpp v4, v0 row_shr:2 row_mask:0xf bank_mask:0xf
	v_mov_b32_dpp v5, v1 row_shr:2 row_mask:0xf bank_mask:0xf
	v_mov_b32_dpp v7, v6 row_shr:2 row_mask:0xf bank_mask:0xf
	v_pk_add_f32 v[0:1], v[0:1], v[4:5]
	v_add_f32_e32 v6, v6, v7
	s_nop 0
	v_mov_b32_dpp v4, v0 row_shr:4 row_mask:0xf bank_mask:0xe
	v_mov_b32_dpp v5, v1 row_shr:4 row_mask:0xf bank_mask:0xe
	v_mov_b32_dpp v7, v6 row_shr:4 row_mask:0xf bank_mask:0xe
	v_pk_add_f32 v[0:1], v[0:1], v[4:5]
	v_add_f32_e32 v6, v6, v7
	s_nop 0
	;; [unrolled: 6-line block ×3, first 2 shown]
	v_mov_b32_dpp v4, v0 row_bcast:15 row_mask:0xa bank_mask:0xf
	v_mov_b32_dpp v5, v1 row_bcast:15 row_mask:0xa bank_mask:0xf
	;; [unrolled: 1-line block ×3, first 2 shown]
	s_and_b64 exec, exec, vcc
	s_cbranch_execz .LBB18_22
; %bb.19:
	s_load_dwordx2 s[0:1], s[0:1], 0x38
	v_pk_add_f32 v[4:5], v[0:1], v[4:5]
	v_add_f32_e32 v0, v6, v7
	v_cmp_eq_f32_e64 s[2:3], s12, 0
	v_lshl_add_u32 v6, v2, 1, v2
	s_and_b64 vcc, exec, s[2:3]
	v_mul_f32_e32 v2, s14, v0
	v_ashrrev_i32_e32 v7, 31, v6
	s_cbranch_vccz .LBB18_23
; %bb.20:
	s_waitcnt lgkmcnt(0)
	v_lshl_add_u64 v[8:9], v[6:7], 2, s[0:1]
	v_pk_mul_f32 v[0:1], s[14:15], v[4:5] op_sel_hi:[0,1]
	global_store_dwordx3 v[8:9], v[0:2], off
	s_cbranch_execnz .LBB18_22
.LBB18_21:
	s_waitcnt lgkmcnt(0)
	v_lshl_add_u64 v[10:11], v[6:7], 2, s[0:1]
	global_load_dwordx3 v[6:8], v[10:11], off
	v_pk_mul_f32 v[0:1], s[14:15], v[4:5] op_sel_hi:[0,1]
	s_waitcnt vmcnt(0)
	v_pk_fma_f32 v[0:1], s[12:13], v[6:7], v[0:1] op_sel_hi:[0,1,1]
	v_fmac_f32_e32 v2, s12, v8
	global_store_dwordx3 v[10:11], v[0:2], off
.LBB18_22:
	s_endpgm
.LBB18_23:
	s_branch .LBB18_21
	.section	.rodata,"a",@progbits
	.p2align	6, 0x0
	.amdhsa_kernel _ZN9rocsparseL19gebsrmvn_3xn_kernelILj128ELj5ELj32EfEEvi20rocsparse_direction_NS_24const_host_device_scalarIT2_EEPKiS6_PKS3_S8_S4_PS3_21rocsparse_index_base_b
		.amdhsa_group_segment_fixed_size 0
		.amdhsa_private_segment_fixed_size 0
		.amdhsa_kernarg_size 72
		.amdhsa_user_sgpr_count 2
		.amdhsa_user_sgpr_dispatch_ptr 0
		.amdhsa_user_sgpr_queue_ptr 0
		.amdhsa_user_sgpr_kernarg_segment_ptr 1
		.amdhsa_user_sgpr_dispatch_id 0
		.amdhsa_user_sgpr_kernarg_preload_length 0
		.amdhsa_user_sgpr_kernarg_preload_offset 0
		.amdhsa_user_sgpr_private_segment_size 0
		.amdhsa_uses_dynamic_stack 0
		.amdhsa_enable_private_segment 0
		.amdhsa_system_sgpr_workgroup_id_x 1
		.amdhsa_system_sgpr_workgroup_id_y 0
		.amdhsa_system_sgpr_workgroup_id_z 0
		.amdhsa_system_sgpr_workgroup_info 0
		.amdhsa_system_vgpr_workitem_id 0
		.amdhsa_next_free_vgpr 38
		.amdhsa_next_free_sgpr 20
		.amdhsa_accum_offset 40
		.amdhsa_reserve_vcc 1
		.amdhsa_float_round_mode_32 0
		.amdhsa_float_round_mode_16_64 0
		.amdhsa_float_denorm_mode_32 3
		.amdhsa_float_denorm_mode_16_64 3
		.amdhsa_dx10_clamp 1
		.amdhsa_ieee_mode 1
		.amdhsa_fp16_overflow 0
		.amdhsa_tg_split 0
		.amdhsa_exception_fp_ieee_invalid_op 0
		.amdhsa_exception_fp_denorm_src 0
		.amdhsa_exception_fp_ieee_div_zero 0
		.amdhsa_exception_fp_ieee_overflow 0
		.amdhsa_exception_fp_ieee_underflow 0
		.amdhsa_exception_fp_ieee_inexact 0
		.amdhsa_exception_int_div_zero 0
	.end_amdhsa_kernel
	.section	.text._ZN9rocsparseL19gebsrmvn_3xn_kernelILj128ELj5ELj32EfEEvi20rocsparse_direction_NS_24const_host_device_scalarIT2_EEPKiS6_PKS3_S8_S4_PS3_21rocsparse_index_base_b,"axG",@progbits,_ZN9rocsparseL19gebsrmvn_3xn_kernelILj128ELj5ELj32EfEEvi20rocsparse_direction_NS_24const_host_device_scalarIT2_EEPKiS6_PKS3_S8_S4_PS3_21rocsparse_index_base_b,comdat
.Lfunc_end18:
	.size	_ZN9rocsparseL19gebsrmvn_3xn_kernelILj128ELj5ELj32EfEEvi20rocsparse_direction_NS_24const_host_device_scalarIT2_EEPKiS6_PKS3_S8_S4_PS3_21rocsparse_index_base_b, .Lfunc_end18-_ZN9rocsparseL19gebsrmvn_3xn_kernelILj128ELj5ELj32EfEEvi20rocsparse_direction_NS_24const_host_device_scalarIT2_EEPKiS6_PKS3_S8_S4_PS3_21rocsparse_index_base_b
                                        ; -- End function
	.section	.AMDGPU.csdata,"",@progbits
; Kernel info:
; codeLenInByte = 1816
; NumSgprs: 26
; NumVgprs: 38
; NumAgprs: 0
; TotalNumVgprs: 38
; ScratchSize: 0
; MemoryBound: 0
; FloatMode: 240
; IeeeMode: 1
; LDSByteSize: 0 bytes/workgroup (compile time only)
; SGPRBlocks: 3
; VGPRBlocks: 4
; NumSGPRsForWavesPerEU: 26
; NumVGPRsForWavesPerEU: 38
; AccumOffset: 40
; Occupancy: 8
; WaveLimiterHint : 1
; COMPUTE_PGM_RSRC2:SCRATCH_EN: 0
; COMPUTE_PGM_RSRC2:USER_SGPR: 2
; COMPUTE_PGM_RSRC2:TRAP_HANDLER: 0
; COMPUTE_PGM_RSRC2:TGID_X_EN: 1
; COMPUTE_PGM_RSRC2:TGID_Y_EN: 0
; COMPUTE_PGM_RSRC2:TGID_Z_EN: 0
; COMPUTE_PGM_RSRC2:TIDIG_COMP_CNT: 0
; COMPUTE_PGM_RSRC3_GFX90A:ACCUM_OFFSET: 9
; COMPUTE_PGM_RSRC3_GFX90A:TG_SPLIT: 0
	.section	.text._ZN9rocsparseL19gebsrmvn_3xn_kernelILj128ELj5ELj64EfEEvi20rocsparse_direction_NS_24const_host_device_scalarIT2_EEPKiS6_PKS3_S8_S4_PS3_21rocsparse_index_base_b,"axG",@progbits,_ZN9rocsparseL19gebsrmvn_3xn_kernelILj128ELj5ELj64EfEEvi20rocsparse_direction_NS_24const_host_device_scalarIT2_EEPKiS6_PKS3_S8_S4_PS3_21rocsparse_index_base_b,comdat
	.globl	_ZN9rocsparseL19gebsrmvn_3xn_kernelILj128ELj5ELj64EfEEvi20rocsparse_direction_NS_24const_host_device_scalarIT2_EEPKiS6_PKS3_S8_S4_PS3_21rocsparse_index_base_b ; -- Begin function _ZN9rocsparseL19gebsrmvn_3xn_kernelILj128ELj5ELj64EfEEvi20rocsparse_direction_NS_24const_host_device_scalarIT2_EEPKiS6_PKS3_S8_S4_PS3_21rocsparse_index_base_b
	.p2align	8
	.type	_ZN9rocsparseL19gebsrmvn_3xn_kernelILj128ELj5ELj64EfEEvi20rocsparse_direction_NS_24const_host_device_scalarIT2_EEPKiS6_PKS3_S8_S4_PS3_21rocsparse_index_base_b,@function
_ZN9rocsparseL19gebsrmvn_3xn_kernelILj128ELj5ELj64EfEEvi20rocsparse_direction_NS_24const_host_device_scalarIT2_EEPKiS6_PKS3_S8_S4_PS3_21rocsparse_index_base_b: ; @_ZN9rocsparseL19gebsrmvn_3xn_kernelILj128ELj5ELj64EfEEvi20rocsparse_direction_NS_24const_host_device_scalarIT2_EEPKiS6_PKS3_S8_S4_PS3_21rocsparse_index_base_b
; %bb.0:
	s_load_dwordx2 s[16:17], s[0:1], 0x40
	s_load_dwordx2 s[14:15], s[0:1], 0x8
	;; [unrolled: 1-line block ×3, first 2 shown]
	s_waitcnt lgkmcnt(0)
	s_bitcmp1_b32 s17, 0
	s_cselect_b64 s[6:7], -1, 0
	s_xor_b64 s[4:5], s[6:7], -1
	s_and_b64 vcc, exec, s[6:7]
	s_cbranch_vccnz .LBB19_2
; %bb.1:
	s_load_dword s14, s[14:15], 0x0
.LBB19_2:
	s_andn2_b64 vcc, exec, s[4:5]
	s_cbranch_vccnz .LBB19_4
; %bb.3:
	s_load_dword s12, s[12:13], 0x0
.LBB19_4:
	s_waitcnt lgkmcnt(0)
	v_cmp_eq_f32_e64 s[4:5], s14, 0
	v_cmp_eq_f32_e64 s[6:7], s12, 1.0
	s_and_b64 s[4:5], s[4:5], s[6:7]
	s_and_b64 vcc, exec, s[4:5]
	s_cbranch_vccnz .LBB19_22
; %bb.5:
	s_load_dwordx2 s[18:19], s[0:1], 0x0
	v_lshrrev_b32_e32 v1, 6, v0
	v_lshl_or_b32 v2, s2, 1, v1
	s_waitcnt lgkmcnt(0)
	v_cmp_gt_i32_e32 vcc, s18, v2
	s_and_saveexec_b64 s[2:3], vcc
	s_cbranch_execz .LBB19_22
; %bb.6:
	s_load_dwordx8 s[4:11], s[0:1], 0x10
	v_ashrrev_i32_e32 v3, 31, v2
	s_cmp_lg_u32 s19, 0
	s_waitcnt lgkmcnt(0)
	v_lshl_add_u64 v[4:5], v[2:3], 2, s[4:5]
	global_load_dwordx2 v[4:5], v[4:5], off
	v_and_b32_e32 v3, 63, v0
	s_waitcnt vmcnt(0)
	v_subrev_u32_e32 v0, s16, v4
	v_subrev_u32_e32 v13, s16, v5
	v_add_u32_e32 v0, v0, v3
	v_cmp_lt_i32_e64 s[2:3], v0, v13
	s_cbranch_scc0 .LBB19_12
; %bb.7:
	v_mov_b32_e32 v5, 0
	v_mov_b32_e32 v4, v5
	;; [unrolled: 1-line block ×3, first 2 shown]
	s_and_saveexec_b64 s[4:5], s[2:3]
	s_cbranch_execz .LBB19_11
; %bb.8:
	v_mad_u64_u32 v[6:7], s[18:19], v0, 15, 14
	v_mov_b32_e32 v9, 0
	s_mov_b64 s[18:19], 0
	v_mov_b32_e32 v10, v0
	v_mov_b32_e32 v12, 0
	;; [unrolled: 1-line block ×4, first 2 shown]
.LBB19_9:                               ; =>This Inner Loop Header: Depth=1
	v_ashrrev_i32_e32 v11, 31, v10
	v_lshl_add_u64 v[14:15], v[10:11], 2, s[6:7]
	global_load_dword v1, v[14:15], off
	v_add_u32_e32 v8, -14, v6
	v_lshl_add_u64 v[16:17], v[8:9], 2, s[8:9]
	v_add_u32_e32 v8, -13, v6
	v_lshl_add_u64 v[20:21], v[8:9], 2, s[8:9]
	;; [unrolled: 2-line block ×3, first 2 shown]
	v_add_u32_e32 v8, -11, v6
	v_mov_b32_e32 v7, v9
	global_load_dword v16, v[16:17], off
	v_lshl_add_u64 v[18:19], v[6:7], 2, s[8:9]
	global_load_dword v17, v[20:21], off
	v_lshl_add_u64 v[20:21], v[8:9], 2, s[8:9]
	global_load_dword v7, v[22:23], off
	global_load_dword v24, v[20:21], off
	v_mov_b32_e32 v15, v9
	v_add_u32_e32 v10, 64, v10
	v_cmp_ge_i32_e32 vcc, v10, v13
	s_or_b64 s[18:19], vcc, s[18:19]
	s_waitcnt vmcnt(4)
	v_subrev_u32_e32 v1, s16, v1
	v_lshl_add_u32 v14, v1, 2, v1
	v_add_u32_e32 v8, 1, v14
	v_lshl_add_u64 v[22:23], v[8:9], 2, s[10:11]
	v_add_u32_e32 v8, -10, v6
	v_lshl_add_u64 v[26:27], v[8:9], 2, s[8:9]
	v_add_u32_e32 v8, -9, v6
	;; [unrolled: 2-line block ×3, first 2 shown]
	v_lshl_add_u64 v[20:21], v[14:15], 2, s[10:11]
	global_load_dword v25, v[26:27], off
	v_lshl_add_u64 v[26:27], v[8:9], 2, s[8:9]
	v_add_u32_e32 v8, 2, v14
	global_load_dword v20, v[20:21], off
	s_nop 0
	global_load_dword v22, v[22:23], off
	s_nop 0
	global_load_dword v1, v[28:29], off
	global_load_dword v30, v[26:27], off
	v_lshl_add_u64 v[26:27], v[8:9], 2, s[10:11]
	v_add_u32_e32 v8, -7, v6
	v_lshl_add_u64 v[28:29], v[8:9], 2, s[8:9]
	v_add_u32_e32 v8, -6, v6
	;; [unrolled: 2-line block ×3, first 2 shown]
	global_load_dword v31, v[28:29], off
	v_lshl_add_u64 v[28:29], v[8:9], 2, s[8:9]
	v_add_u32_e32 v8, 3, v14
	global_load_dword v26, v[26:27], off
	s_nop 0
	global_load_dword v11, v[32:33], off
	global_load_dword v34, v[28:29], off
	v_lshl_add_u64 v[28:29], v[8:9], 2, s[10:11]
	v_add_u32_e32 v8, -4, v6
	v_lshl_add_u64 v[32:33], v[8:9], 2, s[8:9]
	v_add_u32_e32 v8, -3, v6
	;; [unrolled: 2-line block ×3, first 2 shown]
	global_load_dword v28, v[28:29], off
	s_waitcnt vmcnt(8)
	v_fmac_f32_e32 v12, v7, v20
	global_load_dword v35, v[32:33], off
	v_lshl_add_u64 v[32:33], v[8:9], 2, s[8:9]
	v_add_u32_e32 v8, 4, v14
	global_load_dword v21, v[36:37], off
	global_load_dword v14, v[32:33], off
	v_lshl_add_u64 v[32:33], v[8:9], 2, s[10:11]
	v_add_u32_e32 v8, -1, v6
	v_lshl_add_u64 v[36:37], v[8:9], 2, s[8:9]
	global_load_dword v32, v[32:33], off
	s_nop 0
	global_load_dword v15, v[36:37], off
	global_load_dword v8, v[18:19], off
	s_waitcnt vmcnt(12)
	v_fmac_f32_e32 v12, v1, v22
	v_add_u32_e32 v6, 0x3c0, v6
	s_waitcnt vmcnt(8)
	v_fmac_f32_e32 v12, v11, v26
	s_waitcnt vmcnt(4)
	v_pk_fma_f32 v[4:5], v[16:17], v[20:21], v[4:5] op_sel_hi:[1,0,1]
	s_nop 0
	v_pk_fma_f32 v[4:5], v[24:25], v[22:23], v[4:5] op_sel_hi:[1,0,1]
	v_fmac_f32_e32 v12, v21, v28
	v_pk_fma_f32 v[4:5], v[30:31], v[26:27], v[4:5] op_sel_hi:[1,0,1]
	s_waitcnt vmcnt(0)
	v_fmac_f32_e32 v12, v8, v32
	v_pk_fma_f32 v[4:5], v[34:35], v[28:29], v[4:5] op_sel_hi:[1,0,1]
	s_nop 0
	v_pk_fma_f32 v[4:5], v[14:15], v[32:33], v[4:5] op_sel_hi:[1,0,1]
	s_andn2_b64 exec, exec, s[18:19]
	s_cbranch_execnz .LBB19_9
; %bb.10:
	s_or_b64 exec, exec, s[18:19]
.LBB19_11:
	s_or_b64 exec, exec, s[4:5]
	s_cbranch_execz .LBB19_13
	s_branch .LBB19_18
.LBB19_12:
                                        ; implicit-def: $vgpr5
                                        ; implicit-def: $vgpr12
.LBB19_13:
	v_mov_b32_e32 v5, 0
	v_mov_b32_e32 v4, v5
	;; [unrolled: 1-line block ×3, first 2 shown]
	s_and_saveexec_b64 s[4:5], s[2:3]
	s_cbranch_execz .LBB19_17
; %bb.14:
	v_mad_u64_u32 v[6:7], s[2:3], v0, 15, 14
	v_mov_b32_e32 v9, 0
	s_mov_b64 s[2:3], 0
	v_mov_b32_e32 v12, 0
	v_mov_b32_e32 v4, v9
	;; [unrolled: 1-line block ×3, first 2 shown]
.LBB19_15:                              ; =>This Inner Loop Header: Depth=1
	v_ashrrev_i32_e32 v1, 31, v0
	v_lshl_add_u64 v[10:11], v[0:1], 2, s[6:7]
	global_load_dword v1, v[10:11], off
	v_add_u32_e32 v8, -14, v6
	v_add_u32_e32 v10, -9, v6
	;; [unrolled: 1-line block ×3, first 2 shown]
	v_mov_b32_e32 v11, v9
	v_mov_b32_e32 v15, v9
	v_lshl_add_u64 v[18:19], v[8:9], 2, s[8:9]
	v_add_u32_e32 v8, -13, v6
	v_mov_b32_e32 v7, v9
	v_lshl_add_u64 v[10:11], v[10:11], 2, s[8:9]
	v_lshl_add_u64 v[14:15], v[14:15], 2, s[8:9]
	;; [unrolled: 1-line block ×4, first 2 shown]
	global_load_dword v18, v[18:19], off
	s_nop 0
	global_load_dword v19, v[10:11], off
	global_load_dword v7, v[14:15], off
	;; [unrolled: 1-line block ×3, first 2 shown]
	v_mov_b32_e32 v17, v9
	v_add_u32_e32 v0, 64, v0
	v_cmp_ge_i32_e32 vcc, v0, v13
	s_or_b64 s[2:3], vcc, s[2:3]
	s_waitcnt vmcnt(4)
	v_subrev_u32_e32 v1, s16, v1
	v_lshl_add_u32 v16, v1, 2, v1
	v_add_u32_e32 v8, 1, v16
	v_lshl_add_u64 v[14:15], v[8:9], 2, s[10:11]
	v_add_u32_e32 v8, -8, v6
	v_lshl_add_u64 v[22:23], v[8:9], 2, s[8:9]
	v_add_u32_e32 v8, -3, v6
	;; [unrolled: 2-line block ×3, first 2 shown]
	v_lshl_add_u64 v[10:11], v[16:17], 2, s[10:11]
	global_load_dword v25, v[22:23], off
	v_lshl_add_u64 v[22:23], v[8:9], 2, s[8:9]
	v_add_u32_e32 v8, 2, v16
	global_load_dword v10, v[10:11], off
	s_nop 0
	global_load_dword v14, v[14:15], off
	s_nop 0
	global_load_dword v1, v[26:27], off
	global_load_dword v28, v[22:23], off
	v_lshl_add_u64 v[22:23], v[8:9], 2, s[10:11]
	v_add_u32_e32 v8, -7, v6
	v_lshl_add_u64 v[26:27], v[8:9], 2, s[8:9]
	v_add_u32_e32 v8, -2, v6
	;; [unrolled: 2-line block ×3, first 2 shown]
	global_load_dword v29, v[26:27], off
	v_lshl_add_u64 v[26:27], v[8:9], 2, s[8:9]
	v_add_u32_e32 v8, 3, v16
	global_load_dword v22, v[22:23], off
	s_nop 0
	global_load_dword v11, v[30:31], off
	global_load_dword v32, v[26:27], off
	v_lshl_add_u64 v[26:27], v[8:9], 2, s[10:11]
	v_add_u32_e32 v8, -6, v6
	v_lshl_add_u64 v[30:31], v[8:9], 2, s[8:9]
	v_add_u32_e32 v8, -1, v6
	v_lshl_add_u64 v[34:35], v[8:9], 2, s[8:9]
	v_add_u32_e32 v8, -10, v6
	global_load_dword v33, v[30:31], off
	v_lshl_add_u64 v[30:31], v[8:9], 2, s[8:9]
	v_add_u32_e32 v8, 4, v16
	global_load_dword v26, v[26:27], off
	s_nop 0
	global_load_dword v15, v[34:35], off
	global_load_dword v16, v[30:31], off
	v_lshl_add_u64 v[30:31], v[8:9], 2, s[10:11]
	v_add_u32_e32 v8, -5, v6
	v_lshl_add_u64 v[34:35], v[8:9], 2, s[8:9]
	global_load_dword v30, v[30:31], off
	s_nop 0
	global_load_dword v17, v[34:35], off
	global_load_dword v8, v[20:21], off
	v_add_u32_e32 v6, 0x3c0, v6
	s_waitcnt vmcnt(14)
	v_fmac_f32_e32 v12, v7, v10
	s_waitcnt vmcnt(12)
	v_fmac_f32_e32 v12, v1, v14
	s_waitcnt vmcnt(8)
	v_pk_fma_f32 v[4:5], v[18:19], v[10:11], v[4:5] op_sel_hi:[1,0,1]
	v_fmac_f32_e32 v12, v11, v22
	s_waitcnt vmcnt(4)
	v_pk_fma_f32 v[4:5], v[24:25], v[14:15], v[4:5] op_sel_hi:[1,0,1]
	s_nop 0
	v_pk_fma_f32 v[4:5], v[28:29], v[22:23], v[4:5] op_sel_hi:[1,0,1]
	v_fmac_f32_e32 v12, v15, v26
	v_pk_fma_f32 v[4:5], v[32:33], v[26:27], v[4:5] op_sel_hi:[1,0,1]
	s_waitcnt vmcnt(0)
	v_fmac_f32_e32 v12, v8, v30
	v_pk_fma_f32 v[4:5], v[16:17], v[30:31], v[4:5] op_sel_hi:[1,0,1]
	s_andn2_b64 exec, exec, s[2:3]
	s_cbranch_execnz .LBB19_15
; %bb.16:
	s_or_b64 exec, exec, s[2:3]
.LBB19_17:
	s_or_b64 exec, exec, s[4:5]
.LBB19_18:
	v_mov_b32_dpp v0, v4 row_shr:1 row_mask:0xf bank_mask:0xf
	v_mov_b32_dpp v1, v5 row_shr:1 row_mask:0xf bank_mask:0xf
	;; [unrolled: 1-line block ×3, first 2 shown]
	v_pk_add_f32 v[0:1], v[4:5], v[0:1]
	v_add_f32_e32 v6, v12, v6
	v_cmp_eq_u32_e32 vcc, 63, v3
	v_mov_b32_dpp v4, v0 row_shr:2 row_mask:0xf bank_mask:0xf
	v_mov_b32_dpp v5, v1 row_shr:2 row_mask:0xf bank_mask:0xf
	v_mov_b32_dpp v7, v6 row_shr:2 row_mask:0xf bank_mask:0xf
	v_pk_add_f32 v[0:1], v[0:1], v[4:5]
	v_add_f32_e32 v6, v6, v7
	s_nop 0
	v_mov_b32_dpp v4, v0 row_shr:4 row_mask:0xf bank_mask:0xe
	v_mov_b32_dpp v5, v1 row_shr:4 row_mask:0xf bank_mask:0xe
	v_mov_b32_dpp v7, v6 row_shr:4 row_mask:0xf bank_mask:0xe
	v_pk_add_f32 v[0:1], v[0:1], v[4:5]
	v_add_f32_e32 v6, v6, v7
	s_nop 0
	;; [unrolled: 6-line block ×3, first 2 shown]
	v_mov_b32_dpp v4, v0 row_bcast:15 row_mask:0xa bank_mask:0xf
	v_mov_b32_dpp v5, v1 row_bcast:15 row_mask:0xa bank_mask:0xf
	;; [unrolled: 1-line block ×3, first 2 shown]
	v_pk_add_f32 v[0:1], v[0:1], v[4:5]
	v_add_f32_e32 v6, v6, v7
	s_nop 0
	v_mov_b32_dpp v4, v0 row_bcast:31 row_mask:0xc bank_mask:0xf
	v_mov_b32_dpp v5, v1 row_bcast:31 row_mask:0xc bank_mask:0xf
	;; [unrolled: 1-line block ×3, first 2 shown]
	s_and_b64 exec, exec, vcc
	s_cbranch_execz .LBB19_22
; %bb.19:
	s_load_dwordx2 s[0:1], s[0:1], 0x38
	v_pk_add_f32 v[4:5], v[0:1], v[4:5]
	v_add_f32_e32 v0, v6, v7
	v_cmp_eq_f32_e64 s[2:3], s12, 0
	v_lshl_add_u32 v6, v2, 1, v2
	s_and_b64 vcc, exec, s[2:3]
	v_mul_f32_e32 v2, s14, v0
	v_ashrrev_i32_e32 v7, 31, v6
	s_cbranch_vccz .LBB19_23
; %bb.20:
	s_waitcnt lgkmcnt(0)
	v_lshl_add_u64 v[8:9], v[6:7], 2, s[0:1]
	v_pk_mul_f32 v[0:1], s[14:15], v[4:5] op_sel_hi:[0,1]
	global_store_dwordx3 v[8:9], v[0:2], off
	s_cbranch_execnz .LBB19_22
.LBB19_21:
	s_waitcnt lgkmcnt(0)
	v_lshl_add_u64 v[10:11], v[6:7], 2, s[0:1]
	global_load_dwordx3 v[6:8], v[10:11], off
	v_pk_mul_f32 v[0:1], s[14:15], v[4:5] op_sel_hi:[0,1]
	s_waitcnt vmcnt(0)
	v_pk_fma_f32 v[0:1], s[12:13], v[6:7], v[0:1] op_sel_hi:[0,1,1]
	v_fmac_f32_e32 v2, s12, v8
	global_store_dwordx3 v[10:11], v[0:2], off
.LBB19_22:
	s_endpgm
.LBB19_23:
	s_branch .LBB19_21
	.section	.rodata,"a",@progbits
	.p2align	6, 0x0
	.amdhsa_kernel _ZN9rocsparseL19gebsrmvn_3xn_kernelILj128ELj5ELj64EfEEvi20rocsparse_direction_NS_24const_host_device_scalarIT2_EEPKiS6_PKS3_S8_S4_PS3_21rocsparse_index_base_b
		.amdhsa_group_segment_fixed_size 0
		.amdhsa_private_segment_fixed_size 0
		.amdhsa_kernarg_size 72
		.amdhsa_user_sgpr_count 2
		.amdhsa_user_sgpr_dispatch_ptr 0
		.amdhsa_user_sgpr_queue_ptr 0
		.amdhsa_user_sgpr_kernarg_segment_ptr 1
		.amdhsa_user_sgpr_dispatch_id 0
		.amdhsa_user_sgpr_kernarg_preload_length 0
		.amdhsa_user_sgpr_kernarg_preload_offset 0
		.amdhsa_user_sgpr_private_segment_size 0
		.amdhsa_uses_dynamic_stack 0
		.amdhsa_enable_private_segment 0
		.amdhsa_system_sgpr_workgroup_id_x 1
		.amdhsa_system_sgpr_workgroup_id_y 0
		.amdhsa_system_sgpr_workgroup_id_z 0
		.amdhsa_system_sgpr_workgroup_info 0
		.amdhsa_system_vgpr_workitem_id 0
		.amdhsa_next_free_vgpr 38
		.amdhsa_next_free_sgpr 20
		.amdhsa_accum_offset 40
		.amdhsa_reserve_vcc 1
		.amdhsa_float_round_mode_32 0
		.amdhsa_float_round_mode_16_64 0
		.amdhsa_float_denorm_mode_32 3
		.amdhsa_float_denorm_mode_16_64 3
		.amdhsa_dx10_clamp 1
		.amdhsa_ieee_mode 1
		.amdhsa_fp16_overflow 0
		.amdhsa_tg_split 0
		.amdhsa_exception_fp_ieee_invalid_op 0
		.amdhsa_exception_fp_denorm_src 0
		.amdhsa_exception_fp_ieee_div_zero 0
		.amdhsa_exception_fp_ieee_overflow 0
		.amdhsa_exception_fp_ieee_underflow 0
		.amdhsa_exception_fp_ieee_inexact 0
		.amdhsa_exception_int_div_zero 0
	.end_amdhsa_kernel
	.section	.text._ZN9rocsparseL19gebsrmvn_3xn_kernelILj128ELj5ELj64EfEEvi20rocsparse_direction_NS_24const_host_device_scalarIT2_EEPKiS6_PKS3_S8_S4_PS3_21rocsparse_index_base_b,"axG",@progbits,_ZN9rocsparseL19gebsrmvn_3xn_kernelILj128ELj5ELj64EfEEvi20rocsparse_direction_NS_24const_host_device_scalarIT2_EEPKiS6_PKS3_S8_S4_PS3_21rocsparse_index_base_b,comdat
.Lfunc_end19:
	.size	_ZN9rocsparseL19gebsrmvn_3xn_kernelILj128ELj5ELj64EfEEvi20rocsparse_direction_NS_24const_host_device_scalarIT2_EEPKiS6_PKS3_S8_S4_PS3_21rocsparse_index_base_b, .Lfunc_end19-_ZN9rocsparseL19gebsrmvn_3xn_kernelILj128ELj5ELj64EfEEvi20rocsparse_direction_NS_24const_host_device_scalarIT2_EEPKiS6_PKS3_S8_S4_PS3_21rocsparse_index_base_b
                                        ; -- End function
	.section	.AMDGPU.csdata,"",@progbits
; Kernel info:
; codeLenInByte = 1856
; NumSgprs: 26
; NumVgprs: 38
; NumAgprs: 0
; TotalNumVgprs: 38
; ScratchSize: 0
; MemoryBound: 0
; FloatMode: 240
; IeeeMode: 1
; LDSByteSize: 0 bytes/workgroup (compile time only)
; SGPRBlocks: 3
; VGPRBlocks: 4
; NumSGPRsForWavesPerEU: 26
; NumVGPRsForWavesPerEU: 38
; AccumOffset: 40
; Occupancy: 8
; WaveLimiterHint : 1
; COMPUTE_PGM_RSRC2:SCRATCH_EN: 0
; COMPUTE_PGM_RSRC2:USER_SGPR: 2
; COMPUTE_PGM_RSRC2:TRAP_HANDLER: 0
; COMPUTE_PGM_RSRC2:TGID_X_EN: 1
; COMPUTE_PGM_RSRC2:TGID_Y_EN: 0
; COMPUTE_PGM_RSRC2:TGID_Z_EN: 0
; COMPUTE_PGM_RSRC2:TIDIG_COMP_CNT: 0
; COMPUTE_PGM_RSRC3_GFX90A:ACCUM_OFFSET: 9
; COMPUTE_PGM_RSRC3_GFX90A:TG_SPLIT: 0
	.section	.text._ZN9rocsparseL19gebsrmvn_3xn_kernelILj128ELj6ELj4EfEEvi20rocsparse_direction_NS_24const_host_device_scalarIT2_EEPKiS6_PKS3_S8_S4_PS3_21rocsparse_index_base_b,"axG",@progbits,_ZN9rocsparseL19gebsrmvn_3xn_kernelILj128ELj6ELj4EfEEvi20rocsparse_direction_NS_24const_host_device_scalarIT2_EEPKiS6_PKS3_S8_S4_PS3_21rocsparse_index_base_b,comdat
	.globl	_ZN9rocsparseL19gebsrmvn_3xn_kernelILj128ELj6ELj4EfEEvi20rocsparse_direction_NS_24const_host_device_scalarIT2_EEPKiS6_PKS3_S8_S4_PS3_21rocsparse_index_base_b ; -- Begin function _ZN9rocsparseL19gebsrmvn_3xn_kernelILj128ELj6ELj4EfEEvi20rocsparse_direction_NS_24const_host_device_scalarIT2_EEPKiS6_PKS3_S8_S4_PS3_21rocsparse_index_base_b
	.p2align	8
	.type	_ZN9rocsparseL19gebsrmvn_3xn_kernelILj128ELj6ELj4EfEEvi20rocsparse_direction_NS_24const_host_device_scalarIT2_EEPKiS6_PKS3_S8_S4_PS3_21rocsparse_index_base_b,@function
_ZN9rocsparseL19gebsrmvn_3xn_kernelILj128ELj6ELj4EfEEvi20rocsparse_direction_NS_24const_host_device_scalarIT2_EEPKiS6_PKS3_S8_S4_PS3_21rocsparse_index_base_b: ; @_ZN9rocsparseL19gebsrmvn_3xn_kernelILj128ELj6ELj4EfEEvi20rocsparse_direction_NS_24const_host_device_scalarIT2_EEPKiS6_PKS3_S8_S4_PS3_21rocsparse_index_base_b
; %bb.0:
	s_load_dwordx2 s[16:17], s[0:1], 0x40
	s_load_dwordx2 s[14:15], s[0:1], 0x8
	;; [unrolled: 1-line block ×3, first 2 shown]
	s_waitcnt lgkmcnt(0)
	s_bitcmp1_b32 s17, 0
	s_cselect_b64 s[6:7], -1, 0
	s_xor_b64 s[4:5], s[6:7], -1
	s_and_b64 vcc, exec, s[6:7]
	s_cbranch_vccnz .LBB20_2
; %bb.1:
	s_load_dword s14, s[14:15], 0x0
.LBB20_2:
	s_andn2_b64 vcc, exec, s[4:5]
	s_cbranch_vccnz .LBB20_4
; %bb.3:
	s_load_dword s12, s[12:13], 0x0
.LBB20_4:
	s_waitcnt lgkmcnt(0)
	v_cmp_eq_f32_e64 s[4:5], s14, 0
	v_cmp_eq_f32_e64 s[6:7], s12, 1.0
	s_and_b64 s[4:5], s[4:5], s[6:7]
	s_and_b64 vcc, exec, s[4:5]
	s_cbranch_vccnz .LBB20_22
; %bb.5:
	s_load_dwordx2 s[18:19], s[0:1], 0x0
	v_lshrrev_b32_e32 v1, 2, v0
	v_lshl_or_b32 v2, s2, 5, v1
	s_waitcnt lgkmcnt(0)
	v_cmp_gt_i32_e32 vcc, s18, v2
	s_and_saveexec_b64 s[2:3], vcc
	s_cbranch_execz .LBB20_22
; %bb.6:
	s_load_dwordx8 s[4:11], s[0:1], 0x10
	v_ashrrev_i32_e32 v3, 31, v2
	s_cmp_lg_u32 s19, 0
	s_waitcnt lgkmcnt(0)
	v_lshl_add_u64 v[4:5], v[2:3], 2, s[4:5]
	global_load_dwordx2 v[4:5], v[4:5], off
	v_and_b32_e32 v3, 3, v0
	s_waitcnt vmcnt(0)
	v_subrev_u32_e32 v0, s16, v4
	v_subrev_u32_e32 v12, s16, v5
	v_add_u32_e32 v0, v0, v3
	v_cmp_lt_i32_e64 s[2:3], v0, v12
	s_cbranch_scc0 .LBB20_12
; %bb.7:
	v_mov_b32_e32 v5, 0
	v_mov_b32_e32 v4, v5
	;; [unrolled: 1-line block ×3, first 2 shown]
	s_and_saveexec_b64 s[4:5], s[2:3]
	s_cbranch_execz .LBB20_11
; %bb.8:
	v_mad_u64_u32 v[6:7], s[18:19], v0, 18, 17
	v_mov_b32_e32 v9, 0
	s_mov_b64 s[18:19], 0
	v_mov_b32_e32 v10, v0
	v_mov_b32_e32 v4, v9
	;; [unrolled: 1-line block ×4, first 2 shown]
.LBB20_9:                               ; =>This Inner Loop Header: Depth=1
	v_ashrrev_i32_e32 v11, 31, v10
	v_lshl_add_u64 v[14:15], v[10:11], 2, s[6:7]
	global_load_dword v1, v[14:15], off
	v_subrev_u32_e32 v8, 17, v6
	v_lshl_add_u64 v[16:17], v[8:9], 2, s[8:9]
	v_add_u32_e32 v8, -15, v6
	v_lshl_add_u64 v[20:21], v[8:9], 2, s[8:9]
	v_add_u32_e32 v8, -14, v6
	v_mov_b32_e32 v7, v9
	v_lshl_add_u64 v[22:23], v[8:9], 2, s[8:9]
	v_add_u32_e32 v8, -13, v6
	v_lshl_add_u64 v[18:19], v[6:7], 2, s[8:9]
	global_load_dwordx2 v[16:17], v[16:17], off
	v_mov_b32_e32 v15, v9
	global_load_dword v7, v[20:21], off
	v_add_u32_e32 v10, 4, v10
	global_load_dword v22, v[22:23], off
	v_lshl_add_u64 v[20:21], v[8:9], 2, s[8:9]
	v_add_u32_e32 v8, -12, v6
	v_lshl_add_u64 v[24:25], v[8:9], 2, s[8:9]
	v_add_u32_e32 v8, -11, v6
	global_load_dword v23, v[20:21], off
	v_lshl_add_u64 v[20:21], v[8:9], 2, s[8:9]
	global_load_dword v11, v[24:25], off
	global_load_dword v26, v[20:21], off
	v_cmp_ge_i32_e32 vcc, v10, v12
	s_or_b64 s[18:19], vcc, s[18:19]
	s_waitcnt vmcnt(6)
	v_subrev_u32_e32 v1, s16, v1
	v_mul_lo_u32 v14, v1, 6
	v_add_u32_e32 v8, 2, v14
	v_lshl_add_u64 v[24:25], v[8:9], 2, s[10:11]
	v_add_u32_e32 v8, -10, v6
	v_lshl_add_u64 v[28:29], v[8:9], 2, s[8:9]
	v_add_u32_e32 v8, -9, v6
	;; [unrolled: 2-line block ×3, first 2 shown]
	global_load_dword v27, v[28:29], off
	global_load_dword v1, v[30:31], off
	v_lshl_add_u64 v[28:29], v[8:9], 2, s[8:9]
	v_add_u32_e32 v8, -7, v6
	v_lshl_add_u64 v[30:31], v[8:9], 2, s[8:9]
	v_add_u32_e32 v8, -6, v6
	v_lshl_add_u64 v[20:21], v[14:15], 2, s[10:11]
	v_lshl_add_u64 v[32:33], v[8:9], 2, s[8:9]
	v_add_u32_e32 v8, -5, v6
	global_load_dwordx2 v[20:21], v[20:21], off
	s_nop 0
	global_load_dwordx2 v[24:25], v[24:25], off
	s_waitcnt vmcnt(1)
	v_fmac_f32_e32 v13, v7, v20
	global_load_dword v28, v[28:29], off
	v_pk_fma_f32 v[4:5], v[16:17], v[20:21], v[4:5] op_sel_hi:[1,0,1]
	global_load_dword v29, v[30:31], off
	v_lshl_add_u64 v[30:31], v[8:9], 2, s[8:9]
	v_add_u32_e32 v8, 4, v14
	global_load_dword v38, v[32:33], off
	global_load_dword v14, v[30:31], off
	v_lshl_add_u64 v[30:31], v[8:9], 2, s[10:11]
	v_add_u32_e32 v8, -4, v6
	v_lshl_add_u64 v[32:33], v[8:9], 2, s[8:9]
	v_add_u32_e32 v8, -3, v6
	;; [unrolled: 2-line block ×3, first 2 shown]
	global_load_dwordx2 v[30:31], v[30:31], off
	v_fmac_f32_e32 v13, v11, v21
	global_load_dword v15, v[32:33], off
	global_load_dword v39, v[34:35], off
	v_lshl_add_u64 v[32:33], v[8:9], 2, s[8:9]
	v_add_u32_e32 v8, -1, v6
	v_lshl_add_u64 v[34:35], v[8:9], 2, s[8:9]
	global_load_dword v36, v[32:33], off
	global_load_dword v37, v[34:35], off
	;; [unrolled: 1-line block ×3, first 2 shown]
	v_pk_fma_f32 v[4:5], v[22:23], v[20:21], v[4:5] op_sel:[0,1,0]
	s_waitcnt vmcnt(10)
	v_fmac_f32_e32 v13, v1, v24
	v_pk_fma_f32 v[4:5], v[26:27], v[24:25], v[4:5] op_sel_hi:[1,0,1]
	v_add_u32_e32 v6, 0x48, v6
	s_waitcnt vmcnt(8)
	v_pk_fma_f32 v[4:5], v[28:29], v[24:25], v[4:5] op_sel:[0,1,0]
	s_waitcnt vmcnt(7)
	v_fmac_f32_e32 v13, v38, v25
	s_waitcnt vmcnt(4)
	v_pk_fma_f32 v[4:5], v[14:15], v[30:31], v[4:5] op_sel_hi:[1,0,1]
	s_waitcnt vmcnt(3)
	v_fmac_f32_e32 v13, v39, v30
	s_waitcnt vmcnt(1)
	v_pk_fma_f32 v[4:5], v[36:37], v[30:31], v[4:5] op_sel:[0,1,0]
	s_waitcnt vmcnt(0)
	v_fmac_f32_e32 v13, v8, v31
	s_andn2_b64 exec, exec, s[18:19]
	s_cbranch_execnz .LBB20_9
; %bb.10:
	s_or_b64 exec, exec, s[18:19]
.LBB20_11:
	s_or_b64 exec, exec, s[4:5]
	s_cbranch_execz .LBB20_13
	s_branch .LBB20_18
.LBB20_12:
                                        ; implicit-def: $vgpr5
                                        ; implicit-def: $vgpr13
.LBB20_13:
	v_mov_b32_e32 v5, 0
	v_mov_b32_e32 v4, v5
	;; [unrolled: 1-line block ×3, first 2 shown]
	s_and_saveexec_b64 s[4:5], s[2:3]
	s_cbranch_execz .LBB20_17
; %bb.14:
	v_mad_u64_u32 v[6:7], s[2:3], v0, 18, 17
	v_mov_b32_e32 v9, 0
	s_mov_b64 s[2:3], 0
	v_mov_b32_e32 v4, v9
	v_mov_b32_e32 v13, 0
	;; [unrolled: 1-line block ×3, first 2 shown]
.LBB20_15:                              ; =>This Inner Loop Header: Depth=1
	v_ashrrev_i32_e32 v1, 31, v0
	v_lshl_add_u64 v[10:11], v[0:1], 2, s[6:7]
	global_load_dword v1, v[10:11], off
	v_subrev_u32_e32 v8, 17, v6
	v_add_u32_e32 v10, -11, v6
	v_mov_b32_e32 v11, v9
	v_lshl_add_u64 v[18:19], v[8:9], 2, s[8:9]
	v_add_u32_e32 v8, -10, v6
	v_add_u32_e32 v14, -5, v6
	v_mov_b32_e32 v15, v9
	v_mov_b32_e32 v7, v9
	v_lshl_add_u64 v[10:11], v[10:11], 2, s[8:9]
	v_lshl_add_u64 v[22:23], v[8:9], 2, s[8:9]
	v_add_u32_e32 v8, -4, v6
	v_lshl_add_u64 v[14:15], v[14:15], 2, s[8:9]
	v_lshl_add_u64 v[20:21], v[6:7], 2, s[8:9]
	global_load_dwordx2 v[18:19], v[18:19], off
	s_nop 0
	global_load_dword v25, v[10:11], off
	global_load_dword v7, v[14:15], off
	v_lshl_add_u64 v[10:11], v[8:9], 2, s[8:9]
	v_add_u32_e32 v8, -15, v6
	global_load_dword v15, v[22:23], off
	v_lshl_add_u64 v[22:23], v[8:9], 2, s[8:9]
	global_load_dword v38, v[10:11], off
	global_load_dword v26, v[22:23], off
	v_mov_b32_e32 v17, v9
	v_add_u32_e32 v0, 4, v0
	v_cmp_ge_i32_e32 vcc, v0, v12
	s_or_b64 s[2:3], vcc, s[2:3]
	s_waitcnt vmcnt(6)
	v_subrev_u32_e32 v1, s16, v1
	v_mul_lo_u32 v16, v1, 6
	v_add_u32_e32 v8, 2, v16
	v_lshl_add_u64 v[22:23], v[8:9], 2, s[10:11]
	v_add_u32_e32 v8, -9, v6
	v_lshl_add_u64 v[28:29], v[8:9], 2, s[8:9]
	v_add_u32_e32 v8, -3, v6
	;; [unrolled: 2-line block ×3, first 2 shown]
	global_load_dword v27, v[28:29], off
	global_load_dword v1, v[30:31], off
	v_lshl_add_u64 v[28:29], v[8:9], 2, s[8:9]
	v_add_u32_e32 v8, -8, v6
	v_lshl_add_u64 v[30:31], v[8:9], 2, s[8:9]
	v_add_u32_e32 v8, -2, v6
	v_lshl_add_u64 v[10:11], v[16:17], 2, s[10:11]
	v_lshl_add_u64 v[32:33], v[8:9], 2, s[8:9]
	v_add_u32_e32 v8, -13, v6
	global_load_dwordx2 v[10:11], v[10:11], off
	s_waitcnt vmcnt(8)
	v_mov_b32_e32 v24, v18
	global_load_dwordx2 v[22:23], v[22:23], off
	v_mov_b32_e32 v14, v19
	global_load_dword v28, v[28:29], off
	s_waitcnt vmcnt(2)
	v_fmac_f32_e32 v13, v7, v10
	global_load_dword v29, v[30:31], off
	v_lshl_add_u64 v[30:31], v[8:9], 2, s[8:9]
	v_add_u32_e32 v8, 4, v16
	global_load_dword v39, v[32:33], off
	global_load_dword v16, v[30:31], off
	v_lshl_add_u64 v[30:31], v[8:9], 2, s[10:11]
	v_add_u32_e32 v8, -7, v6
	v_lshl_add_u64 v[32:33], v[8:9], 2, s[8:9]
	v_add_u32_e32 v8, -1, v6
	;; [unrolled: 2-line block ×3, first 2 shown]
	global_load_dwordx2 v[30:31], v[30:31], off
	v_pk_fma_f32 v[4:5], v[24:25], v[10:11], v[4:5] op_sel_hi:[1,0,1]
	global_load_dword v17, v[32:33], off
	global_load_dword v40, v[34:35], off
	v_lshl_add_u64 v[32:33], v[8:9], 2, s[8:9]
	v_add_u32_e32 v8, -6, v6
	v_lshl_add_u64 v[34:35], v[8:9], 2, s[8:9]
	global_load_dword v36, v[32:33], off
	global_load_dword v37, v[34:35], off
	;; [unrolled: 1-line block ×3, first 2 shown]
	v_fmac_f32_e32 v13, v38, v11
	v_pk_fma_f32 v[4:5], v[14:15], v[10:11], v[4:5] op_sel:[0,1,0]
	s_waitcnt vmcnt(10)
	v_fmac_f32_e32 v13, v1, v22
	v_pk_fma_f32 v[4:5], v[26:27], v[22:23], v[4:5] op_sel_hi:[1,0,1]
	v_add_u32_e32 v6, 0x48, v6
	s_waitcnt vmcnt(8)
	v_pk_fma_f32 v[4:5], v[28:29], v[22:23], v[4:5] op_sel:[0,1,0]
	s_waitcnt vmcnt(7)
	v_fmac_f32_e32 v13, v39, v23
	s_waitcnt vmcnt(4)
	v_pk_fma_f32 v[4:5], v[16:17], v[30:31], v[4:5] op_sel_hi:[1,0,1]
	s_waitcnt vmcnt(3)
	v_fmac_f32_e32 v13, v40, v30
	s_waitcnt vmcnt(1)
	v_pk_fma_f32 v[4:5], v[36:37], v[30:31], v[4:5] op_sel:[0,1,0]
	s_waitcnt vmcnt(0)
	v_fmac_f32_e32 v13, v8, v31
	s_andn2_b64 exec, exec, s[2:3]
	s_cbranch_execnz .LBB20_15
; %bb.16:
	s_or_b64 exec, exec, s[2:3]
.LBB20_17:
	s_or_b64 exec, exec, s[4:5]
.LBB20_18:
	v_mov_b32_dpp v0, v4 row_shr:1 row_mask:0xf bank_mask:0xf
	v_mov_b32_dpp v1, v5 row_shr:1 row_mask:0xf bank_mask:0xf
	;; [unrolled: 1-line block ×3, first 2 shown]
	v_pk_add_f32 v[0:1], v[4:5], v[0:1]
	v_add_f32_e32 v6, v13, v6
	v_cmp_eq_u32_e32 vcc, 3, v3
	v_mov_b32_dpp v4, v0 row_shr:2 row_mask:0xf bank_mask:0xf
	v_mov_b32_dpp v5, v1 row_shr:2 row_mask:0xf bank_mask:0xf
	;; [unrolled: 1-line block ×3, first 2 shown]
	s_and_b64 exec, exec, vcc
	s_cbranch_execz .LBB20_22
; %bb.19:
	s_load_dwordx2 s[0:1], s[0:1], 0x38
	v_pk_add_f32 v[4:5], v[0:1], v[4:5]
	v_add_f32_e32 v0, v6, v7
	v_cmp_eq_f32_e64 s[2:3], s12, 0
	v_lshl_add_u32 v6, v2, 1, v2
	s_and_b64 vcc, exec, s[2:3]
	v_mul_f32_e32 v2, s14, v0
	v_ashrrev_i32_e32 v7, 31, v6
	s_cbranch_vccz .LBB20_23
; %bb.20:
	s_waitcnt lgkmcnt(0)
	v_lshl_add_u64 v[8:9], v[6:7], 2, s[0:1]
	v_pk_mul_f32 v[0:1], s[14:15], v[4:5] op_sel_hi:[0,1]
	global_store_dwordx3 v[8:9], v[0:2], off
	s_cbranch_execnz .LBB20_22
.LBB20_21:
	s_waitcnt lgkmcnt(0)
	v_lshl_add_u64 v[10:11], v[6:7], 2, s[0:1]
	global_load_dwordx3 v[6:8], v[10:11], off
	v_pk_mul_f32 v[0:1], s[14:15], v[4:5] op_sel_hi:[0,1]
	s_waitcnt vmcnt(0)
	v_pk_fma_f32 v[0:1], s[12:13], v[6:7], v[0:1] op_sel_hi:[0,1,1]
	v_fmac_f32_e32 v2, s12, v8
	global_store_dwordx3 v[10:11], v[0:2], off
.LBB20_22:
	s_endpgm
.LBB20_23:
	s_branch .LBB20_21
	.section	.rodata,"a",@progbits
	.p2align	6, 0x0
	.amdhsa_kernel _ZN9rocsparseL19gebsrmvn_3xn_kernelILj128ELj6ELj4EfEEvi20rocsparse_direction_NS_24const_host_device_scalarIT2_EEPKiS6_PKS3_S8_S4_PS3_21rocsparse_index_base_b
		.amdhsa_group_segment_fixed_size 0
		.amdhsa_private_segment_fixed_size 0
		.amdhsa_kernarg_size 72
		.amdhsa_user_sgpr_count 2
		.amdhsa_user_sgpr_dispatch_ptr 0
		.amdhsa_user_sgpr_queue_ptr 0
		.amdhsa_user_sgpr_kernarg_segment_ptr 1
		.amdhsa_user_sgpr_dispatch_id 0
		.amdhsa_user_sgpr_kernarg_preload_length 0
		.amdhsa_user_sgpr_kernarg_preload_offset 0
		.amdhsa_user_sgpr_private_segment_size 0
		.amdhsa_uses_dynamic_stack 0
		.amdhsa_enable_private_segment 0
		.amdhsa_system_sgpr_workgroup_id_x 1
		.amdhsa_system_sgpr_workgroup_id_y 0
		.amdhsa_system_sgpr_workgroup_id_z 0
		.amdhsa_system_sgpr_workgroup_info 0
		.amdhsa_system_vgpr_workitem_id 0
		.amdhsa_next_free_vgpr 41
		.amdhsa_next_free_sgpr 20
		.amdhsa_accum_offset 44
		.amdhsa_reserve_vcc 1
		.amdhsa_float_round_mode_32 0
		.amdhsa_float_round_mode_16_64 0
		.amdhsa_float_denorm_mode_32 3
		.amdhsa_float_denorm_mode_16_64 3
		.amdhsa_dx10_clamp 1
		.amdhsa_ieee_mode 1
		.amdhsa_fp16_overflow 0
		.amdhsa_tg_split 0
		.amdhsa_exception_fp_ieee_invalid_op 0
		.amdhsa_exception_fp_denorm_src 0
		.amdhsa_exception_fp_ieee_div_zero 0
		.amdhsa_exception_fp_ieee_overflow 0
		.amdhsa_exception_fp_ieee_underflow 0
		.amdhsa_exception_fp_ieee_inexact 0
		.amdhsa_exception_int_div_zero 0
	.end_amdhsa_kernel
	.section	.text._ZN9rocsparseL19gebsrmvn_3xn_kernelILj128ELj6ELj4EfEEvi20rocsparse_direction_NS_24const_host_device_scalarIT2_EEPKiS6_PKS3_S8_S4_PS3_21rocsparse_index_base_b,"axG",@progbits,_ZN9rocsparseL19gebsrmvn_3xn_kernelILj128ELj6ELj4EfEEvi20rocsparse_direction_NS_24const_host_device_scalarIT2_EEPKiS6_PKS3_S8_S4_PS3_21rocsparse_index_base_b,comdat
.Lfunc_end20:
	.size	_ZN9rocsparseL19gebsrmvn_3xn_kernelILj128ELj6ELj4EfEEvi20rocsparse_direction_NS_24const_host_device_scalarIT2_EEPKiS6_PKS3_S8_S4_PS3_21rocsparse_index_base_b, .Lfunc_end20-_ZN9rocsparseL19gebsrmvn_3xn_kernelILj128ELj6ELj4EfEEvi20rocsparse_direction_NS_24const_host_device_scalarIT2_EEPKiS6_PKS3_S8_S4_PS3_21rocsparse_index_base_b
                                        ; -- End function
	.section	.AMDGPU.csdata,"",@progbits
; Kernel info:
; codeLenInByte = 1712
; NumSgprs: 26
; NumVgprs: 41
; NumAgprs: 0
; TotalNumVgprs: 41
; ScratchSize: 0
; MemoryBound: 0
; FloatMode: 240
; IeeeMode: 1
; LDSByteSize: 0 bytes/workgroup (compile time only)
; SGPRBlocks: 3
; VGPRBlocks: 5
; NumSGPRsForWavesPerEU: 26
; NumVGPRsForWavesPerEU: 41
; AccumOffset: 44
; Occupancy: 8
; WaveLimiterHint : 1
; COMPUTE_PGM_RSRC2:SCRATCH_EN: 0
; COMPUTE_PGM_RSRC2:USER_SGPR: 2
; COMPUTE_PGM_RSRC2:TRAP_HANDLER: 0
; COMPUTE_PGM_RSRC2:TGID_X_EN: 1
; COMPUTE_PGM_RSRC2:TGID_Y_EN: 0
; COMPUTE_PGM_RSRC2:TGID_Z_EN: 0
; COMPUTE_PGM_RSRC2:TIDIG_COMP_CNT: 0
; COMPUTE_PGM_RSRC3_GFX90A:ACCUM_OFFSET: 10
; COMPUTE_PGM_RSRC3_GFX90A:TG_SPLIT: 0
	.section	.text._ZN9rocsparseL19gebsrmvn_3xn_kernelILj128ELj6ELj8EfEEvi20rocsparse_direction_NS_24const_host_device_scalarIT2_EEPKiS6_PKS3_S8_S4_PS3_21rocsparse_index_base_b,"axG",@progbits,_ZN9rocsparseL19gebsrmvn_3xn_kernelILj128ELj6ELj8EfEEvi20rocsparse_direction_NS_24const_host_device_scalarIT2_EEPKiS6_PKS3_S8_S4_PS3_21rocsparse_index_base_b,comdat
	.globl	_ZN9rocsparseL19gebsrmvn_3xn_kernelILj128ELj6ELj8EfEEvi20rocsparse_direction_NS_24const_host_device_scalarIT2_EEPKiS6_PKS3_S8_S4_PS3_21rocsparse_index_base_b ; -- Begin function _ZN9rocsparseL19gebsrmvn_3xn_kernelILj128ELj6ELj8EfEEvi20rocsparse_direction_NS_24const_host_device_scalarIT2_EEPKiS6_PKS3_S8_S4_PS3_21rocsparse_index_base_b
	.p2align	8
	.type	_ZN9rocsparseL19gebsrmvn_3xn_kernelILj128ELj6ELj8EfEEvi20rocsparse_direction_NS_24const_host_device_scalarIT2_EEPKiS6_PKS3_S8_S4_PS3_21rocsparse_index_base_b,@function
_ZN9rocsparseL19gebsrmvn_3xn_kernelILj128ELj6ELj8EfEEvi20rocsparse_direction_NS_24const_host_device_scalarIT2_EEPKiS6_PKS3_S8_S4_PS3_21rocsparse_index_base_b: ; @_ZN9rocsparseL19gebsrmvn_3xn_kernelILj128ELj6ELj8EfEEvi20rocsparse_direction_NS_24const_host_device_scalarIT2_EEPKiS6_PKS3_S8_S4_PS3_21rocsparse_index_base_b
; %bb.0:
	s_load_dwordx2 s[16:17], s[0:1], 0x40
	s_load_dwordx2 s[14:15], s[0:1], 0x8
	;; [unrolled: 1-line block ×3, first 2 shown]
	s_waitcnt lgkmcnt(0)
	s_bitcmp1_b32 s17, 0
	s_cselect_b64 s[6:7], -1, 0
	s_xor_b64 s[4:5], s[6:7], -1
	s_and_b64 vcc, exec, s[6:7]
	s_cbranch_vccnz .LBB21_2
; %bb.1:
	s_load_dword s14, s[14:15], 0x0
.LBB21_2:
	s_andn2_b64 vcc, exec, s[4:5]
	s_cbranch_vccnz .LBB21_4
; %bb.3:
	s_load_dword s12, s[12:13], 0x0
.LBB21_4:
	s_waitcnt lgkmcnt(0)
	v_cmp_eq_f32_e64 s[4:5], s14, 0
	v_cmp_eq_f32_e64 s[6:7], s12, 1.0
	s_and_b64 s[4:5], s[4:5], s[6:7]
	s_and_b64 vcc, exec, s[4:5]
	s_cbranch_vccnz .LBB21_22
; %bb.5:
	s_load_dwordx2 s[18:19], s[0:1], 0x0
	v_lshrrev_b32_e32 v1, 3, v0
	v_lshl_or_b32 v2, s2, 4, v1
	s_waitcnt lgkmcnt(0)
	v_cmp_gt_i32_e32 vcc, s18, v2
	s_and_saveexec_b64 s[2:3], vcc
	s_cbranch_execz .LBB21_22
; %bb.6:
	s_load_dwordx8 s[4:11], s[0:1], 0x10
	v_ashrrev_i32_e32 v3, 31, v2
	s_cmp_lg_u32 s19, 0
	s_waitcnt lgkmcnt(0)
	v_lshl_add_u64 v[4:5], v[2:3], 2, s[4:5]
	global_load_dwordx2 v[4:5], v[4:5], off
	v_and_b32_e32 v3, 7, v0
	s_waitcnt vmcnt(0)
	v_subrev_u32_e32 v0, s16, v4
	v_subrev_u32_e32 v13, s16, v5
	v_add_u32_e32 v0, v0, v3
	v_cmp_lt_i32_e64 s[2:3], v0, v13
	s_cbranch_scc0 .LBB21_12
; %bb.7:
	v_mov_b32_e32 v5, 0
	v_mov_b32_e32 v4, v5
	;; [unrolled: 1-line block ×3, first 2 shown]
	s_and_saveexec_b64 s[4:5], s[2:3]
	s_cbranch_execz .LBB21_11
; %bb.8:
	v_mad_u64_u32 v[6:7], s[18:19], v0, 18, 17
	v_mov_b32_e32 v9, 0
	s_mov_b64 s[18:19], 0
	v_mov_b32_e32 v10, v0
	v_mov_b32_e32 v12, 0
	;; [unrolled: 1-line block ×4, first 2 shown]
.LBB21_9:                               ; =>This Inner Loop Header: Depth=1
	v_ashrrev_i32_e32 v11, 31, v10
	v_lshl_add_u64 v[14:15], v[10:11], 2, s[6:7]
	global_load_dword v1, v[14:15], off
	v_subrev_u32_e32 v8, 17, v6
	v_lshl_add_u64 v[16:17], v[8:9], 2, s[8:9]
	v_add_u32_e32 v8, -15, v6
	v_lshl_add_u64 v[20:21], v[8:9], 2, s[8:9]
	v_add_u32_e32 v8, -14, v6
	v_mov_b32_e32 v7, v9
	v_lshl_add_u64 v[22:23], v[8:9], 2, s[8:9]
	v_add_u32_e32 v8, -13, v6
	v_lshl_add_u64 v[18:19], v[6:7], 2, s[8:9]
	global_load_dwordx2 v[16:17], v[16:17], off
	v_mov_b32_e32 v15, v9
	global_load_dword v7, v[20:21], off
	v_add_u32_e32 v10, 8, v10
	global_load_dword v22, v[22:23], off
	v_lshl_add_u64 v[20:21], v[8:9], 2, s[8:9]
	v_add_u32_e32 v8, -12, v6
	v_lshl_add_u64 v[24:25], v[8:9], 2, s[8:9]
	v_add_u32_e32 v8, -11, v6
	global_load_dword v23, v[20:21], off
	v_lshl_add_u64 v[20:21], v[8:9], 2, s[8:9]
	global_load_dword v11, v[24:25], off
	global_load_dword v26, v[20:21], off
	v_cmp_ge_i32_e32 vcc, v10, v13
	s_or_b64 s[18:19], vcc, s[18:19]
	s_waitcnt vmcnt(6)
	v_subrev_u32_e32 v1, s16, v1
	v_mul_lo_u32 v14, v1, 6
	v_add_u32_e32 v8, 2, v14
	v_lshl_add_u64 v[24:25], v[8:9], 2, s[10:11]
	v_add_u32_e32 v8, -10, v6
	v_lshl_add_u64 v[28:29], v[8:9], 2, s[8:9]
	v_add_u32_e32 v8, -9, v6
	;; [unrolled: 2-line block ×3, first 2 shown]
	global_load_dword v27, v[28:29], off
	global_load_dword v1, v[30:31], off
	v_lshl_add_u64 v[28:29], v[8:9], 2, s[8:9]
	v_add_u32_e32 v8, -7, v6
	v_lshl_add_u64 v[30:31], v[8:9], 2, s[8:9]
	v_add_u32_e32 v8, -6, v6
	v_lshl_add_u64 v[20:21], v[14:15], 2, s[10:11]
	v_lshl_add_u64 v[32:33], v[8:9], 2, s[8:9]
	v_add_u32_e32 v8, -5, v6
	global_load_dwordx2 v[20:21], v[20:21], off
	s_nop 0
	global_load_dwordx2 v[24:25], v[24:25], off
	s_waitcnt vmcnt(1)
	v_pk_fma_f32 v[4:5], v[16:17], v[20:21], v[4:5] op_sel_hi:[1,0,1]
	global_load_dword v28, v[28:29], off
	v_fmac_f32_e32 v12, v7, v20
	global_load_dword v29, v[30:31], off
	v_lshl_add_u64 v[30:31], v[8:9], 2, s[8:9]
	v_add_u32_e32 v8, 4, v14
	global_load_dword v38, v[32:33], off
	global_load_dword v14, v[30:31], off
	v_lshl_add_u64 v[30:31], v[8:9], 2, s[10:11]
	v_add_u32_e32 v8, -4, v6
	v_lshl_add_u64 v[32:33], v[8:9], 2, s[8:9]
	v_add_u32_e32 v8, -3, v6
	;; [unrolled: 2-line block ×3, first 2 shown]
	global_load_dwordx2 v[30:31], v[30:31], off
	v_fmac_f32_e32 v12, v11, v21
	global_load_dword v15, v[32:33], off
	global_load_dword v39, v[34:35], off
	v_lshl_add_u64 v[32:33], v[8:9], 2, s[8:9]
	v_add_u32_e32 v8, -1, v6
	v_lshl_add_u64 v[34:35], v[8:9], 2, s[8:9]
	global_load_dword v36, v[32:33], off
	global_load_dword v37, v[34:35], off
	;; [unrolled: 1-line block ×3, first 2 shown]
	v_pk_fma_f32 v[4:5], v[22:23], v[20:21], v[4:5] op_sel:[0,1,0]
	s_waitcnt vmcnt(10)
	v_fmac_f32_e32 v12, v1, v24
	v_pk_fma_f32 v[4:5], v[26:27], v[24:25], v[4:5] op_sel_hi:[1,0,1]
	v_add_u32_e32 v6, 0x90, v6
	s_waitcnt vmcnt(8)
	v_pk_fma_f32 v[4:5], v[28:29], v[24:25], v[4:5] op_sel:[0,1,0]
	s_waitcnt vmcnt(7)
	v_fmac_f32_e32 v12, v38, v25
	s_waitcnt vmcnt(4)
	v_pk_fma_f32 v[4:5], v[14:15], v[30:31], v[4:5] op_sel_hi:[1,0,1]
	s_waitcnt vmcnt(3)
	v_fmac_f32_e32 v12, v39, v30
	s_waitcnt vmcnt(1)
	v_pk_fma_f32 v[4:5], v[36:37], v[30:31], v[4:5] op_sel:[0,1,0]
	s_waitcnt vmcnt(0)
	v_fmac_f32_e32 v12, v8, v31
	s_andn2_b64 exec, exec, s[18:19]
	s_cbranch_execnz .LBB21_9
; %bb.10:
	s_or_b64 exec, exec, s[18:19]
.LBB21_11:
	s_or_b64 exec, exec, s[4:5]
	s_cbranch_execz .LBB21_13
	s_branch .LBB21_18
.LBB21_12:
                                        ; implicit-def: $vgpr5
                                        ; implicit-def: $vgpr12
.LBB21_13:
	v_mov_b32_e32 v5, 0
	v_mov_b32_e32 v4, v5
	;; [unrolled: 1-line block ×3, first 2 shown]
	s_and_saveexec_b64 s[4:5], s[2:3]
	s_cbranch_execz .LBB21_17
; %bb.14:
	v_mad_u64_u32 v[6:7], s[2:3], v0, 18, 17
	v_mov_b32_e32 v9, 0
	s_mov_b64 s[2:3], 0
	v_mov_b32_e32 v12, 0
	v_mov_b32_e32 v4, v9
	;; [unrolled: 1-line block ×3, first 2 shown]
.LBB21_15:                              ; =>This Inner Loop Header: Depth=1
	v_ashrrev_i32_e32 v1, 31, v0
	v_lshl_add_u64 v[10:11], v[0:1], 2, s[6:7]
	global_load_dword v1, v[10:11], off
	v_subrev_u32_e32 v8, 17, v6
	v_add_u32_e32 v10, -11, v6
	v_mov_b32_e32 v11, v9
	v_lshl_add_u64 v[18:19], v[8:9], 2, s[8:9]
	v_add_u32_e32 v8, -10, v6
	v_add_u32_e32 v14, -5, v6
	v_mov_b32_e32 v15, v9
	v_mov_b32_e32 v7, v9
	v_lshl_add_u64 v[10:11], v[10:11], 2, s[8:9]
	v_lshl_add_u64 v[22:23], v[8:9], 2, s[8:9]
	v_add_u32_e32 v8, -4, v6
	v_lshl_add_u64 v[14:15], v[14:15], 2, s[8:9]
	v_lshl_add_u64 v[20:21], v[6:7], 2, s[8:9]
	global_load_dwordx2 v[18:19], v[18:19], off
	s_nop 0
	global_load_dword v25, v[10:11], off
	global_load_dword v7, v[14:15], off
	v_lshl_add_u64 v[10:11], v[8:9], 2, s[8:9]
	v_add_u32_e32 v8, -15, v6
	global_load_dword v15, v[22:23], off
	v_lshl_add_u64 v[22:23], v[8:9], 2, s[8:9]
	global_load_dword v38, v[10:11], off
	global_load_dword v26, v[22:23], off
	v_mov_b32_e32 v17, v9
	v_add_u32_e32 v0, 8, v0
	v_cmp_ge_i32_e32 vcc, v0, v13
	s_or_b64 s[2:3], vcc, s[2:3]
	s_waitcnt vmcnt(6)
	v_subrev_u32_e32 v1, s16, v1
	v_mul_lo_u32 v16, v1, 6
	v_add_u32_e32 v8, 2, v16
	v_lshl_add_u64 v[22:23], v[8:9], 2, s[10:11]
	v_add_u32_e32 v8, -9, v6
	v_lshl_add_u64 v[28:29], v[8:9], 2, s[8:9]
	v_add_u32_e32 v8, -3, v6
	;; [unrolled: 2-line block ×3, first 2 shown]
	global_load_dword v27, v[28:29], off
	global_load_dword v1, v[30:31], off
	v_lshl_add_u64 v[28:29], v[8:9], 2, s[8:9]
	v_add_u32_e32 v8, -8, v6
	v_lshl_add_u64 v[30:31], v[8:9], 2, s[8:9]
	v_add_u32_e32 v8, -2, v6
	v_lshl_add_u64 v[10:11], v[16:17], 2, s[10:11]
	v_lshl_add_u64 v[32:33], v[8:9], 2, s[8:9]
	v_add_u32_e32 v8, -13, v6
	global_load_dwordx2 v[10:11], v[10:11], off
	s_waitcnt vmcnt(8)
	v_mov_b32_e32 v24, v18
	global_load_dwordx2 v[22:23], v[22:23], off
	v_mov_b32_e32 v14, v19
	global_load_dword v28, v[28:29], off
	s_waitcnt vmcnt(2)
	v_pk_fma_f32 v[4:5], v[24:25], v[10:11], v[4:5] op_sel_hi:[1,0,1]
	global_load_dword v29, v[30:31], off
	v_lshl_add_u64 v[30:31], v[8:9], 2, s[8:9]
	v_add_u32_e32 v8, 4, v16
	global_load_dword v39, v[32:33], off
	global_load_dword v16, v[30:31], off
	v_lshl_add_u64 v[30:31], v[8:9], 2, s[10:11]
	v_add_u32_e32 v8, -7, v6
	v_lshl_add_u64 v[32:33], v[8:9], 2, s[8:9]
	v_add_u32_e32 v8, -1, v6
	;; [unrolled: 2-line block ×3, first 2 shown]
	global_load_dwordx2 v[30:31], v[30:31], off
	v_fmac_f32_e32 v12, v7, v10
	global_load_dword v17, v[32:33], off
	global_load_dword v40, v[34:35], off
	v_lshl_add_u64 v[32:33], v[8:9], 2, s[8:9]
	v_add_u32_e32 v8, -6, v6
	v_lshl_add_u64 v[34:35], v[8:9], 2, s[8:9]
	global_load_dword v36, v[32:33], off
	global_load_dword v37, v[34:35], off
	global_load_dword v8, v[20:21], off
	v_fmac_f32_e32 v12, v38, v11
	v_pk_fma_f32 v[4:5], v[14:15], v[10:11], v[4:5] op_sel:[0,1,0]
	s_waitcnt vmcnt(10)
	v_fmac_f32_e32 v12, v1, v22
	v_pk_fma_f32 v[4:5], v[26:27], v[22:23], v[4:5] op_sel_hi:[1,0,1]
	v_add_u32_e32 v6, 0x90, v6
	s_waitcnt vmcnt(8)
	v_pk_fma_f32 v[4:5], v[28:29], v[22:23], v[4:5] op_sel:[0,1,0]
	s_waitcnt vmcnt(7)
	v_fmac_f32_e32 v12, v39, v23
	s_waitcnt vmcnt(4)
	v_pk_fma_f32 v[4:5], v[16:17], v[30:31], v[4:5] op_sel_hi:[1,0,1]
	s_waitcnt vmcnt(3)
	v_fmac_f32_e32 v12, v40, v30
	s_waitcnt vmcnt(1)
	v_pk_fma_f32 v[4:5], v[36:37], v[30:31], v[4:5] op_sel:[0,1,0]
	s_waitcnt vmcnt(0)
	v_fmac_f32_e32 v12, v8, v31
	s_andn2_b64 exec, exec, s[2:3]
	s_cbranch_execnz .LBB21_15
; %bb.16:
	s_or_b64 exec, exec, s[2:3]
.LBB21_17:
	s_or_b64 exec, exec, s[4:5]
.LBB21_18:
	v_mov_b32_dpp v0, v4 row_shr:1 row_mask:0xf bank_mask:0xf
	v_mov_b32_dpp v1, v5 row_shr:1 row_mask:0xf bank_mask:0xf
	;; [unrolled: 1-line block ×3, first 2 shown]
	v_pk_add_f32 v[0:1], v[4:5], v[0:1]
	v_add_f32_e32 v6, v12, v6
	v_cmp_eq_u32_e32 vcc, 7, v3
	v_mov_b32_dpp v4, v0 row_shr:2 row_mask:0xf bank_mask:0xf
	v_mov_b32_dpp v5, v1 row_shr:2 row_mask:0xf bank_mask:0xf
	;; [unrolled: 1-line block ×3, first 2 shown]
	v_pk_add_f32 v[0:1], v[0:1], v[4:5]
	v_add_f32_e32 v6, v6, v7
	s_nop 0
	v_mov_b32_dpp v4, v0 row_shr:4 row_mask:0xf bank_mask:0xe
	v_mov_b32_dpp v5, v1 row_shr:4 row_mask:0xf bank_mask:0xe
	;; [unrolled: 1-line block ×3, first 2 shown]
	s_and_b64 exec, exec, vcc
	s_cbranch_execz .LBB21_22
; %bb.19:
	s_load_dwordx2 s[0:1], s[0:1], 0x38
	v_pk_add_f32 v[4:5], v[0:1], v[4:5]
	v_add_f32_e32 v0, v6, v7
	v_cmp_eq_f32_e64 s[2:3], s12, 0
	v_lshl_add_u32 v6, v2, 1, v2
	s_and_b64 vcc, exec, s[2:3]
	v_mul_f32_e32 v2, s14, v0
	v_ashrrev_i32_e32 v7, 31, v6
	s_cbranch_vccz .LBB21_23
; %bb.20:
	s_waitcnt lgkmcnt(0)
	v_lshl_add_u64 v[8:9], v[6:7], 2, s[0:1]
	v_pk_mul_f32 v[0:1], s[14:15], v[4:5] op_sel_hi:[0,1]
	global_store_dwordx3 v[8:9], v[0:2], off
	s_cbranch_execnz .LBB21_22
.LBB21_21:
	s_waitcnt lgkmcnt(0)
	v_lshl_add_u64 v[10:11], v[6:7], 2, s[0:1]
	global_load_dwordx3 v[6:8], v[10:11], off
	v_pk_mul_f32 v[0:1], s[14:15], v[4:5] op_sel_hi:[0,1]
	s_waitcnt vmcnt(0)
	v_pk_fma_f32 v[0:1], s[12:13], v[6:7], v[0:1] op_sel_hi:[0,1,1]
	v_fmac_f32_e32 v2, s12, v8
	global_store_dwordx3 v[10:11], v[0:2], off
.LBB21_22:
	s_endpgm
.LBB21_23:
	s_branch .LBB21_21
	.section	.rodata,"a",@progbits
	.p2align	6, 0x0
	.amdhsa_kernel _ZN9rocsparseL19gebsrmvn_3xn_kernelILj128ELj6ELj8EfEEvi20rocsparse_direction_NS_24const_host_device_scalarIT2_EEPKiS6_PKS3_S8_S4_PS3_21rocsparse_index_base_b
		.amdhsa_group_segment_fixed_size 0
		.amdhsa_private_segment_fixed_size 0
		.amdhsa_kernarg_size 72
		.amdhsa_user_sgpr_count 2
		.amdhsa_user_sgpr_dispatch_ptr 0
		.amdhsa_user_sgpr_queue_ptr 0
		.amdhsa_user_sgpr_kernarg_segment_ptr 1
		.amdhsa_user_sgpr_dispatch_id 0
		.amdhsa_user_sgpr_kernarg_preload_length 0
		.amdhsa_user_sgpr_kernarg_preload_offset 0
		.amdhsa_user_sgpr_private_segment_size 0
		.amdhsa_uses_dynamic_stack 0
		.amdhsa_enable_private_segment 0
		.amdhsa_system_sgpr_workgroup_id_x 1
		.amdhsa_system_sgpr_workgroup_id_y 0
		.amdhsa_system_sgpr_workgroup_id_z 0
		.amdhsa_system_sgpr_workgroup_info 0
		.amdhsa_system_vgpr_workitem_id 0
		.amdhsa_next_free_vgpr 41
		.amdhsa_next_free_sgpr 20
		.amdhsa_accum_offset 44
		.amdhsa_reserve_vcc 1
		.amdhsa_float_round_mode_32 0
		.amdhsa_float_round_mode_16_64 0
		.amdhsa_float_denorm_mode_32 3
		.amdhsa_float_denorm_mode_16_64 3
		.amdhsa_dx10_clamp 1
		.amdhsa_ieee_mode 1
		.amdhsa_fp16_overflow 0
		.amdhsa_tg_split 0
		.amdhsa_exception_fp_ieee_invalid_op 0
		.amdhsa_exception_fp_denorm_src 0
		.amdhsa_exception_fp_ieee_div_zero 0
		.amdhsa_exception_fp_ieee_overflow 0
		.amdhsa_exception_fp_ieee_underflow 0
		.amdhsa_exception_fp_ieee_inexact 0
		.amdhsa_exception_int_div_zero 0
	.end_amdhsa_kernel
	.section	.text._ZN9rocsparseL19gebsrmvn_3xn_kernelILj128ELj6ELj8EfEEvi20rocsparse_direction_NS_24const_host_device_scalarIT2_EEPKiS6_PKS3_S8_S4_PS3_21rocsparse_index_base_b,"axG",@progbits,_ZN9rocsparseL19gebsrmvn_3xn_kernelILj128ELj6ELj8EfEEvi20rocsparse_direction_NS_24const_host_device_scalarIT2_EEPKiS6_PKS3_S8_S4_PS3_21rocsparse_index_base_b,comdat
.Lfunc_end21:
	.size	_ZN9rocsparseL19gebsrmvn_3xn_kernelILj128ELj6ELj8EfEEvi20rocsparse_direction_NS_24const_host_device_scalarIT2_EEPKiS6_PKS3_S8_S4_PS3_21rocsparse_index_base_b, .Lfunc_end21-_ZN9rocsparseL19gebsrmvn_3xn_kernelILj128ELj6ELj8EfEEvi20rocsparse_direction_NS_24const_host_device_scalarIT2_EEPKiS6_PKS3_S8_S4_PS3_21rocsparse_index_base_b
                                        ; -- End function
	.section	.AMDGPU.csdata,"",@progbits
; Kernel info:
; codeLenInByte = 1752
; NumSgprs: 26
; NumVgprs: 41
; NumAgprs: 0
; TotalNumVgprs: 41
; ScratchSize: 0
; MemoryBound: 0
; FloatMode: 240
; IeeeMode: 1
; LDSByteSize: 0 bytes/workgroup (compile time only)
; SGPRBlocks: 3
; VGPRBlocks: 5
; NumSGPRsForWavesPerEU: 26
; NumVGPRsForWavesPerEU: 41
; AccumOffset: 44
; Occupancy: 8
; WaveLimiterHint : 1
; COMPUTE_PGM_RSRC2:SCRATCH_EN: 0
; COMPUTE_PGM_RSRC2:USER_SGPR: 2
; COMPUTE_PGM_RSRC2:TRAP_HANDLER: 0
; COMPUTE_PGM_RSRC2:TGID_X_EN: 1
; COMPUTE_PGM_RSRC2:TGID_Y_EN: 0
; COMPUTE_PGM_RSRC2:TGID_Z_EN: 0
; COMPUTE_PGM_RSRC2:TIDIG_COMP_CNT: 0
; COMPUTE_PGM_RSRC3_GFX90A:ACCUM_OFFSET: 10
; COMPUTE_PGM_RSRC3_GFX90A:TG_SPLIT: 0
	.section	.text._ZN9rocsparseL19gebsrmvn_3xn_kernelILj128ELj6ELj16EfEEvi20rocsparse_direction_NS_24const_host_device_scalarIT2_EEPKiS6_PKS3_S8_S4_PS3_21rocsparse_index_base_b,"axG",@progbits,_ZN9rocsparseL19gebsrmvn_3xn_kernelILj128ELj6ELj16EfEEvi20rocsparse_direction_NS_24const_host_device_scalarIT2_EEPKiS6_PKS3_S8_S4_PS3_21rocsparse_index_base_b,comdat
	.globl	_ZN9rocsparseL19gebsrmvn_3xn_kernelILj128ELj6ELj16EfEEvi20rocsparse_direction_NS_24const_host_device_scalarIT2_EEPKiS6_PKS3_S8_S4_PS3_21rocsparse_index_base_b ; -- Begin function _ZN9rocsparseL19gebsrmvn_3xn_kernelILj128ELj6ELj16EfEEvi20rocsparse_direction_NS_24const_host_device_scalarIT2_EEPKiS6_PKS3_S8_S4_PS3_21rocsparse_index_base_b
	.p2align	8
	.type	_ZN9rocsparseL19gebsrmvn_3xn_kernelILj128ELj6ELj16EfEEvi20rocsparse_direction_NS_24const_host_device_scalarIT2_EEPKiS6_PKS3_S8_S4_PS3_21rocsparse_index_base_b,@function
_ZN9rocsparseL19gebsrmvn_3xn_kernelILj128ELj6ELj16EfEEvi20rocsparse_direction_NS_24const_host_device_scalarIT2_EEPKiS6_PKS3_S8_S4_PS3_21rocsparse_index_base_b: ; @_ZN9rocsparseL19gebsrmvn_3xn_kernelILj128ELj6ELj16EfEEvi20rocsparse_direction_NS_24const_host_device_scalarIT2_EEPKiS6_PKS3_S8_S4_PS3_21rocsparse_index_base_b
; %bb.0:
	s_load_dwordx2 s[16:17], s[0:1], 0x40
	s_load_dwordx2 s[14:15], s[0:1], 0x8
	;; [unrolled: 1-line block ×3, first 2 shown]
	s_waitcnt lgkmcnt(0)
	s_bitcmp1_b32 s17, 0
	s_cselect_b64 s[6:7], -1, 0
	s_xor_b64 s[4:5], s[6:7], -1
	s_and_b64 vcc, exec, s[6:7]
	s_cbranch_vccnz .LBB22_2
; %bb.1:
	s_load_dword s14, s[14:15], 0x0
.LBB22_2:
	s_andn2_b64 vcc, exec, s[4:5]
	s_cbranch_vccnz .LBB22_4
; %bb.3:
	s_load_dword s12, s[12:13], 0x0
.LBB22_4:
	s_waitcnt lgkmcnt(0)
	v_cmp_eq_f32_e64 s[4:5], s14, 0
	v_cmp_eq_f32_e64 s[6:7], s12, 1.0
	s_and_b64 s[4:5], s[4:5], s[6:7]
	s_and_b64 vcc, exec, s[4:5]
	s_cbranch_vccnz .LBB22_22
; %bb.5:
	s_load_dwordx2 s[18:19], s[0:1], 0x0
	v_lshrrev_b32_e32 v1, 4, v0
	v_lshl_or_b32 v2, s2, 3, v1
	s_waitcnt lgkmcnt(0)
	v_cmp_gt_i32_e32 vcc, s18, v2
	s_and_saveexec_b64 s[2:3], vcc
	s_cbranch_execz .LBB22_22
; %bb.6:
	s_load_dwordx8 s[4:11], s[0:1], 0x10
	v_ashrrev_i32_e32 v3, 31, v2
	s_cmp_lg_u32 s19, 0
	s_waitcnt lgkmcnt(0)
	v_lshl_add_u64 v[4:5], v[2:3], 2, s[4:5]
	global_load_dwordx2 v[4:5], v[4:5], off
	v_and_b32_e32 v3, 15, v0
	s_waitcnt vmcnt(0)
	v_subrev_u32_e32 v0, s16, v4
	v_subrev_u32_e32 v13, s16, v5
	v_add_u32_e32 v0, v0, v3
	v_cmp_lt_i32_e64 s[2:3], v0, v13
	s_cbranch_scc0 .LBB22_12
; %bb.7:
	v_mov_b32_e32 v5, 0
	v_mov_b32_e32 v4, v5
	;; [unrolled: 1-line block ×3, first 2 shown]
	s_and_saveexec_b64 s[4:5], s[2:3]
	s_cbranch_execz .LBB22_11
; %bb.8:
	v_mad_u64_u32 v[6:7], s[18:19], v0, 18, 17
	v_mov_b32_e32 v9, 0
	s_mov_b64 s[18:19], 0
	v_mov_b32_e32 v10, v0
	v_mov_b32_e32 v12, 0
	;; [unrolled: 1-line block ×4, first 2 shown]
.LBB22_9:                               ; =>This Inner Loop Header: Depth=1
	v_ashrrev_i32_e32 v11, 31, v10
	v_lshl_add_u64 v[14:15], v[10:11], 2, s[6:7]
	global_load_dword v1, v[14:15], off
	v_subrev_u32_e32 v8, 17, v6
	v_lshl_add_u64 v[16:17], v[8:9], 2, s[8:9]
	v_add_u32_e32 v8, -15, v6
	v_lshl_add_u64 v[20:21], v[8:9], 2, s[8:9]
	v_add_u32_e32 v8, -14, v6
	v_mov_b32_e32 v7, v9
	v_lshl_add_u64 v[22:23], v[8:9], 2, s[8:9]
	v_add_u32_e32 v8, -13, v6
	v_lshl_add_u64 v[18:19], v[6:7], 2, s[8:9]
	global_load_dwordx2 v[16:17], v[16:17], off
	v_mov_b32_e32 v15, v9
	global_load_dword v7, v[20:21], off
	v_add_u32_e32 v10, 16, v10
	global_load_dword v22, v[22:23], off
	v_lshl_add_u64 v[20:21], v[8:9], 2, s[8:9]
	v_add_u32_e32 v8, -12, v6
	v_lshl_add_u64 v[24:25], v[8:9], 2, s[8:9]
	v_add_u32_e32 v8, -11, v6
	global_load_dword v23, v[20:21], off
	v_lshl_add_u64 v[20:21], v[8:9], 2, s[8:9]
	global_load_dword v11, v[24:25], off
	global_load_dword v26, v[20:21], off
	v_cmp_ge_i32_e32 vcc, v10, v13
	s_or_b64 s[18:19], vcc, s[18:19]
	s_waitcnt vmcnt(6)
	v_subrev_u32_e32 v1, s16, v1
	v_mul_lo_u32 v14, v1, 6
	v_add_u32_e32 v8, 2, v14
	v_lshl_add_u64 v[24:25], v[8:9], 2, s[10:11]
	v_add_u32_e32 v8, -10, v6
	v_lshl_add_u64 v[28:29], v[8:9], 2, s[8:9]
	v_add_u32_e32 v8, -9, v6
	;; [unrolled: 2-line block ×3, first 2 shown]
	global_load_dword v27, v[28:29], off
	global_load_dword v1, v[30:31], off
	v_lshl_add_u64 v[28:29], v[8:9], 2, s[8:9]
	v_add_u32_e32 v8, -7, v6
	v_lshl_add_u64 v[30:31], v[8:9], 2, s[8:9]
	v_add_u32_e32 v8, -6, v6
	v_lshl_add_u64 v[20:21], v[14:15], 2, s[10:11]
	v_lshl_add_u64 v[32:33], v[8:9], 2, s[8:9]
	v_add_u32_e32 v8, -5, v6
	global_load_dwordx2 v[20:21], v[20:21], off
	s_nop 0
	global_load_dwordx2 v[24:25], v[24:25], off
	s_waitcnt vmcnt(1)
	v_fmac_f32_e32 v12, v7, v20
	global_load_dword v28, v[28:29], off
	v_pk_fma_f32 v[4:5], v[16:17], v[20:21], v[4:5] op_sel_hi:[1,0,1]
	global_load_dword v29, v[30:31], off
	v_lshl_add_u64 v[30:31], v[8:9], 2, s[8:9]
	v_add_u32_e32 v8, 4, v14
	global_load_dword v38, v[32:33], off
	global_load_dword v14, v[30:31], off
	v_lshl_add_u64 v[30:31], v[8:9], 2, s[10:11]
	v_add_u32_e32 v8, -4, v6
	v_lshl_add_u64 v[32:33], v[8:9], 2, s[8:9]
	v_add_u32_e32 v8, -3, v6
	;; [unrolled: 2-line block ×3, first 2 shown]
	global_load_dwordx2 v[30:31], v[30:31], off
	v_pk_fma_f32 v[4:5], v[22:23], v[20:21], v[4:5] op_sel:[0,1,0]
	global_load_dword v15, v[32:33], off
	global_load_dword v39, v[34:35], off
	v_lshl_add_u64 v[32:33], v[8:9], 2, s[8:9]
	v_add_u32_e32 v8, -1, v6
	v_lshl_add_u64 v[34:35], v[8:9], 2, s[8:9]
	global_load_dword v36, v[32:33], off
	global_load_dword v37, v[34:35], off
	;; [unrolled: 1-line block ×3, first 2 shown]
	v_fmac_f32_e32 v12, v11, v21
	s_waitcnt vmcnt(10)
	v_pk_fma_f32 v[4:5], v[26:27], v[24:25], v[4:5] op_sel_hi:[1,0,1]
	v_fmac_f32_e32 v12, v1, v24
	v_add_u32_e32 v6, 0x120, v6
	s_waitcnt vmcnt(8)
	v_pk_fma_f32 v[4:5], v[28:29], v[24:25], v[4:5] op_sel:[0,1,0]
	s_waitcnt vmcnt(7)
	v_fmac_f32_e32 v12, v38, v25
	s_waitcnt vmcnt(4)
	v_pk_fma_f32 v[4:5], v[14:15], v[30:31], v[4:5] op_sel_hi:[1,0,1]
	s_waitcnt vmcnt(3)
	v_fmac_f32_e32 v12, v39, v30
	s_waitcnt vmcnt(1)
	v_pk_fma_f32 v[4:5], v[36:37], v[30:31], v[4:5] op_sel:[0,1,0]
	s_waitcnt vmcnt(0)
	v_fmac_f32_e32 v12, v8, v31
	s_andn2_b64 exec, exec, s[18:19]
	s_cbranch_execnz .LBB22_9
; %bb.10:
	s_or_b64 exec, exec, s[18:19]
.LBB22_11:
	s_or_b64 exec, exec, s[4:5]
	s_cbranch_execz .LBB22_13
	s_branch .LBB22_18
.LBB22_12:
                                        ; implicit-def: $vgpr5
                                        ; implicit-def: $vgpr12
.LBB22_13:
	v_mov_b32_e32 v5, 0
	v_mov_b32_e32 v4, v5
	;; [unrolled: 1-line block ×3, first 2 shown]
	s_and_saveexec_b64 s[4:5], s[2:3]
	s_cbranch_execz .LBB22_17
; %bb.14:
	v_mad_u64_u32 v[6:7], s[2:3], v0, 18, 17
	v_mov_b32_e32 v9, 0
	s_mov_b64 s[2:3], 0
	v_mov_b32_e32 v12, 0
	v_mov_b32_e32 v4, v9
	;; [unrolled: 1-line block ×3, first 2 shown]
.LBB22_15:                              ; =>This Inner Loop Header: Depth=1
	v_ashrrev_i32_e32 v1, 31, v0
	v_lshl_add_u64 v[10:11], v[0:1], 2, s[6:7]
	global_load_dword v1, v[10:11], off
	v_subrev_u32_e32 v8, 17, v6
	v_add_u32_e32 v10, -11, v6
	v_mov_b32_e32 v11, v9
	v_lshl_add_u64 v[18:19], v[8:9], 2, s[8:9]
	v_add_u32_e32 v8, -10, v6
	v_add_u32_e32 v14, -5, v6
	v_mov_b32_e32 v15, v9
	v_mov_b32_e32 v7, v9
	v_lshl_add_u64 v[10:11], v[10:11], 2, s[8:9]
	v_lshl_add_u64 v[22:23], v[8:9], 2, s[8:9]
	v_add_u32_e32 v8, -4, v6
	v_lshl_add_u64 v[14:15], v[14:15], 2, s[8:9]
	v_lshl_add_u64 v[20:21], v[6:7], 2, s[8:9]
	global_load_dwordx2 v[18:19], v[18:19], off
	s_nop 0
	global_load_dword v25, v[10:11], off
	global_load_dword v7, v[14:15], off
	v_lshl_add_u64 v[10:11], v[8:9], 2, s[8:9]
	v_add_u32_e32 v8, -15, v6
	global_load_dword v15, v[22:23], off
	v_lshl_add_u64 v[22:23], v[8:9], 2, s[8:9]
	global_load_dword v38, v[10:11], off
	global_load_dword v26, v[22:23], off
	v_mov_b32_e32 v17, v9
	v_add_u32_e32 v0, 16, v0
	v_cmp_ge_i32_e32 vcc, v0, v13
	s_or_b64 s[2:3], vcc, s[2:3]
	s_waitcnt vmcnt(6)
	v_subrev_u32_e32 v1, s16, v1
	v_mul_lo_u32 v16, v1, 6
	v_add_u32_e32 v8, 2, v16
	v_lshl_add_u64 v[22:23], v[8:9], 2, s[10:11]
	v_add_u32_e32 v8, -9, v6
	v_lshl_add_u64 v[28:29], v[8:9], 2, s[8:9]
	v_add_u32_e32 v8, -3, v6
	;; [unrolled: 2-line block ×3, first 2 shown]
	global_load_dword v27, v[28:29], off
	global_load_dword v1, v[30:31], off
	v_lshl_add_u64 v[28:29], v[8:9], 2, s[8:9]
	v_add_u32_e32 v8, -8, v6
	v_lshl_add_u64 v[30:31], v[8:9], 2, s[8:9]
	v_add_u32_e32 v8, -2, v6
	v_lshl_add_u64 v[10:11], v[16:17], 2, s[10:11]
	v_lshl_add_u64 v[32:33], v[8:9], 2, s[8:9]
	v_add_u32_e32 v8, -13, v6
	global_load_dwordx2 v[10:11], v[10:11], off
	s_waitcnt vmcnt(8)
	v_mov_b32_e32 v24, v18
	global_load_dwordx2 v[22:23], v[22:23], off
	v_mov_b32_e32 v14, v19
	global_load_dword v28, v[28:29], off
	s_waitcnt vmcnt(2)
	v_fmac_f32_e32 v12, v7, v10
	global_load_dword v29, v[30:31], off
	v_lshl_add_u64 v[30:31], v[8:9], 2, s[8:9]
	v_add_u32_e32 v8, 4, v16
	global_load_dword v39, v[32:33], off
	global_load_dword v16, v[30:31], off
	v_lshl_add_u64 v[30:31], v[8:9], 2, s[10:11]
	v_add_u32_e32 v8, -7, v6
	v_lshl_add_u64 v[32:33], v[8:9], 2, s[8:9]
	v_add_u32_e32 v8, -1, v6
	;; [unrolled: 2-line block ×3, first 2 shown]
	global_load_dwordx2 v[30:31], v[30:31], off
	v_pk_fma_f32 v[4:5], v[24:25], v[10:11], v[4:5] op_sel_hi:[1,0,1]
	global_load_dword v17, v[32:33], off
	global_load_dword v40, v[34:35], off
	v_lshl_add_u64 v[32:33], v[8:9], 2, s[8:9]
	v_add_u32_e32 v8, -6, v6
	v_lshl_add_u64 v[34:35], v[8:9], 2, s[8:9]
	global_load_dword v36, v[32:33], off
	global_load_dword v37, v[34:35], off
	;; [unrolled: 1-line block ×3, first 2 shown]
	v_pk_fma_f32 v[4:5], v[14:15], v[10:11], v[4:5] op_sel:[0,1,0]
	v_fmac_f32_e32 v12, v38, v11
	s_waitcnt vmcnt(10)
	v_pk_fma_f32 v[4:5], v[26:27], v[22:23], v[4:5] op_sel_hi:[1,0,1]
	v_fmac_f32_e32 v12, v1, v22
	v_add_u32_e32 v6, 0x120, v6
	s_waitcnt vmcnt(8)
	v_pk_fma_f32 v[4:5], v[28:29], v[22:23], v[4:5] op_sel:[0,1,0]
	s_waitcnt vmcnt(7)
	v_fmac_f32_e32 v12, v39, v23
	s_waitcnt vmcnt(4)
	v_pk_fma_f32 v[4:5], v[16:17], v[30:31], v[4:5] op_sel_hi:[1,0,1]
	s_waitcnt vmcnt(3)
	v_fmac_f32_e32 v12, v40, v30
	s_waitcnt vmcnt(1)
	v_pk_fma_f32 v[4:5], v[36:37], v[30:31], v[4:5] op_sel:[0,1,0]
	s_waitcnt vmcnt(0)
	v_fmac_f32_e32 v12, v8, v31
	s_andn2_b64 exec, exec, s[2:3]
	s_cbranch_execnz .LBB22_15
; %bb.16:
	s_or_b64 exec, exec, s[2:3]
.LBB22_17:
	s_or_b64 exec, exec, s[4:5]
.LBB22_18:
	v_mov_b32_dpp v0, v4 row_shr:1 row_mask:0xf bank_mask:0xf
	v_mov_b32_dpp v1, v5 row_shr:1 row_mask:0xf bank_mask:0xf
	;; [unrolled: 1-line block ×3, first 2 shown]
	v_pk_add_f32 v[0:1], v[4:5], v[0:1]
	v_add_f32_e32 v6, v12, v6
	v_cmp_eq_u32_e32 vcc, 15, v3
	v_mov_b32_dpp v4, v0 row_shr:2 row_mask:0xf bank_mask:0xf
	v_mov_b32_dpp v5, v1 row_shr:2 row_mask:0xf bank_mask:0xf
	;; [unrolled: 1-line block ×3, first 2 shown]
	v_pk_add_f32 v[0:1], v[0:1], v[4:5]
	v_add_f32_e32 v6, v6, v7
	s_nop 0
	v_mov_b32_dpp v4, v0 row_shr:4 row_mask:0xf bank_mask:0xe
	v_mov_b32_dpp v5, v1 row_shr:4 row_mask:0xf bank_mask:0xe
	;; [unrolled: 1-line block ×3, first 2 shown]
	v_pk_add_f32 v[0:1], v[0:1], v[4:5]
	v_add_f32_e32 v6, v6, v7
	s_nop 0
	v_mov_b32_dpp v4, v0 row_shr:8 row_mask:0xf bank_mask:0xc
	v_mov_b32_dpp v5, v1 row_shr:8 row_mask:0xf bank_mask:0xc
	;; [unrolled: 1-line block ×3, first 2 shown]
	s_and_b64 exec, exec, vcc
	s_cbranch_execz .LBB22_22
; %bb.19:
	s_load_dwordx2 s[0:1], s[0:1], 0x38
	v_pk_add_f32 v[4:5], v[0:1], v[4:5]
	v_add_f32_e32 v0, v6, v7
	v_cmp_eq_f32_e64 s[2:3], s12, 0
	v_lshl_add_u32 v6, v2, 1, v2
	s_and_b64 vcc, exec, s[2:3]
	v_mul_f32_e32 v2, s14, v0
	v_ashrrev_i32_e32 v7, 31, v6
	s_cbranch_vccz .LBB22_23
; %bb.20:
	s_waitcnt lgkmcnt(0)
	v_lshl_add_u64 v[8:9], v[6:7], 2, s[0:1]
	v_pk_mul_f32 v[0:1], s[14:15], v[4:5] op_sel_hi:[0,1]
	global_store_dwordx3 v[8:9], v[0:2], off
	s_cbranch_execnz .LBB22_22
.LBB22_21:
	s_waitcnt lgkmcnt(0)
	v_lshl_add_u64 v[10:11], v[6:7], 2, s[0:1]
	global_load_dwordx3 v[6:8], v[10:11], off
	v_pk_mul_f32 v[0:1], s[14:15], v[4:5] op_sel_hi:[0,1]
	s_waitcnt vmcnt(0)
	v_pk_fma_f32 v[0:1], s[12:13], v[6:7], v[0:1] op_sel_hi:[0,1,1]
	v_fmac_f32_e32 v2, s12, v8
	global_store_dwordx3 v[10:11], v[0:2], off
.LBB22_22:
	s_endpgm
.LBB22_23:
	s_branch .LBB22_21
	.section	.rodata,"a",@progbits
	.p2align	6, 0x0
	.amdhsa_kernel _ZN9rocsparseL19gebsrmvn_3xn_kernelILj128ELj6ELj16EfEEvi20rocsparse_direction_NS_24const_host_device_scalarIT2_EEPKiS6_PKS3_S8_S4_PS3_21rocsparse_index_base_b
		.amdhsa_group_segment_fixed_size 0
		.amdhsa_private_segment_fixed_size 0
		.amdhsa_kernarg_size 72
		.amdhsa_user_sgpr_count 2
		.amdhsa_user_sgpr_dispatch_ptr 0
		.amdhsa_user_sgpr_queue_ptr 0
		.amdhsa_user_sgpr_kernarg_segment_ptr 1
		.amdhsa_user_sgpr_dispatch_id 0
		.amdhsa_user_sgpr_kernarg_preload_length 0
		.amdhsa_user_sgpr_kernarg_preload_offset 0
		.amdhsa_user_sgpr_private_segment_size 0
		.amdhsa_uses_dynamic_stack 0
		.amdhsa_enable_private_segment 0
		.amdhsa_system_sgpr_workgroup_id_x 1
		.amdhsa_system_sgpr_workgroup_id_y 0
		.amdhsa_system_sgpr_workgroup_id_z 0
		.amdhsa_system_sgpr_workgroup_info 0
		.amdhsa_system_vgpr_workitem_id 0
		.amdhsa_next_free_vgpr 41
		.amdhsa_next_free_sgpr 20
		.amdhsa_accum_offset 44
		.amdhsa_reserve_vcc 1
		.amdhsa_float_round_mode_32 0
		.amdhsa_float_round_mode_16_64 0
		.amdhsa_float_denorm_mode_32 3
		.amdhsa_float_denorm_mode_16_64 3
		.amdhsa_dx10_clamp 1
		.amdhsa_ieee_mode 1
		.amdhsa_fp16_overflow 0
		.amdhsa_tg_split 0
		.amdhsa_exception_fp_ieee_invalid_op 0
		.amdhsa_exception_fp_denorm_src 0
		.amdhsa_exception_fp_ieee_div_zero 0
		.amdhsa_exception_fp_ieee_overflow 0
		.amdhsa_exception_fp_ieee_underflow 0
		.amdhsa_exception_fp_ieee_inexact 0
		.amdhsa_exception_int_div_zero 0
	.end_amdhsa_kernel
	.section	.text._ZN9rocsparseL19gebsrmvn_3xn_kernelILj128ELj6ELj16EfEEvi20rocsparse_direction_NS_24const_host_device_scalarIT2_EEPKiS6_PKS3_S8_S4_PS3_21rocsparse_index_base_b,"axG",@progbits,_ZN9rocsparseL19gebsrmvn_3xn_kernelILj128ELj6ELj16EfEEvi20rocsparse_direction_NS_24const_host_device_scalarIT2_EEPKiS6_PKS3_S8_S4_PS3_21rocsparse_index_base_b,comdat
.Lfunc_end22:
	.size	_ZN9rocsparseL19gebsrmvn_3xn_kernelILj128ELj6ELj16EfEEvi20rocsparse_direction_NS_24const_host_device_scalarIT2_EEPKiS6_PKS3_S8_S4_PS3_21rocsparse_index_base_b, .Lfunc_end22-_ZN9rocsparseL19gebsrmvn_3xn_kernelILj128ELj6ELj16EfEEvi20rocsparse_direction_NS_24const_host_device_scalarIT2_EEPKiS6_PKS3_S8_S4_PS3_21rocsparse_index_base_b
                                        ; -- End function
	.section	.AMDGPU.csdata,"",@progbits
; Kernel info:
; codeLenInByte = 1792
; NumSgprs: 26
; NumVgprs: 41
; NumAgprs: 0
; TotalNumVgprs: 41
; ScratchSize: 0
; MemoryBound: 0
; FloatMode: 240
; IeeeMode: 1
; LDSByteSize: 0 bytes/workgroup (compile time only)
; SGPRBlocks: 3
; VGPRBlocks: 5
; NumSGPRsForWavesPerEU: 26
; NumVGPRsForWavesPerEU: 41
; AccumOffset: 44
; Occupancy: 8
; WaveLimiterHint : 1
; COMPUTE_PGM_RSRC2:SCRATCH_EN: 0
; COMPUTE_PGM_RSRC2:USER_SGPR: 2
; COMPUTE_PGM_RSRC2:TRAP_HANDLER: 0
; COMPUTE_PGM_RSRC2:TGID_X_EN: 1
; COMPUTE_PGM_RSRC2:TGID_Y_EN: 0
; COMPUTE_PGM_RSRC2:TGID_Z_EN: 0
; COMPUTE_PGM_RSRC2:TIDIG_COMP_CNT: 0
; COMPUTE_PGM_RSRC3_GFX90A:ACCUM_OFFSET: 10
; COMPUTE_PGM_RSRC3_GFX90A:TG_SPLIT: 0
	.section	.text._ZN9rocsparseL19gebsrmvn_3xn_kernelILj128ELj6ELj32EfEEvi20rocsparse_direction_NS_24const_host_device_scalarIT2_EEPKiS6_PKS3_S8_S4_PS3_21rocsparse_index_base_b,"axG",@progbits,_ZN9rocsparseL19gebsrmvn_3xn_kernelILj128ELj6ELj32EfEEvi20rocsparse_direction_NS_24const_host_device_scalarIT2_EEPKiS6_PKS3_S8_S4_PS3_21rocsparse_index_base_b,comdat
	.globl	_ZN9rocsparseL19gebsrmvn_3xn_kernelILj128ELj6ELj32EfEEvi20rocsparse_direction_NS_24const_host_device_scalarIT2_EEPKiS6_PKS3_S8_S4_PS3_21rocsparse_index_base_b ; -- Begin function _ZN9rocsparseL19gebsrmvn_3xn_kernelILj128ELj6ELj32EfEEvi20rocsparse_direction_NS_24const_host_device_scalarIT2_EEPKiS6_PKS3_S8_S4_PS3_21rocsparse_index_base_b
	.p2align	8
	.type	_ZN9rocsparseL19gebsrmvn_3xn_kernelILj128ELj6ELj32EfEEvi20rocsparse_direction_NS_24const_host_device_scalarIT2_EEPKiS6_PKS3_S8_S4_PS3_21rocsparse_index_base_b,@function
_ZN9rocsparseL19gebsrmvn_3xn_kernelILj128ELj6ELj32EfEEvi20rocsparse_direction_NS_24const_host_device_scalarIT2_EEPKiS6_PKS3_S8_S4_PS3_21rocsparse_index_base_b: ; @_ZN9rocsparseL19gebsrmvn_3xn_kernelILj128ELj6ELj32EfEEvi20rocsparse_direction_NS_24const_host_device_scalarIT2_EEPKiS6_PKS3_S8_S4_PS3_21rocsparse_index_base_b
; %bb.0:
	s_load_dwordx2 s[16:17], s[0:1], 0x40
	s_load_dwordx2 s[14:15], s[0:1], 0x8
	;; [unrolled: 1-line block ×3, first 2 shown]
	s_waitcnt lgkmcnt(0)
	s_bitcmp1_b32 s17, 0
	s_cselect_b64 s[6:7], -1, 0
	s_xor_b64 s[4:5], s[6:7], -1
	s_and_b64 vcc, exec, s[6:7]
	s_cbranch_vccnz .LBB23_2
; %bb.1:
	s_load_dword s14, s[14:15], 0x0
.LBB23_2:
	s_andn2_b64 vcc, exec, s[4:5]
	s_cbranch_vccnz .LBB23_4
; %bb.3:
	s_load_dword s12, s[12:13], 0x0
.LBB23_4:
	s_waitcnt lgkmcnt(0)
	v_cmp_eq_f32_e64 s[4:5], s14, 0
	v_cmp_eq_f32_e64 s[6:7], s12, 1.0
	s_and_b64 s[4:5], s[4:5], s[6:7]
	s_and_b64 vcc, exec, s[4:5]
	s_cbranch_vccnz .LBB23_22
; %bb.5:
	s_load_dwordx2 s[18:19], s[0:1], 0x0
	v_lshrrev_b32_e32 v1, 5, v0
	v_lshl_or_b32 v2, s2, 2, v1
	s_waitcnt lgkmcnt(0)
	v_cmp_gt_i32_e32 vcc, s18, v2
	s_and_saveexec_b64 s[2:3], vcc
	s_cbranch_execz .LBB23_22
; %bb.6:
	s_load_dwordx8 s[4:11], s[0:1], 0x10
	v_ashrrev_i32_e32 v3, 31, v2
	s_cmp_lg_u32 s19, 0
	s_waitcnt lgkmcnt(0)
	v_lshl_add_u64 v[4:5], v[2:3], 2, s[4:5]
	global_load_dwordx2 v[4:5], v[4:5], off
	v_and_b32_e32 v3, 31, v0
	s_waitcnt vmcnt(0)
	v_subrev_u32_e32 v0, s16, v4
	v_subrev_u32_e32 v13, s16, v5
	v_add_u32_e32 v0, v0, v3
	v_cmp_lt_i32_e64 s[2:3], v0, v13
	s_cbranch_scc0 .LBB23_12
; %bb.7:
	v_mov_b32_e32 v5, 0
	v_mov_b32_e32 v4, v5
	;; [unrolled: 1-line block ×3, first 2 shown]
	s_and_saveexec_b64 s[4:5], s[2:3]
	s_cbranch_execz .LBB23_11
; %bb.8:
	v_mad_u64_u32 v[6:7], s[18:19], v0, 18, 17
	v_mov_b32_e32 v9, 0
	s_mov_b64 s[18:19], 0
	v_mov_b32_e32 v10, v0
	v_mov_b32_e32 v12, 0
	;; [unrolled: 1-line block ×4, first 2 shown]
.LBB23_9:                               ; =>This Inner Loop Header: Depth=1
	v_ashrrev_i32_e32 v11, 31, v10
	v_lshl_add_u64 v[14:15], v[10:11], 2, s[6:7]
	global_load_dword v1, v[14:15], off
	v_subrev_u32_e32 v8, 17, v6
	v_lshl_add_u64 v[16:17], v[8:9], 2, s[8:9]
	v_add_u32_e32 v8, -15, v6
	v_lshl_add_u64 v[20:21], v[8:9], 2, s[8:9]
	v_add_u32_e32 v8, -14, v6
	v_mov_b32_e32 v7, v9
	v_lshl_add_u64 v[22:23], v[8:9], 2, s[8:9]
	v_add_u32_e32 v8, -13, v6
	v_lshl_add_u64 v[18:19], v[6:7], 2, s[8:9]
	global_load_dwordx2 v[16:17], v[16:17], off
	v_mov_b32_e32 v15, v9
	global_load_dword v7, v[20:21], off
	v_add_u32_e32 v10, 32, v10
	global_load_dword v22, v[22:23], off
	v_lshl_add_u64 v[20:21], v[8:9], 2, s[8:9]
	v_add_u32_e32 v8, -12, v6
	v_lshl_add_u64 v[24:25], v[8:9], 2, s[8:9]
	v_add_u32_e32 v8, -11, v6
	global_load_dword v23, v[20:21], off
	v_lshl_add_u64 v[20:21], v[8:9], 2, s[8:9]
	global_load_dword v11, v[24:25], off
	global_load_dword v26, v[20:21], off
	v_cmp_ge_i32_e32 vcc, v10, v13
	s_or_b64 s[18:19], vcc, s[18:19]
	s_waitcnt vmcnt(6)
	v_subrev_u32_e32 v1, s16, v1
	v_mul_lo_u32 v14, v1, 6
	v_add_u32_e32 v8, 2, v14
	v_lshl_add_u64 v[24:25], v[8:9], 2, s[10:11]
	v_add_u32_e32 v8, -10, v6
	v_lshl_add_u64 v[28:29], v[8:9], 2, s[8:9]
	v_add_u32_e32 v8, -9, v6
	;; [unrolled: 2-line block ×3, first 2 shown]
	global_load_dword v27, v[28:29], off
	global_load_dword v1, v[30:31], off
	v_lshl_add_u64 v[28:29], v[8:9], 2, s[8:9]
	v_add_u32_e32 v8, -7, v6
	v_lshl_add_u64 v[30:31], v[8:9], 2, s[8:9]
	v_add_u32_e32 v8, -6, v6
	v_lshl_add_u64 v[20:21], v[14:15], 2, s[10:11]
	v_lshl_add_u64 v[32:33], v[8:9], 2, s[8:9]
	v_add_u32_e32 v8, -5, v6
	global_load_dwordx2 v[20:21], v[20:21], off
	s_nop 0
	global_load_dwordx2 v[24:25], v[24:25], off
	s_waitcnt vmcnt(1)
	v_fmac_f32_e32 v12, v7, v20
	global_load_dword v28, v[28:29], off
	v_pk_fma_f32 v[4:5], v[16:17], v[20:21], v[4:5] op_sel_hi:[1,0,1]
	global_load_dword v29, v[30:31], off
	v_lshl_add_u64 v[30:31], v[8:9], 2, s[8:9]
	v_add_u32_e32 v8, 4, v14
	global_load_dword v38, v[32:33], off
	global_load_dword v14, v[30:31], off
	v_lshl_add_u64 v[30:31], v[8:9], 2, s[10:11]
	v_add_u32_e32 v8, -4, v6
	v_lshl_add_u64 v[32:33], v[8:9], 2, s[8:9]
	v_add_u32_e32 v8, -3, v6
	;; [unrolled: 2-line block ×3, first 2 shown]
	global_load_dwordx2 v[30:31], v[30:31], off
	v_fmac_f32_e32 v12, v11, v21
	global_load_dword v15, v[32:33], off
	global_load_dword v39, v[34:35], off
	v_lshl_add_u64 v[32:33], v[8:9], 2, s[8:9]
	v_add_u32_e32 v8, -1, v6
	v_lshl_add_u64 v[34:35], v[8:9], 2, s[8:9]
	global_load_dword v36, v[32:33], off
	global_load_dword v37, v[34:35], off
	;; [unrolled: 1-line block ×3, first 2 shown]
	v_pk_fma_f32 v[4:5], v[22:23], v[20:21], v[4:5] op_sel:[0,1,0]
	s_waitcnt vmcnt(10)
	v_fmac_f32_e32 v12, v1, v24
	v_pk_fma_f32 v[4:5], v[26:27], v[24:25], v[4:5] op_sel_hi:[1,0,1]
	v_add_u32_e32 v6, 0x240, v6
	s_waitcnt vmcnt(8)
	v_pk_fma_f32 v[4:5], v[28:29], v[24:25], v[4:5] op_sel:[0,1,0]
	s_waitcnt vmcnt(7)
	v_fmac_f32_e32 v12, v38, v25
	s_waitcnt vmcnt(4)
	v_pk_fma_f32 v[4:5], v[14:15], v[30:31], v[4:5] op_sel_hi:[1,0,1]
	s_waitcnt vmcnt(3)
	v_fmac_f32_e32 v12, v39, v30
	s_waitcnt vmcnt(1)
	v_pk_fma_f32 v[4:5], v[36:37], v[30:31], v[4:5] op_sel:[0,1,0]
	s_waitcnt vmcnt(0)
	v_fmac_f32_e32 v12, v8, v31
	s_andn2_b64 exec, exec, s[18:19]
	s_cbranch_execnz .LBB23_9
; %bb.10:
	s_or_b64 exec, exec, s[18:19]
.LBB23_11:
	s_or_b64 exec, exec, s[4:5]
	s_cbranch_execz .LBB23_13
	s_branch .LBB23_18
.LBB23_12:
                                        ; implicit-def: $vgpr5
                                        ; implicit-def: $vgpr12
.LBB23_13:
	v_mov_b32_e32 v5, 0
	v_mov_b32_e32 v4, v5
	;; [unrolled: 1-line block ×3, first 2 shown]
	s_and_saveexec_b64 s[4:5], s[2:3]
	s_cbranch_execz .LBB23_17
; %bb.14:
	v_mad_u64_u32 v[6:7], s[2:3], v0, 18, 17
	v_mov_b32_e32 v9, 0
	s_mov_b64 s[2:3], 0
	v_mov_b32_e32 v12, 0
	v_mov_b32_e32 v4, v9
	;; [unrolled: 1-line block ×3, first 2 shown]
.LBB23_15:                              ; =>This Inner Loop Header: Depth=1
	v_ashrrev_i32_e32 v1, 31, v0
	v_lshl_add_u64 v[10:11], v[0:1], 2, s[6:7]
	global_load_dword v1, v[10:11], off
	v_subrev_u32_e32 v8, 17, v6
	v_add_u32_e32 v10, -11, v6
	v_mov_b32_e32 v11, v9
	v_lshl_add_u64 v[18:19], v[8:9], 2, s[8:9]
	v_add_u32_e32 v8, -10, v6
	v_add_u32_e32 v14, -5, v6
	v_mov_b32_e32 v15, v9
	v_mov_b32_e32 v7, v9
	v_lshl_add_u64 v[10:11], v[10:11], 2, s[8:9]
	v_lshl_add_u64 v[22:23], v[8:9], 2, s[8:9]
	v_add_u32_e32 v8, -4, v6
	v_lshl_add_u64 v[14:15], v[14:15], 2, s[8:9]
	v_lshl_add_u64 v[20:21], v[6:7], 2, s[8:9]
	global_load_dwordx2 v[18:19], v[18:19], off
	s_nop 0
	global_load_dword v25, v[10:11], off
	global_load_dword v7, v[14:15], off
	v_lshl_add_u64 v[10:11], v[8:9], 2, s[8:9]
	v_add_u32_e32 v8, -15, v6
	global_load_dword v15, v[22:23], off
	v_lshl_add_u64 v[22:23], v[8:9], 2, s[8:9]
	global_load_dword v38, v[10:11], off
	global_load_dword v26, v[22:23], off
	v_mov_b32_e32 v17, v9
	v_add_u32_e32 v0, 32, v0
	v_cmp_ge_i32_e32 vcc, v0, v13
	s_or_b64 s[2:3], vcc, s[2:3]
	s_waitcnt vmcnt(6)
	v_subrev_u32_e32 v1, s16, v1
	v_mul_lo_u32 v16, v1, 6
	v_add_u32_e32 v8, 2, v16
	v_lshl_add_u64 v[22:23], v[8:9], 2, s[10:11]
	v_add_u32_e32 v8, -9, v6
	v_lshl_add_u64 v[28:29], v[8:9], 2, s[8:9]
	v_add_u32_e32 v8, -3, v6
	;; [unrolled: 2-line block ×3, first 2 shown]
	global_load_dword v27, v[28:29], off
	global_load_dword v1, v[30:31], off
	v_lshl_add_u64 v[28:29], v[8:9], 2, s[8:9]
	v_add_u32_e32 v8, -8, v6
	v_lshl_add_u64 v[30:31], v[8:9], 2, s[8:9]
	v_add_u32_e32 v8, -2, v6
	v_lshl_add_u64 v[10:11], v[16:17], 2, s[10:11]
	v_lshl_add_u64 v[32:33], v[8:9], 2, s[8:9]
	v_add_u32_e32 v8, -13, v6
	global_load_dwordx2 v[10:11], v[10:11], off
	s_waitcnt vmcnt(8)
	v_mov_b32_e32 v24, v18
	global_load_dwordx2 v[22:23], v[22:23], off
	v_mov_b32_e32 v14, v19
	global_load_dword v28, v[28:29], off
	s_waitcnt vmcnt(2)
	v_fmac_f32_e32 v12, v7, v10
	global_load_dword v29, v[30:31], off
	v_lshl_add_u64 v[30:31], v[8:9], 2, s[8:9]
	v_add_u32_e32 v8, 4, v16
	global_load_dword v39, v[32:33], off
	global_load_dword v16, v[30:31], off
	v_lshl_add_u64 v[30:31], v[8:9], 2, s[10:11]
	v_add_u32_e32 v8, -7, v6
	v_lshl_add_u64 v[32:33], v[8:9], 2, s[8:9]
	v_add_u32_e32 v8, -1, v6
	v_lshl_add_u64 v[34:35], v[8:9], 2, s[8:9]
	v_add_u32_e32 v8, -12, v6
	global_load_dwordx2 v[30:31], v[30:31], off
	v_pk_fma_f32 v[4:5], v[24:25], v[10:11], v[4:5] op_sel_hi:[1,0,1]
	global_load_dword v17, v[32:33], off
	global_load_dword v40, v[34:35], off
	v_lshl_add_u64 v[32:33], v[8:9], 2, s[8:9]
	v_add_u32_e32 v8, -6, v6
	v_lshl_add_u64 v[34:35], v[8:9], 2, s[8:9]
	global_load_dword v36, v[32:33], off
	global_load_dword v37, v[34:35], off
	;; [unrolled: 1-line block ×3, first 2 shown]
	v_fmac_f32_e32 v12, v38, v11
	v_pk_fma_f32 v[4:5], v[14:15], v[10:11], v[4:5] op_sel:[0,1,0]
	s_waitcnt vmcnt(10)
	v_fmac_f32_e32 v12, v1, v22
	v_pk_fma_f32 v[4:5], v[26:27], v[22:23], v[4:5] op_sel_hi:[1,0,1]
	v_add_u32_e32 v6, 0x240, v6
	s_waitcnt vmcnt(8)
	v_pk_fma_f32 v[4:5], v[28:29], v[22:23], v[4:5] op_sel:[0,1,0]
	s_waitcnt vmcnt(7)
	v_fmac_f32_e32 v12, v39, v23
	s_waitcnt vmcnt(4)
	v_pk_fma_f32 v[4:5], v[16:17], v[30:31], v[4:5] op_sel_hi:[1,0,1]
	s_waitcnt vmcnt(3)
	v_fmac_f32_e32 v12, v40, v30
	s_waitcnt vmcnt(1)
	v_pk_fma_f32 v[4:5], v[36:37], v[30:31], v[4:5] op_sel:[0,1,0]
	s_waitcnt vmcnt(0)
	v_fmac_f32_e32 v12, v8, v31
	s_andn2_b64 exec, exec, s[2:3]
	s_cbranch_execnz .LBB23_15
; %bb.16:
	s_or_b64 exec, exec, s[2:3]
.LBB23_17:
	s_or_b64 exec, exec, s[4:5]
.LBB23_18:
	v_mov_b32_dpp v0, v4 row_shr:1 row_mask:0xf bank_mask:0xf
	v_mov_b32_dpp v1, v5 row_shr:1 row_mask:0xf bank_mask:0xf
	;; [unrolled: 1-line block ×3, first 2 shown]
	v_pk_add_f32 v[0:1], v[4:5], v[0:1]
	v_add_f32_e32 v6, v12, v6
	v_cmp_eq_u32_e32 vcc, 31, v3
	v_mov_b32_dpp v4, v0 row_shr:2 row_mask:0xf bank_mask:0xf
	v_mov_b32_dpp v5, v1 row_shr:2 row_mask:0xf bank_mask:0xf
	v_mov_b32_dpp v7, v6 row_shr:2 row_mask:0xf bank_mask:0xf
	v_pk_add_f32 v[0:1], v[0:1], v[4:5]
	v_add_f32_e32 v6, v6, v7
	s_nop 0
	v_mov_b32_dpp v4, v0 row_shr:4 row_mask:0xf bank_mask:0xe
	v_mov_b32_dpp v5, v1 row_shr:4 row_mask:0xf bank_mask:0xe
	v_mov_b32_dpp v7, v6 row_shr:4 row_mask:0xf bank_mask:0xe
	v_pk_add_f32 v[0:1], v[0:1], v[4:5]
	v_add_f32_e32 v6, v6, v7
	s_nop 0
	v_mov_b32_dpp v4, v0 row_shr:8 row_mask:0xf bank_mask:0xc
	v_mov_b32_dpp v5, v1 row_shr:8 row_mask:0xf bank_mask:0xc
	v_mov_b32_dpp v7, v6 row_shr:8 row_mask:0xf bank_mask:0xc
	v_pk_add_f32 v[0:1], v[0:1], v[4:5]
	v_add_f32_e32 v6, v6, v7
	s_nop 0
	v_mov_b32_dpp v4, v0 row_bcast:15 row_mask:0xa bank_mask:0xf
	v_mov_b32_dpp v5, v1 row_bcast:15 row_mask:0xa bank_mask:0xf
	;; [unrolled: 1-line block ×3, first 2 shown]
	s_and_b64 exec, exec, vcc
	s_cbranch_execz .LBB23_22
; %bb.19:
	s_load_dwordx2 s[0:1], s[0:1], 0x38
	v_pk_add_f32 v[4:5], v[0:1], v[4:5]
	v_add_f32_e32 v0, v6, v7
	v_cmp_eq_f32_e64 s[2:3], s12, 0
	v_lshl_add_u32 v6, v2, 1, v2
	s_and_b64 vcc, exec, s[2:3]
	v_mul_f32_e32 v2, s14, v0
	v_ashrrev_i32_e32 v7, 31, v6
	s_cbranch_vccz .LBB23_23
; %bb.20:
	s_waitcnt lgkmcnt(0)
	v_lshl_add_u64 v[8:9], v[6:7], 2, s[0:1]
	v_pk_mul_f32 v[0:1], s[14:15], v[4:5] op_sel_hi:[0,1]
	global_store_dwordx3 v[8:9], v[0:2], off
	s_cbranch_execnz .LBB23_22
.LBB23_21:
	s_waitcnt lgkmcnt(0)
	v_lshl_add_u64 v[10:11], v[6:7], 2, s[0:1]
	global_load_dwordx3 v[6:8], v[10:11], off
	v_pk_mul_f32 v[0:1], s[14:15], v[4:5] op_sel_hi:[0,1]
	s_waitcnt vmcnt(0)
	v_pk_fma_f32 v[0:1], s[12:13], v[6:7], v[0:1] op_sel_hi:[0,1,1]
	v_fmac_f32_e32 v2, s12, v8
	global_store_dwordx3 v[10:11], v[0:2], off
.LBB23_22:
	s_endpgm
.LBB23_23:
	s_branch .LBB23_21
	.section	.rodata,"a",@progbits
	.p2align	6, 0x0
	.amdhsa_kernel _ZN9rocsparseL19gebsrmvn_3xn_kernelILj128ELj6ELj32EfEEvi20rocsparse_direction_NS_24const_host_device_scalarIT2_EEPKiS6_PKS3_S8_S4_PS3_21rocsparse_index_base_b
		.amdhsa_group_segment_fixed_size 0
		.amdhsa_private_segment_fixed_size 0
		.amdhsa_kernarg_size 72
		.amdhsa_user_sgpr_count 2
		.amdhsa_user_sgpr_dispatch_ptr 0
		.amdhsa_user_sgpr_queue_ptr 0
		.amdhsa_user_sgpr_kernarg_segment_ptr 1
		.amdhsa_user_sgpr_dispatch_id 0
		.amdhsa_user_sgpr_kernarg_preload_length 0
		.amdhsa_user_sgpr_kernarg_preload_offset 0
		.amdhsa_user_sgpr_private_segment_size 0
		.amdhsa_uses_dynamic_stack 0
		.amdhsa_enable_private_segment 0
		.amdhsa_system_sgpr_workgroup_id_x 1
		.amdhsa_system_sgpr_workgroup_id_y 0
		.amdhsa_system_sgpr_workgroup_id_z 0
		.amdhsa_system_sgpr_workgroup_info 0
		.amdhsa_system_vgpr_workitem_id 0
		.amdhsa_next_free_vgpr 41
		.amdhsa_next_free_sgpr 20
		.amdhsa_accum_offset 44
		.amdhsa_reserve_vcc 1
		.amdhsa_float_round_mode_32 0
		.amdhsa_float_round_mode_16_64 0
		.amdhsa_float_denorm_mode_32 3
		.amdhsa_float_denorm_mode_16_64 3
		.amdhsa_dx10_clamp 1
		.amdhsa_ieee_mode 1
		.amdhsa_fp16_overflow 0
		.amdhsa_tg_split 0
		.amdhsa_exception_fp_ieee_invalid_op 0
		.amdhsa_exception_fp_denorm_src 0
		.amdhsa_exception_fp_ieee_div_zero 0
		.amdhsa_exception_fp_ieee_overflow 0
		.amdhsa_exception_fp_ieee_underflow 0
		.amdhsa_exception_fp_ieee_inexact 0
		.amdhsa_exception_int_div_zero 0
	.end_amdhsa_kernel
	.section	.text._ZN9rocsparseL19gebsrmvn_3xn_kernelILj128ELj6ELj32EfEEvi20rocsparse_direction_NS_24const_host_device_scalarIT2_EEPKiS6_PKS3_S8_S4_PS3_21rocsparse_index_base_b,"axG",@progbits,_ZN9rocsparseL19gebsrmvn_3xn_kernelILj128ELj6ELj32EfEEvi20rocsparse_direction_NS_24const_host_device_scalarIT2_EEPKiS6_PKS3_S8_S4_PS3_21rocsparse_index_base_b,comdat
.Lfunc_end23:
	.size	_ZN9rocsparseL19gebsrmvn_3xn_kernelILj128ELj6ELj32EfEEvi20rocsparse_direction_NS_24const_host_device_scalarIT2_EEPKiS6_PKS3_S8_S4_PS3_21rocsparse_index_base_b, .Lfunc_end23-_ZN9rocsparseL19gebsrmvn_3xn_kernelILj128ELj6ELj32EfEEvi20rocsparse_direction_NS_24const_host_device_scalarIT2_EEPKiS6_PKS3_S8_S4_PS3_21rocsparse_index_base_b
                                        ; -- End function
	.section	.AMDGPU.csdata,"",@progbits
; Kernel info:
; codeLenInByte = 1832
; NumSgprs: 26
; NumVgprs: 41
; NumAgprs: 0
; TotalNumVgprs: 41
; ScratchSize: 0
; MemoryBound: 0
; FloatMode: 240
; IeeeMode: 1
; LDSByteSize: 0 bytes/workgroup (compile time only)
; SGPRBlocks: 3
; VGPRBlocks: 5
; NumSGPRsForWavesPerEU: 26
; NumVGPRsForWavesPerEU: 41
; AccumOffset: 44
; Occupancy: 8
; WaveLimiterHint : 1
; COMPUTE_PGM_RSRC2:SCRATCH_EN: 0
; COMPUTE_PGM_RSRC2:USER_SGPR: 2
; COMPUTE_PGM_RSRC2:TRAP_HANDLER: 0
; COMPUTE_PGM_RSRC2:TGID_X_EN: 1
; COMPUTE_PGM_RSRC2:TGID_Y_EN: 0
; COMPUTE_PGM_RSRC2:TGID_Z_EN: 0
; COMPUTE_PGM_RSRC2:TIDIG_COMP_CNT: 0
; COMPUTE_PGM_RSRC3_GFX90A:ACCUM_OFFSET: 10
; COMPUTE_PGM_RSRC3_GFX90A:TG_SPLIT: 0
	.section	.text._ZN9rocsparseL19gebsrmvn_3xn_kernelILj128ELj6ELj64EfEEvi20rocsparse_direction_NS_24const_host_device_scalarIT2_EEPKiS6_PKS3_S8_S4_PS3_21rocsparse_index_base_b,"axG",@progbits,_ZN9rocsparseL19gebsrmvn_3xn_kernelILj128ELj6ELj64EfEEvi20rocsparse_direction_NS_24const_host_device_scalarIT2_EEPKiS6_PKS3_S8_S4_PS3_21rocsparse_index_base_b,comdat
	.globl	_ZN9rocsparseL19gebsrmvn_3xn_kernelILj128ELj6ELj64EfEEvi20rocsparse_direction_NS_24const_host_device_scalarIT2_EEPKiS6_PKS3_S8_S4_PS3_21rocsparse_index_base_b ; -- Begin function _ZN9rocsparseL19gebsrmvn_3xn_kernelILj128ELj6ELj64EfEEvi20rocsparse_direction_NS_24const_host_device_scalarIT2_EEPKiS6_PKS3_S8_S4_PS3_21rocsparse_index_base_b
	.p2align	8
	.type	_ZN9rocsparseL19gebsrmvn_3xn_kernelILj128ELj6ELj64EfEEvi20rocsparse_direction_NS_24const_host_device_scalarIT2_EEPKiS6_PKS3_S8_S4_PS3_21rocsparse_index_base_b,@function
_ZN9rocsparseL19gebsrmvn_3xn_kernelILj128ELj6ELj64EfEEvi20rocsparse_direction_NS_24const_host_device_scalarIT2_EEPKiS6_PKS3_S8_S4_PS3_21rocsparse_index_base_b: ; @_ZN9rocsparseL19gebsrmvn_3xn_kernelILj128ELj6ELj64EfEEvi20rocsparse_direction_NS_24const_host_device_scalarIT2_EEPKiS6_PKS3_S8_S4_PS3_21rocsparse_index_base_b
; %bb.0:
	s_load_dwordx2 s[16:17], s[0:1], 0x40
	s_load_dwordx2 s[14:15], s[0:1], 0x8
	;; [unrolled: 1-line block ×3, first 2 shown]
	s_waitcnt lgkmcnt(0)
	s_bitcmp1_b32 s17, 0
	s_cselect_b64 s[6:7], -1, 0
	s_xor_b64 s[4:5], s[6:7], -1
	s_and_b64 vcc, exec, s[6:7]
	s_cbranch_vccnz .LBB24_2
; %bb.1:
	s_load_dword s14, s[14:15], 0x0
.LBB24_2:
	s_andn2_b64 vcc, exec, s[4:5]
	s_cbranch_vccnz .LBB24_4
; %bb.3:
	s_load_dword s12, s[12:13], 0x0
.LBB24_4:
	s_waitcnt lgkmcnt(0)
	v_cmp_eq_f32_e64 s[4:5], s14, 0
	v_cmp_eq_f32_e64 s[6:7], s12, 1.0
	s_and_b64 s[4:5], s[4:5], s[6:7]
	s_and_b64 vcc, exec, s[4:5]
	s_cbranch_vccnz .LBB24_22
; %bb.5:
	s_load_dwordx2 s[18:19], s[0:1], 0x0
	v_lshrrev_b32_e32 v1, 6, v0
	v_lshl_or_b32 v2, s2, 1, v1
	s_waitcnt lgkmcnt(0)
	v_cmp_gt_i32_e32 vcc, s18, v2
	s_and_saveexec_b64 s[2:3], vcc
	s_cbranch_execz .LBB24_22
; %bb.6:
	s_load_dwordx8 s[4:11], s[0:1], 0x10
	v_ashrrev_i32_e32 v3, 31, v2
	s_cmp_lg_u32 s19, 0
	s_waitcnt lgkmcnt(0)
	v_lshl_add_u64 v[4:5], v[2:3], 2, s[4:5]
	global_load_dwordx2 v[4:5], v[4:5], off
	v_and_b32_e32 v3, 63, v0
	s_waitcnt vmcnt(0)
	v_subrev_u32_e32 v0, s16, v4
	v_subrev_u32_e32 v13, s16, v5
	v_add_u32_e32 v0, v0, v3
	v_cmp_lt_i32_e64 s[2:3], v0, v13
	s_cbranch_scc0 .LBB24_12
; %bb.7:
	v_mov_b32_e32 v5, 0
	v_mov_b32_e32 v4, v5
	;; [unrolled: 1-line block ×3, first 2 shown]
	s_and_saveexec_b64 s[4:5], s[2:3]
	s_cbranch_execz .LBB24_11
; %bb.8:
	v_mad_u64_u32 v[6:7], s[18:19], v0, 18, 17
	v_mov_b32_e32 v9, 0
	s_mov_b64 s[18:19], 0
	v_mov_b32_e32 v10, v0
	v_mov_b32_e32 v12, 0
	;; [unrolled: 1-line block ×4, first 2 shown]
.LBB24_9:                               ; =>This Inner Loop Header: Depth=1
	v_ashrrev_i32_e32 v11, 31, v10
	v_lshl_add_u64 v[14:15], v[10:11], 2, s[6:7]
	global_load_dword v1, v[14:15], off
	v_subrev_u32_e32 v8, 17, v6
	v_lshl_add_u64 v[16:17], v[8:9], 2, s[8:9]
	v_add_u32_e32 v8, -15, v6
	v_lshl_add_u64 v[20:21], v[8:9], 2, s[8:9]
	v_add_u32_e32 v8, -14, v6
	v_mov_b32_e32 v7, v9
	v_lshl_add_u64 v[22:23], v[8:9], 2, s[8:9]
	v_add_u32_e32 v8, -13, v6
	v_lshl_add_u64 v[18:19], v[6:7], 2, s[8:9]
	global_load_dwordx2 v[16:17], v[16:17], off
	v_mov_b32_e32 v15, v9
	global_load_dword v7, v[20:21], off
	v_add_u32_e32 v10, 64, v10
	global_load_dword v22, v[22:23], off
	v_lshl_add_u64 v[20:21], v[8:9], 2, s[8:9]
	v_add_u32_e32 v8, -12, v6
	v_lshl_add_u64 v[24:25], v[8:9], 2, s[8:9]
	v_add_u32_e32 v8, -11, v6
	global_load_dword v23, v[20:21], off
	v_lshl_add_u64 v[20:21], v[8:9], 2, s[8:9]
	global_load_dword v11, v[24:25], off
	global_load_dword v26, v[20:21], off
	v_cmp_ge_i32_e32 vcc, v10, v13
	s_or_b64 s[18:19], vcc, s[18:19]
	s_waitcnt vmcnt(6)
	v_subrev_u32_e32 v1, s16, v1
	v_mul_lo_u32 v14, v1, 6
	v_add_u32_e32 v8, 2, v14
	v_lshl_add_u64 v[24:25], v[8:9], 2, s[10:11]
	v_add_u32_e32 v8, -10, v6
	v_lshl_add_u64 v[28:29], v[8:9], 2, s[8:9]
	v_add_u32_e32 v8, -9, v6
	;; [unrolled: 2-line block ×3, first 2 shown]
	global_load_dword v27, v[28:29], off
	global_load_dword v1, v[30:31], off
	v_lshl_add_u64 v[28:29], v[8:9], 2, s[8:9]
	v_add_u32_e32 v8, -7, v6
	v_lshl_add_u64 v[30:31], v[8:9], 2, s[8:9]
	v_add_u32_e32 v8, -6, v6
	v_lshl_add_u64 v[20:21], v[14:15], 2, s[10:11]
	v_lshl_add_u64 v[32:33], v[8:9], 2, s[8:9]
	v_add_u32_e32 v8, -5, v6
	global_load_dwordx2 v[20:21], v[20:21], off
	s_nop 0
	global_load_dwordx2 v[24:25], v[24:25], off
	s_waitcnt vmcnt(1)
	v_fmac_f32_e32 v12, v7, v20
	global_load_dword v28, v[28:29], off
	v_pk_fma_f32 v[4:5], v[16:17], v[20:21], v[4:5] op_sel_hi:[1,0,1]
	global_load_dword v29, v[30:31], off
	v_lshl_add_u64 v[30:31], v[8:9], 2, s[8:9]
	v_add_u32_e32 v8, 4, v14
	global_load_dword v38, v[32:33], off
	global_load_dword v14, v[30:31], off
	v_lshl_add_u64 v[30:31], v[8:9], 2, s[10:11]
	v_add_u32_e32 v8, -4, v6
	v_lshl_add_u64 v[32:33], v[8:9], 2, s[8:9]
	v_add_u32_e32 v8, -3, v6
	;; [unrolled: 2-line block ×3, first 2 shown]
	global_load_dwordx2 v[30:31], v[30:31], off
	v_fmac_f32_e32 v12, v11, v21
	global_load_dword v15, v[32:33], off
	global_load_dword v39, v[34:35], off
	v_lshl_add_u64 v[32:33], v[8:9], 2, s[8:9]
	v_add_u32_e32 v8, -1, v6
	v_lshl_add_u64 v[34:35], v[8:9], 2, s[8:9]
	global_load_dword v36, v[32:33], off
	global_load_dword v37, v[34:35], off
	;; [unrolled: 1-line block ×3, first 2 shown]
	v_pk_fma_f32 v[4:5], v[22:23], v[20:21], v[4:5] op_sel:[0,1,0]
	s_waitcnt vmcnt(10)
	v_fmac_f32_e32 v12, v1, v24
	v_pk_fma_f32 v[4:5], v[26:27], v[24:25], v[4:5] op_sel_hi:[1,0,1]
	v_add_u32_e32 v6, 0x480, v6
	s_waitcnt vmcnt(8)
	v_pk_fma_f32 v[4:5], v[28:29], v[24:25], v[4:5] op_sel:[0,1,0]
	s_waitcnt vmcnt(7)
	v_fmac_f32_e32 v12, v38, v25
	s_waitcnt vmcnt(4)
	v_pk_fma_f32 v[4:5], v[14:15], v[30:31], v[4:5] op_sel_hi:[1,0,1]
	s_waitcnt vmcnt(3)
	v_fmac_f32_e32 v12, v39, v30
	s_waitcnt vmcnt(1)
	v_pk_fma_f32 v[4:5], v[36:37], v[30:31], v[4:5] op_sel:[0,1,0]
	s_waitcnt vmcnt(0)
	v_fmac_f32_e32 v12, v8, v31
	s_andn2_b64 exec, exec, s[18:19]
	s_cbranch_execnz .LBB24_9
; %bb.10:
	s_or_b64 exec, exec, s[18:19]
.LBB24_11:
	s_or_b64 exec, exec, s[4:5]
	s_cbranch_execz .LBB24_13
	s_branch .LBB24_18
.LBB24_12:
                                        ; implicit-def: $vgpr5
                                        ; implicit-def: $vgpr12
.LBB24_13:
	v_mov_b32_e32 v5, 0
	v_mov_b32_e32 v4, v5
	;; [unrolled: 1-line block ×3, first 2 shown]
	s_and_saveexec_b64 s[4:5], s[2:3]
	s_cbranch_execz .LBB24_17
; %bb.14:
	v_mad_u64_u32 v[6:7], s[2:3], v0, 18, 17
	v_mov_b32_e32 v9, 0
	s_mov_b64 s[2:3], 0
	v_mov_b32_e32 v12, 0
	v_mov_b32_e32 v4, v9
	;; [unrolled: 1-line block ×3, first 2 shown]
.LBB24_15:                              ; =>This Inner Loop Header: Depth=1
	v_ashrrev_i32_e32 v1, 31, v0
	v_lshl_add_u64 v[10:11], v[0:1], 2, s[6:7]
	global_load_dword v1, v[10:11], off
	v_subrev_u32_e32 v8, 17, v6
	v_add_u32_e32 v10, -11, v6
	v_mov_b32_e32 v11, v9
	v_lshl_add_u64 v[18:19], v[8:9], 2, s[8:9]
	v_add_u32_e32 v8, -10, v6
	v_add_u32_e32 v14, -5, v6
	v_mov_b32_e32 v15, v9
	v_mov_b32_e32 v7, v9
	v_lshl_add_u64 v[10:11], v[10:11], 2, s[8:9]
	v_lshl_add_u64 v[22:23], v[8:9], 2, s[8:9]
	v_add_u32_e32 v8, -4, v6
	v_lshl_add_u64 v[14:15], v[14:15], 2, s[8:9]
	v_lshl_add_u64 v[20:21], v[6:7], 2, s[8:9]
	global_load_dwordx2 v[18:19], v[18:19], off
	s_nop 0
	global_load_dword v25, v[10:11], off
	global_load_dword v7, v[14:15], off
	v_lshl_add_u64 v[10:11], v[8:9], 2, s[8:9]
	v_add_u32_e32 v8, -15, v6
	global_load_dword v15, v[22:23], off
	v_lshl_add_u64 v[22:23], v[8:9], 2, s[8:9]
	global_load_dword v38, v[10:11], off
	global_load_dword v26, v[22:23], off
	v_mov_b32_e32 v17, v9
	v_add_u32_e32 v0, 64, v0
	v_cmp_ge_i32_e32 vcc, v0, v13
	s_or_b64 s[2:3], vcc, s[2:3]
	s_waitcnt vmcnt(6)
	v_subrev_u32_e32 v1, s16, v1
	v_mul_lo_u32 v16, v1, 6
	v_add_u32_e32 v8, 2, v16
	v_lshl_add_u64 v[22:23], v[8:9], 2, s[10:11]
	v_add_u32_e32 v8, -9, v6
	v_lshl_add_u64 v[28:29], v[8:9], 2, s[8:9]
	v_add_u32_e32 v8, -3, v6
	v_lshl_add_u64 v[30:31], v[8:9], 2, s[8:9]
	v_add_u32_e32 v8, -14, v6
	global_load_dword v27, v[28:29], off
	global_load_dword v1, v[30:31], off
	v_lshl_add_u64 v[28:29], v[8:9], 2, s[8:9]
	v_add_u32_e32 v8, -8, v6
	v_lshl_add_u64 v[30:31], v[8:9], 2, s[8:9]
	v_add_u32_e32 v8, -2, v6
	v_lshl_add_u64 v[10:11], v[16:17], 2, s[10:11]
	v_lshl_add_u64 v[32:33], v[8:9], 2, s[8:9]
	v_add_u32_e32 v8, -13, v6
	global_load_dwordx2 v[10:11], v[10:11], off
	s_waitcnt vmcnt(8)
	v_mov_b32_e32 v24, v18
	global_load_dwordx2 v[22:23], v[22:23], off
	v_mov_b32_e32 v14, v19
	global_load_dword v28, v[28:29], off
	s_waitcnt vmcnt(2)
	v_fmac_f32_e32 v12, v7, v10
	global_load_dword v29, v[30:31], off
	v_lshl_add_u64 v[30:31], v[8:9], 2, s[8:9]
	v_add_u32_e32 v8, 4, v16
	global_load_dword v39, v[32:33], off
	global_load_dword v16, v[30:31], off
	v_lshl_add_u64 v[30:31], v[8:9], 2, s[10:11]
	v_add_u32_e32 v8, -7, v6
	v_lshl_add_u64 v[32:33], v[8:9], 2, s[8:9]
	v_add_u32_e32 v8, -1, v6
	;; [unrolled: 2-line block ×3, first 2 shown]
	global_load_dwordx2 v[30:31], v[30:31], off
	v_pk_fma_f32 v[4:5], v[24:25], v[10:11], v[4:5] op_sel_hi:[1,0,1]
	global_load_dword v17, v[32:33], off
	global_load_dword v40, v[34:35], off
	v_lshl_add_u64 v[32:33], v[8:9], 2, s[8:9]
	v_add_u32_e32 v8, -6, v6
	v_lshl_add_u64 v[34:35], v[8:9], 2, s[8:9]
	global_load_dword v36, v[32:33], off
	global_load_dword v37, v[34:35], off
	;; [unrolled: 1-line block ×3, first 2 shown]
	v_fmac_f32_e32 v12, v38, v11
	v_pk_fma_f32 v[4:5], v[14:15], v[10:11], v[4:5] op_sel:[0,1,0]
	s_waitcnt vmcnt(10)
	v_fmac_f32_e32 v12, v1, v22
	v_pk_fma_f32 v[4:5], v[26:27], v[22:23], v[4:5] op_sel_hi:[1,0,1]
	v_add_u32_e32 v6, 0x480, v6
	s_waitcnt vmcnt(8)
	v_pk_fma_f32 v[4:5], v[28:29], v[22:23], v[4:5] op_sel:[0,1,0]
	s_waitcnt vmcnt(7)
	v_fmac_f32_e32 v12, v39, v23
	s_waitcnt vmcnt(4)
	v_pk_fma_f32 v[4:5], v[16:17], v[30:31], v[4:5] op_sel_hi:[1,0,1]
	s_waitcnt vmcnt(3)
	v_fmac_f32_e32 v12, v40, v30
	s_waitcnt vmcnt(1)
	v_pk_fma_f32 v[4:5], v[36:37], v[30:31], v[4:5] op_sel:[0,1,0]
	s_waitcnt vmcnt(0)
	v_fmac_f32_e32 v12, v8, v31
	s_andn2_b64 exec, exec, s[2:3]
	s_cbranch_execnz .LBB24_15
; %bb.16:
	s_or_b64 exec, exec, s[2:3]
.LBB24_17:
	s_or_b64 exec, exec, s[4:5]
.LBB24_18:
	v_mov_b32_dpp v0, v4 row_shr:1 row_mask:0xf bank_mask:0xf
	v_mov_b32_dpp v1, v5 row_shr:1 row_mask:0xf bank_mask:0xf
	;; [unrolled: 1-line block ×3, first 2 shown]
	v_pk_add_f32 v[0:1], v[4:5], v[0:1]
	v_add_f32_e32 v6, v12, v6
	v_cmp_eq_u32_e32 vcc, 63, v3
	v_mov_b32_dpp v4, v0 row_shr:2 row_mask:0xf bank_mask:0xf
	v_mov_b32_dpp v5, v1 row_shr:2 row_mask:0xf bank_mask:0xf
	v_mov_b32_dpp v7, v6 row_shr:2 row_mask:0xf bank_mask:0xf
	v_pk_add_f32 v[0:1], v[0:1], v[4:5]
	v_add_f32_e32 v6, v6, v7
	s_nop 0
	v_mov_b32_dpp v4, v0 row_shr:4 row_mask:0xf bank_mask:0xe
	v_mov_b32_dpp v5, v1 row_shr:4 row_mask:0xf bank_mask:0xe
	v_mov_b32_dpp v7, v6 row_shr:4 row_mask:0xf bank_mask:0xe
	v_pk_add_f32 v[0:1], v[0:1], v[4:5]
	v_add_f32_e32 v6, v6, v7
	s_nop 0
	;; [unrolled: 6-line block ×3, first 2 shown]
	v_mov_b32_dpp v4, v0 row_bcast:15 row_mask:0xa bank_mask:0xf
	v_mov_b32_dpp v5, v1 row_bcast:15 row_mask:0xa bank_mask:0xf
	;; [unrolled: 1-line block ×3, first 2 shown]
	v_pk_add_f32 v[0:1], v[0:1], v[4:5]
	v_add_f32_e32 v6, v6, v7
	s_nop 0
	v_mov_b32_dpp v4, v0 row_bcast:31 row_mask:0xc bank_mask:0xf
	v_mov_b32_dpp v5, v1 row_bcast:31 row_mask:0xc bank_mask:0xf
	v_mov_b32_dpp v7, v6 row_bcast:31 row_mask:0xc bank_mask:0xf
	s_and_b64 exec, exec, vcc
	s_cbranch_execz .LBB24_22
; %bb.19:
	s_load_dwordx2 s[0:1], s[0:1], 0x38
	v_pk_add_f32 v[4:5], v[0:1], v[4:5]
	v_add_f32_e32 v0, v6, v7
	v_cmp_eq_f32_e64 s[2:3], s12, 0
	v_lshl_add_u32 v6, v2, 1, v2
	s_and_b64 vcc, exec, s[2:3]
	v_mul_f32_e32 v2, s14, v0
	v_ashrrev_i32_e32 v7, 31, v6
	s_cbranch_vccz .LBB24_23
; %bb.20:
	s_waitcnt lgkmcnt(0)
	v_lshl_add_u64 v[8:9], v[6:7], 2, s[0:1]
	v_pk_mul_f32 v[0:1], s[14:15], v[4:5] op_sel_hi:[0,1]
	global_store_dwordx3 v[8:9], v[0:2], off
	s_cbranch_execnz .LBB24_22
.LBB24_21:
	s_waitcnt lgkmcnt(0)
	v_lshl_add_u64 v[10:11], v[6:7], 2, s[0:1]
	global_load_dwordx3 v[6:8], v[10:11], off
	v_pk_mul_f32 v[0:1], s[14:15], v[4:5] op_sel_hi:[0,1]
	s_waitcnt vmcnt(0)
	v_pk_fma_f32 v[0:1], s[12:13], v[6:7], v[0:1] op_sel_hi:[0,1,1]
	v_fmac_f32_e32 v2, s12, v8
	global_store_dwordx3 v[10:11], v[0:2], off
.LBB24_22:
	s_endpgm
.LBB24_23:
	s_branch .LBB24_21
	.section	.rodata,"a",@progbits
	.p2align	6, 0x0
	.amdhsa_kernel _ZN9rocsparseL19gebsrmvn_3xn_kernelILj128ELj6ELj64EfEEvi20rocsparse_direction_NS_24const_host_device_scalarIT2_EEPKiS6_PKS3_S8_S4_PS3_21rocsparse_index_base_b
		.amdhsa_group_segment_fixed_size 0
		.amdhsa_private_segment_fixed_size 0
		.amdhsa_kernarg_size 72
		.amdhsa_user_sgpr_count 2
		.amdhsa_user_sgpr_dispatch_ptr 0
		.amdhsa_user_sgpr_queue_ptr 0
		.amdhsa_user_sgpr_kernarg_segment_ptr 1
		.amdhsa_user_sgpr_dispatch_id 0
		.amdhsa_user_sgpr_kernarg_preload_length 0
		.amdhsa_user_sgpr_kernarg_preload_offset 0
		.amdhsa_user_sgpr_private_segment_size 0
		.amdhsa_uses_dynamic_stack 0
		.amdhsa_enable_private_segment 0
		.amdhsa_system_sgpr_workgroup_id_x 1
		.amdhsa_system_sgpr_workgroup_id_y 0
		.amdhsa_system_sgpr_workgroup_id_z 0
		.amdhsa_system_sgpr_workgroup_info 0
		.amdhsa_system_vgpr_workitem_id 0
		.amdhsa_next_free_vgpr 41
		.amdhsa_next_free_sgpr 20
		.amdhsa_accum_offset 44
		.amdhsa_reserve_vcc 1
		.amdhsa_float_round_mode_32 0
		.amdhsa_float_round_mode_16_64 0
		.amdhsa_float_denorm_mode_32 3
		.amdhsa_float_denorm_mode_16_64 3
		.amdhsa_dx10_clamp 1
		.amdhsa_ieee_mode 1
		.amdhsa_fp16_overflow 0
		.amdhsa_tg_split 0
		.amdhsa_exception_fp_ieee_invalid_op 0
		.amdhsa_exception_fp_denorm_src 0
		.amdhsa_exception_fp_ieee_div_zero 0
		.amdhsa_exception_fp_ieee_overflow 0
		.amdhsa_exception_fp_ieee_underflow 0
		.amdhsa_exception_fp_ieee_inexact 0
		.amdhsa_exception_int_div_zero 0
	.end_amdhsa_kernel
	.section	.text._ZN9rocsparseL19gebsrmvn_3xn_kernelILj128ELj6ELj64EfEEvi20rocsparse_direction_NS_24const_host_device_scalarIT2_EEPKiS6_PKS3_S8_S4_PS3_21rocsparse_index_base_b,"axG",@progbits,_ZN9rocsparseL19gebsrmvn_3xn_kernelILj128ELj6ELj64EfEEvi20rocsparse_direction_NS_24const_host_device_scalarIT2_EEPKiS6_PKS3_S8_S4_PS3_21rocsparse_index_base_b,comdat
.Lfunc_end24:
	.size	_ZN9rocsparseL19gebsrmvn_3xn_kernelILj128ELj6ELj64EfEEvi20rocsparse_direction_NS_24const_host_device_scalarIT2_EEPKiS6_PKS3_S8_S4_PS3_21rocsparse_index_base_b, .Lfunc_end24-_ZN9rocsparseL19gebsrmvn_3xn_kernelILj128ELj6ELj64EfEEvi20rocsparse_direction_NS_24const_host_device_scalarIT2_EEPKiS6_PKS3_S8_S4_PS3_21rocsparse_index_base_b
                                        ; -- End function
	.section	.AMDGPU.csdata,"",@progbits
; Kernel info:
; codeLenInByte = 1872
; NumSgprs: 26
; NumVgprs: 41
; NumAgprs: 0
; TotalNumVgprs: 41
; ScratchSize: 0
; MemoryBound: 0
; FloatMode: 240
; IeeeMode: 1
; LDSByteSize: 0 bytes/workgroup (compile time only)
; SGPRBlocks: 3
; VGPRBlocks: 5
; NumSGPRsForWavesPerEU: 26
; NumVGPRsForWavesPerEU: 41
; AccumOffset: 44
; Occupancy: 8
; WaveLimiterHint : 1
; COMPUTE_PGM_RSRC2:SCRATCH_EN: 0
; COMPUTE_PGM_RSRC2:USER_SGPR: 2
; COMPUTE_PGM_RSRC2:TRAP_HANDLER: 0
; COMPUTE_PGM_RSRC2:TGID_X_EN: 1
; COMPUTE_PGM_RSRC2:TGID_Y_EN: 0
; COMPUTE_PGM_RSRC2:TGID_Z_EN: 0
; COMPUTE_PGM_RSRC2:TIDIG_COMP_CNT: 0
; COMPUTE_PGM_RSRC3_GFX90A:ACCUM_OFFSET: 10
; COMPUTE_PGM_RSRC3_GFX90A:TG_SPLIT: 0
	.section	.text._ZN9rocsparseL19gebsrmvn_3xn_kernelILj128ELj7ELj4EfEEvi20rocsparse_direction_NS_24const_host_device_scalarIT2_EEPKiS6_PKS3_S8_S4_PS3_21rocsparse_index_base_b,"axG",@progbits,_ZN9rocsparseL19gebsrmvn_3xn_kernelILj128ELj7ELj4EfEEvi20rocsparse_direction_NS_24const_host_device_scalarIT2_EEPKiS6_PKS3_S8_S4_PS3_21rocsparse_index_base_b,comdat
	.globl	_ZN9rocsparseL19gebsrmvn_3xn_kernelILj128ELj7ELj4EfEEvi20rocsparse_direction_NS_24const_host_device_scalarIT2_EEPKiS6_PKS3_S8_S4_PS3_21rocsparse_index_base_b ; -- Begin function _ZN9rocsparseL19gebsrmvn_3xn_kernelILj128ELj7ELj4EfEEvi20rocsparse_direction_NS_24const_host_device_scalarIT2_EEPKiS6_PKS3_S8_S4_PS3_21rocsparse_index_base_b
	.p2align	8
	.type	_ZN9rocsparseL19gebsrmvn_3xn_kernelILj128ELj7ELj4EfEEvi20rocsparse_direction_NS_24const_host_device_scalarIT2_EEPKiS6_PKS3_S8_S4_PS3_21rocsparse_index_base_b,@function
_ZN9rocsparseL19gebsrmvn_3xn_kernelILj128ELj7ELj4EfEEvi20rocsparse_direction_NS_24const_host_device_scalarIT2_EEPKiS6_PKS3_S8_S4_PS3_21rocsparse_index_base_b: ; @_ZN9rocsparseL19gebsrmvn_3xn_kernelILj128ELj7ELj4EfEEvi20rocsparse_direction_NS_24const_host_device_scalarIT2_EEPKiS6_PKS3_S8_S4_PS3_21rocsparse_index_base_b
; %bb.0:
	s_load_dwordx2 s[16:17], s[0:1], 0x40
	s_load_dwordx2 s[14:15], s[0:1], 0x8
	;; [unrolled: 1-line block ×3, first 2 shown]
	s_waitcnt lgkmcnt(0)
	s_bitcmp1_b32 s17, 0
	s_cselect_b64 s[6:7], -1, 0
	s_xor_b64 s[4:5], s[6:7], -1
	s_and_b64 vcc, exec, s[6:7]
	s_cbranch_vccnz .LBB25_2
; %bb.1:
	s_load_dword s14, s[14:15], 0x0
.LBB25_2:
	s_andn2_b64 vcc, exec, s[4:5]
	s_cbranch_vccnz .LBB25_4
; %bb.3:
	s_load_dword s12, s[12:13], 0x0
.LBB25_4:
	s_waitcnt lgkmcnt(0)
	v_cmp_eq_f32_e64 s[4:5], s14, 0
	v_cmp_eq_f32_e64 s[6:7], s12, 1.0
	s_and_b64 s[4:5], s[4:5], s[6:7]
	s_and_b64 vcc, exec, s[4:5]
	s_cbranch_vccnz .LBB25_22
; %bb.5:
	s_load_dwordx2 s[18:19], s[0:1], 0x0
	v_lshrrev_b32_e32 v1, 2, v0
	v_lshl_or_b32 v2, s2, 5, v1
	s_waitcnt lgkmcnt(0)
	v_cmp_gt_i32_e32 vcc, s18, v2
	s_and_saveexec_b64 s[2:3], vcc
	s_cbranch_execz .LBB25_22
; %bb.6:
	s_load_dwordx8 s[4:11], s[0:1], 0x10
	v_ashrrev_i32_e32 v3, 31, v2
	s_cmp_lg_u32 s19, 0
	s_waitcnt lgkmcnt(0)
	v_lshl_add_u64 v[4:5], v[2:3], 2, s[4:5]
	global_load_dwordx2 v[4:5], v[4:5], off
	v_and_b32_e32 v3, 3, v0
	s_waitcnt vmcnt(0)
	v_subrev_u32_e32 v0, s16, v4
	v_subrev_u32_e32 v12, s16, v5
	v_add_u32_e32 v0, v0, v3
	v_cmp_lt_i32_e64 s[2:3], v0, v12
	s_cbranch_scc0 .LBB25_12
; %bb.7:
	v_mov_b32_e32 v5, 0
	v_mov_b32_e32 v4, v5
	;; [unrolled: 1-line block ×3, first 2 shown]
	s_and_saveexec_b64 s[4:5], s[2:3]
	s_cbranch_execz .LBB25_11
; %bb.8:
	v_mad_u64_u32 v[6:7], s[18:19], v0, 21, 20
	v_mov_b32_e32 v9, 0
	s_mov_b64 s[18:19], 0
	v_mov_b32_e32 v10, v0
	v_mov_b32_e32 v13, 0
	;; [unrolled: 1-line block ×4, first 2 shown]
.LBB25_9:                               ; =>This Inner Loop Header: Depth=1
	v_ashrrev_i32_e32 v11, 31, v10
	v_lshl_add_u64 v[14:15], v[10:11], 2, s[6:7]
	global_load_dword v1, v[14:15], off
	v_subrev_u32_e32 v8, 20, v6
	v_lshl_add_u64 v[16:17], v[8:9], 2, s[8:9]
	v_subrev_u32_e32 v8, 19, v6
	v_lshl_add_u64 v[20:21], v[8:9], 2, s[8:9]
	;; [unrolled: 2-line block ×3, first 2 shown]
	v_subrev_u32_e32 v8, 17, v6
	v_mov_b32_e32 v7, v9
	global_load_dword v16, v[16:17], off
	v_lshl_add_u64 v[18:19], v[6:7], 2, s[8:9]
	global_load_dword v17, v[20:21], off
	v_lshl_add_u64 v[20:21], v[8:9], 2, s[8:9]
	global_load_dword v7, v[22:23], off
	global_load_dword v24, v[20:21], off
	v_mov_b32_e32 v15, v9
	v_add_u32_e32 v10, 4, v10
	v_cmp_ge_i32_e32 vcc, v10, v12
	s_or_b64 s[18:19], vcc, s[18:19]
	s_waitcnt vmcnt(4)
	v_subrev_u32_e32 v1, s16, v1
	v_mul_lo_u32 v14, v1, 7
	v_add_u32_e32 v8, 1, v14
	v_lshl_add_u64 v[22:23], v[8:9], 2, s[10:11]
	v_add_u32_e32 v8, -16, v6
	v_lshl_add_u64 v[26:27], v[8:9], 2, s[8:9]
	v_add_u32_e32 v8, -15, v6
	;; [unrolled: 2-line block ×3, first 2 shown]
	v_lshl_add_u64 v[20:21], v[14:15], 2, s[10:11]
	global_load_dword v25, v[26:27], off
	v_lshl_add_u64 v[26:27], v[8:9], 2, s[8:9]
	v_add_u32_e32 v8, 2, v14
	global_load_dword v20, v[20:21], off
	s_nop 0
	global_load_dword v22, v[22:23], off
	s_nop 0
	global_load_dword v1, v[28:29], off
	global_load_dword v30, v[26:27], off
	v_lshl_add_u64 v[26:27], v[8:9], 2, s[10:11]
	v_add_u32_e32 v8, -13, v6
	v_lshl_add_u64 v[28:29], v[8:9], 2, s[8:9]
	v_add_u32_e32 v8, -12, v6
	v_lshl_add_u64 v[32:33], v[8:9], 2, s[8:9]
	v_add_u32_e32 v8, -11, v6
	global_load_dword v31, v[28:29], off
	v_lshl_add_u64 v[28:29], v[8:9], 2, s[8:9]
	v_add_u32_e32 v8, 3, v14
	global_load_dword v26, v[26:27], off
	s_nop 0
	global_load_dword v11, v[32:33], off
	global_load_dword v34, v[28:29], off
	v_lshl_add_u64 v[28:29], v[8:9], 2, s[10:11]
	v_add_u32_e32 v8, -10, v6
	v_lshl_add_u64 v[32:33], v[8:9], 2, s[8:9]
	v_add_u32_e32 v8, -9, v6
	v_lshl_add_u64 v[36:37], v[8:9], 2, s[8:9]
	v_add_u32_e32 v8, -8, v6
	global_load_dword v35, v[32:33], off
	v_lshl_add_u64 v[32:33], v[8:9], 2, s[8:9]
	v_add_u32_e32 v8, 4, v14
	;; [unrolled: 13-line block ×3, first 2 shown]
	global_load_dword v32, v[32:33], off
	s_nop 0
	global_load_dword v23, v[40:41], off
	global_load_dword v42, v[36:37], off
	v_lshl_add_u64 v[36:37], v[8:9], 2, s[10:11]
	v_add_u32_e32 v8, -4, v6
	v_lshl_add_u64 v[40:41], v[8:9], 2, s[8:9]
	v_add_u32_e32 v8, -3, v6
	;; [unrolled: 2-line block ×3, first 2 shown]
	global_load_dword v36, v[36:37], off
	s_waitcnt vmcnt(16)
	v_fmac_f32_e32 v13, v7, v20
	global_load_dword v43, v[40:41], off
	v_lshl_add_u64 v[40:41], v[8:9], 2, s[8:9]
	v_add_u32_e32 v8, 6, v14
	global_load_dword v27, v[44:45], off
	global_load_dword v14, v[40:41], off
	v_lshl_add_u64 v[40:41], v[8:9], 2, s[10:11]
	v_add_u32_e32 v8, -1, v6
	v_lshl_add_u64 v[44:45], v[8:9], 2, s[8:9]
	global_load_dword v40, v[40:41], off
	s_nop 0
	global_load_dword v15, v[44:45], off
	global_load_dword v8, v[18:19], off
	s_waitcnt vmcnt(20)
	v_fmac_f32_e32 v13, v1, v22
	v_add_u32_e32 v6, 0x54, v6
	s_waitcnt vmcnt(16)
	v_fmac_f32_e32 v13, v11, v26
	s_waitcnt vmcnt(12)
	v_pk_fma_f32 v[4:5], v[16:17], v[20:21], v[4:5] op_sel_hi:[1,0,1]
	v_fmac_f32_e32 v13, v21, v28
	s_waitcnt vmcnt(8)
	v_pk_fma_f32 v[4:5], v[24:25], v[22:23], v[4:5] op_sel_hi:[1,0,1]
	;; [unrolled: 3-line block ×3, first 2 shown]
	s_nop 0
	v_pk_fma_f32 v[4:5], v[34:35], v[28:29], v[4:5] op_sel_hi:[1,0,1]
	v_fmac_f32_e32 v13, v27, v36
	v_pk_fma_f32 v[4:5], v[38:39], v[32:33], v[4:5] op_sel_hi:[1,0,1]
	s_waitcnt vmcnt(0)
	v_fmac_f32_e32 v13, v8, v40
	v_pk_fma_f32 v[4:5], v[42:43], v[36:37], v[4:5] op_sel_hi:[1,0,1]
	s_nop 0
	v_pk_fma_f32 v[4:5], v[14:15], v[40:41], v[4:5] op_sel_hi:[1,0,1]
	s_andn2_b64 exec, exec, s[18:19]
	s_cbranch_execnz .LBB25_9
; %bb.10:
	s_or_b64 exec, exec, s[18:19]
.LBB25_11:
	s_or_b64 exec, exec, s[4:5]
	s_cbranch_execz .LBB25_13
	s_branch .LBB25_18
.LBB25_12:
                                        ; implicit-def: $vgpr5
                                        ; implicit-def: $vgpr13
.LBB25_13:
	v_mov_b32_e32 v5, 0
	v_mov_b32_e32 v4, v5
	;; [unrolled: 1-line block ×3, first 2 shown]
	s_and_saveexec_b64 s[4:5], s[2:3]
	s_cbranch_execz .LBB25_17
; %bb.14:
	v_mad_u64_u32 v[6:7], s[2:3], v0, 21, 20
	v_mov_b32_e32 v9, 0
	s_mov_b64 s[2:3], 0
	v_mov_b32_e32 v13, 0
	v_mov_b32_e32 v4, v9
	;; [unrolled: 1-line block ×3, first 2 shown]
.LBB25_15:                              ; =>This Inner Loop Header: Depth=1
	v_ashrrev_i32_e32 v1, 31, v0
	v_lshl_add_u64 v[10:11], v[0:1], 2, s[6:7]
	global_load_dword v1, v[10:11], off
	v_subrev_u32_e32 v8, 20, v6
	v_add_u32_e32 v10, -13, v6
	v_add_u32_e32 v14, -6, v6
	v_mov_b32_e32 v11, v9
	v_mov_b32_e32 v15, v9
	v_lshl_add_u64 v[18:19], v[8:9], 2, s[8:9]
	v_subrev_u32_e32 v8, 19, v6
	v_mov_b32_e32 v7, v9
	v_lshl_add_u64 v[10:11], v[10:11], 2, s[8:9]
	v_lshl_add_u64 v[14:15], v[14:15], 2, s[8:9]
	;; [unrolled: 1-line block ×4, first 2 shown]
	global_load_dword v18, v[18:19], off
	s_nop 0
	global_load_dword v19, v[10:11], off
	global_load_dword v7, v[14:15], off
	;; [unrolled: 1-line block ×3, first 2 shown]
	v_mov_b32_e32 v17, v9
	v_add_u32_e32 v0, 4, v0
	v_cmp_ge_i32_e32 vcc, v0, v12
	s_or_b64 s[2:3], vcc, s[2:3]
	s_waitcnt vmcnt(4)
	v_subrev_u32_e32 v1, s16, v1
	v_mul_lo_u32 v16, v1, 7
	v_add_u32_e32 v8, 1, v16
	v_lshl_add_u64 v[14:15], v[8:9], 2, s[10:11]
	v_add_u32_e32 v8, -12, v6
	v_lshl_add_u64 v[22:23], v[8:9], 2, s[8:9]
	v_add_u32_e32 v8, -5, v6
	v_lshl_add_u64 v[26:27], v[8:9], 2, s[8:9]
	v_subrev_u32_e32 v8, 18, v6
	v_lshl_add_u64 v[10:11], v[16:17], 2, s[10:11]
	global_load_dword v25, v[22:23], off
	v_lshl_add_u64 v[22:23], v[8:9], 2, s[8:9]
	v_add_u32_e32 v8, 2, v16
	global_load_dword v10, v[10:11], off
	s_nop 0
	global_load_dword v14, v[14:15], off
	s_nop 0
	global_load_dword v1, v[26:27], off
	global_load_dword v28, v[22:23], off
	v_lshl_add_u64 v[22:23], v[8:9], 2, s[10:11]
	v_add_u32_e32 v8, -11, v6
	v_lshl_add_u64 v[26:27], v[8:9], 2, s[8:9]
	v_add_u32_e32 v8, -4, v6
	v_lshl_add_u64 v[30:31], v[8:9], 2, s[8:9]
	v_subrev_u32_e32 v8, 17, v6
	global_load_dword v29, v[26:27], off
	v_lshl_add_u64 v[26:27], v[8:9], 2, s[8:9]
	v_add_u32_e32 v8, 3, v16
	global_load_dword v22, v[22:23], off
	s_nop 0
	global_load_dword v11, v[30:31], off
	global_load_dword v32, v[26:27], off
	v_lshl_add_u64 v[26:27], v[8:9], 2, s[10:11]
	v_add_u32_e32 v8, -10, v6
	v_lshl_add_u64 v[30:31], v[8:9], 2, s[8:9]
	v_add_u32_e32 v8, -3, v6
	v_lshl_add_u64 v[34:35], v[8:9], 2, s[8:9]
	v_add_u32_e32 v8, -16, v6
	global_load_dword v33, v[30:31], off
	v_lshl_add_u64 v[30:31], v[8:9], 2, s[8:9]
	v_add_u32_e32 v8, 4, v16
	global_load_dword v26, v[26:27], off
	s_nop 0
	global_load_dword v15, v[34:35], off
	global_load_dword v36, v[30:31], off
	v_lshl_add_u64 v[30:31], v[8:9], 2, s[10:11]
	v_add_u32_e32 v8, -9, v6
	v_lshl_add_u64 v[34:35], v[8:9], 2, s[8:9]
	v_add_u32_e32 v8, -2, v6
	v_lshl_add_u64 v[38:39], v[8:9], 2, s[8:9]
	v_add_u32_e32 v8, -15, v6
	;; [unrolled: 13-line block ×3, first 2 shown]
	global_load_dword v41, v[38:39], off
	v_lshl_add_u64 v[38:39], v[8:9], 2, s[8:9]
	v_add_u32_e32 v8, 6, v16
	global_load_dword v34, v[34:35], off
	s_nop 0
	global_load_dword v27, v[42:43], off
	global_load_dword v16, v[38:39], off
	v_lshl_add_u64 v[38:39], v[8:9], 2, s[10:11]
	v_add_u32_e32 v8, -7, v6
	v_lshl_add_u64 v[42:43], v[8:9], 2, s[8:9]
	global_load_dword v38, v[38:39], off
	s_nop 0
	global_load_dword v17, v[42:43], off
	global_load_dword v8, v[20:21], off
	v_add_u32_e32 v6, 0x54, v6
	s_waitcnt vmcnt(22)
	v_fmac_f32_e32 v13, v7, v10
	s_waitcnt vmcnt(20)
	v_fmac_f32_e32 v13, v1, v14
	s_waitcnt vmcnt(16)
	v_pk_fma_f32 v[4:5], v[18:19], v[10:11], v[4:5] op_sel_hi:[1,0,1]
	v_fmac_f32_e32 v13, v11, v22
	s_waitcnt vmcnt(12)
	v_pk_fma_f32 v[4:5], v[24:25], v[14:15], v[4:5] op_sel_hi:[1,0,1]
	;; [unrolled: 3-line block ×4, first 2 shown]
	s_nop 0
	v_pk_fma_f32 v[4:5], v[36:37], v[30:31], v[4:5] op_sel_hi:[1,0,1]
	v_fmac_f32_e32 v13, v27, v34
	v_pk_fma_f32 v[4:5], v[40:41], v[34:35], v[4:5] op_sel_hi:[1,0,1]
	s_waitcnt vmcnt(0)
	v_fmac_f32_e32 v13, v8, v38
	v_pk_fma_f32 v[4:5], v[16:17], v[38:39], v[4:5] op_sel_hi:[1,0,1]
	s_andn2_b64 exec, exec, s[2:3]
	s_cbranch_execnz .LBB25_15
; %bb.16:
	s_or_b64 exec, exec, s[2:3]
.LBB25_17:
	s_or_b64 exec, exec, s[4:5]
.LBB25_18:
	v_mov_b32_dpp v0, v4 row_shr:1 row_mask:0xf bank_mask:0xf
	v_mov_b32_dpp v1, v5 row_shr:1 row_mask:0xf bank_mask:0xf
	;; [unrolled: 1-line block ×3, first 2 shown]
	v_pk_add_f32 v[0:1], v[4:5], v[0:1]
	v_add_f32_e32 v6, v13, v6
	v_cmp_eq_u32_e32 vcc, 3, v3
	v_mov_b32_dpp v4, v0 row_shr:2 row_mask:0xf bank_mask:0xf
	v_mov_b32_dpp v5, v1 row_shr:2 row_mask:0xf bank_mask:0xf
	;; [unrolled: 1-line block ×3, first 2 shown]
	s_and_b64 exec, exec, vcc
	s_cbranch_execz .LBB25_22
; %bb.19:
	s_load_dwordx2 s[0:1], s[0:1], 0x38
	v_pk_add_f32 v[4:5], v[0:1], v[4:5]
	v_add_f32_e32 v0, v6, v7
	v_cmp_eq_f32_e64 s[2:3], s12, 0
	v_lshl_add_u32 v6, v2, 1, v2
	s_and_b64 vcc, exec, s[2:3]
	v_mul_f32_e32 v2, s14, v0
	v_ashrrev_i32_e32 v7, 31, v6
	s_cbranch_vccz .LBB25_23
; %bb.20:
	s_waitcnt lgkmcnt(0)
	v_lshl_add_u64 v[8:9], v[6:7], 2, s[0:1]
	v_pk_mul_f32 v[0:1], s[14:15], v[4:5] op_sel_hi:[0,1]
	global_store_dwordx3 v[8:9], v[0:2], off
	s_cbranch_execnz .LBB25_22
.LBB25_21:
	s_waitcnt lgkmcnt(0)
	v_lshl_add_u64 v[10:11], v[6:7], 2, s[0:1]
	global_load_dwordx3 v[6:8], v[10:11], off
	v_pk_mul_f32 v[0:1], s[14:15], v[4:5] op_sel_hi:[0,1]
	s_waitcnt vmcnt(0)
	v_pk_fma_f32 v[0:1], s[12:13], v[6:7], v[0:1] op_sel_hi:[0,1,1]
	v_fmac_f32_e32 v2, s12, v8
	global_store_dwordx3 v[10:11], v[0:2], off
.LBB25_22:
	s_endpgm
.LBB25_23:
	s_branch .LBB25_21
	.section	.rodata,"a",@progbits
	.p2align	6, 0x0
	.amdhsa_kernel _ZN9rocsparseL19gebsrmvn_3xn_kernelILj128ELj7ELj4EfEEvi20rocsparse_direction_NS_24const_host_device_scalarIT2_EEPKiS6_PKS3_S8_S4_PS3_21rocsparse_index_base_b
		.amdhsa_group_segment_fixed_size 0
		.amdhsa_private_segment_fixed_size 0
		.amdhsa_kernarg_size 72
		.amdhsa_user_sgpr_count 2
		.amdhsa_user_sgpr_dispatch_ptr 0
		.amdhsa_user_sgpr_queue_ptr 0
		.amdhsa_user_sgpr_kernarg_segment_ptr 1
		.amdhsa_user_sgpr_dispatch_id 0
		.amdhsa_user_sgpr_kernarg_preload_length 0
		.amdhsa_user_sgpr_kernarg_preload_offset 0
		.amdhsa_user_sgpr_private_segment_size 0
		.amdhsa_uses_dynamic_stack 0
		.amdhsa_enable_private_segment 0
		.amdhsa_system_sgpr_workgroup_id_x 1
		.amdhsa_system_sgpr_workgroup_id_y 0
		.amdhsa_system_sgpr_workgroup_id_z 0
		.amdhsa_system_sgpr_workgroup_info 0
		.amdhsa_system_vgpr_workitem_id 0
		.amdhsa_next_free_vgpr 46
		.amdhsa_next_free_sgpr 20
		.amdhsa_accum_offset 48
		.amdhsa_reserve_vcc 1
		.amdhsa_float_round_mode_32 0
		.amdhsa_float_round_mode_16_64 0
		.amdhsa_float_denorm_mode_32 3
		.amdhsa_float_denorm_mode_16_64 3
		.amdhsa_dx10_clamp 1
		.amdhsa_ieee_mode 1
		.amdhsa_fp16_overflow 0
		.amdhsa_tg_split 0
		.amdhsa_exception_fp_ieee_invalid_op 0
		.amdhsa_exception_fp_denorm_src 0
		.amdhsa_exception_fp_ieee_div_zero 0
		.amdhsa_exception_fp_ieee_overflow 0
		.amdhsa_exception_fp_ieee_underflow 0
		.amdhsa_exception_fp_ieee_inexact 0
		.amdhsa_exception_int_div_zero 0
	.end_amdhsa_kernel
	.section	.text._ZN9rocsparseL19gebsrmvn_3xn_kernelILj128ELj7ELj4EfEEvi20rocsparse_direction_NS_24const_host_device_scalarIT2_EEPKiS6_PKS3_S8_S4_PS3_21rocsparse_index_base_b,"axG",@progbits,_ZN9rocsparseL19gebsrmvn_3xn_kernelILj128ELj7ELj4EfEEvi20rocsparse_direction_NS_24const_host_device_scalarIT2_EEPKiS6_PKS3_S8_S4_PS3_21rocsparse_index_base_b,comdat
.Lfunc_end25:
	.size	_ZN9rocsparseL19gebsrmvn_3xn_kernelILj128ELj7ELj4EfEEvi20rocsparse_direction_NS_24const_host_device_scalarIT2_EEPKiS6_PKS3_S8_S4_PS3_21rocsparse_index_base_b, .Lfunc_end25-_ZN9rocsparseL19gebsrmvn_3xn_kernelILj128ELj7ELj4EfEEvi20rocsparse_direction_NS_24const_host_device_scalarIT2_EEPKiS6_PKS3_S8_S4_PS3_21rocsparse_index_base_b
                                        ; -- End function
	.section	.AMDGPU.csdata,"",@progbits
; Kernel info:
; codeLenInByte = 2096
; NumSgprs: 26
; NumVgprs: 46
; NumAgprs: 0
; TotalNumVgprs: 46
; ScratchSize: 0
; MemoryBound: 0
; FloatMode: 240
; IeeeMode: 1
; LDSByteSize: 0 bytes/workgroup (compile time only)
; SGPRBlocks: 3
; VGPRBlocks: 5
; NumSGPRsForWavesPerEU: 26
; NumVGPRsForWavesPerEU: 46
; AccumOffset: 48
; Occupancy: 8
; WaveLimiterHint : 1
; COMPUTE_PGM_RSRC2:SCRATCH_EN: 0
; COMPUTE_PGM_RSRC2:USER_SGPR: 2
; COMPUTE_PGM_RSRC2:TRAP_HANDLER: 0
; COMPUTE_PGM_RSRC2:TGID_X_EN: 1
; COMPUTE_PGM_RSRC2:TGID_Y_EN: 0
; COMPUTE_PGM_RSRC2:TGID_Z_EN: 0
; COMPUTE_PGM_RSRC2:TIDIG_COMP_CNT: 0
; COMPUTE_PGM_RSRC3_GFX90A:ACCUM_OFFSET: 11
; COMPUTE_PGM_RSRC3_GFX90A:TG_SPLIT: 0
	.section	.text._ZN9rocsparseL19gebsrmvn_3xn_kernelILj128ELj7ELj8EfEEvi20rocsparse_direction_NS_24const_host_device_scalarIT2_EEPKiS6_PKS3_S8_S4_PS3_21rocsparse_index_base_b,"axG",@progbits,_ZN9rocsparseL19gebsrmvn_3xn_kernelILj128ELj7ELj8EfEEvi20rocsparse_direction_NS_24const_host_device_scalarIT2_EEPKiS6_PKS3_S8_S4_PS3_21rocsparse_index_base_b,comdat
	.globl	_ZN9rocsparseL19gebsrmvn_3xn_kernelILj128ELj7ELj8EfEEvi20rocsparse_direction_NS_24const_host_device_scalarIT2_EEPKiS6_PKS3_S8_S4_PS3_21rocsparse_index_base_b ; -- Begin function _ZN9rocsparseL19gebsrmvn_3xn_kernelILj128ELj7ELj8EfEEvi20rocsparse_direction_NS_24const_host_device_scalarIT2_EEPKiS6_PKS3_S8_S4_PS3_21rocsparse_index_base_b
	.p2align	8
	.type	_ZN9rocsparseL19gebsrmvn_3xn_kernelILj128ELj7ELj8EfEEvi20rocsparse_direction_NS_24const_host_device_scalarIT2_EEPKiS6_PKS3_S8_S4_PS3_21rocsparse_index_base_b,@function
_ZN9rocsparseL19gebsrmvn_3xn_kernelILj128ELj7ELj8EfEEvi20rocsparse_direction_NS_24const_host_device_scalarIT2_EEPKiS6_PKS3_S8_S4_PS3_21rocsparse_index_base_b: ; @_ZN9rocsparseL19gebsrmvn_3xn_kernelILj128ELj7ELj8EfEEvi20rocsparse_direction_NS_24const_host_device_scalarIT2_EEPKiS6_PKS3_S8_S4_PS3_21rocsparse_index_base_b
; %bb.0:
	s_load_dwordx2 s[16:17], s[0:1], 0x40
	s_load_dwordx2 s[14:15], s[0:1], 0x8
	;; [unrolled: 1-line block ×3, first 2 shown]
	s_waitcnt lgkmcnt(0)
	s_bitcmp1_b32 s17, 0
	s_cselect_b64 s[6:7], -1, 0
	s_xor_b64 s[4:5], s[6:7], -1
	s_and_b64 vcc, exec, s[6:7]
	s_cbranch_vccnz .LBB26_2
; %bb.1:
	s_load_dword s14, s[14:15], 0x0
.LBB26_2:
	s_andn2_b64 vcc, exec, s[4:5]
	s_cbranch_vccnz .LBB26_4
; %bb.3:
	s_load_dword s12, s[12:13], 0x0
.LBB26_4:
	s_waitcnt lgkmcnt(0)
	v_cmp_eq_f32_e64 s[4:5], s14, 0
	v_cmp_eq_f32_e64 s[6:7], s12, 1.0
	s_and_b64 s[4:5], s[4:5], s[6:7]
	s_and_b64 vcc, exec, s[4:5]
	s_cbranch_vccnz .LBB26_22
; %bb.5:
	s_load_dwordx2 s[18:19], s[0:1], 0x0
	v_lshrrev_b32_e32 v1, 3, v0
	v_lshl_or_b32 v2, s2, 4, v1
	s_waitcnt lgkmcnt(0)
	v_cmp_gt_i32_e32 vcc, s18, v2
	s_and_saveexec_b64 s[2:3], vcc
	s_cbranch_execz .LBB26_22
; %bb.6:
	s_load_dwordx8 s[4:11], s[0:1], 0x10
	v_ashrrev_i32_e32 v3, 31, v2
	s_cmp_lg_u32 s19, 0
	s_waitcnt lgkmcnt(0)
	v_lshl_add_u64 v[4:5], v[2:3], 2, s[4:5]
	global_load_dwordx2 v[4:5], v[4:5], off
	v_and_b32_e32 v3, 7, v0
	s_waitcnt vmcnt(0)
	v_subrev_u32_e32 v0, s16, v4
	v_subrev_u32_e32 v13, s16, v5
	v_add_u32_e32 v0, v0, v3
	v_cmp_lt_i32_e64 s[2:3], v0, v13
	s_cbranch_scc0 .LBB26_12
; %bb.7:
	v_mov_b32_e32 v5, 0
	v_mov_b32_e32 v4, v5
	;; [unrolled: 1-line block ×3, first 2 shown]
	s_and_saveexec_b64 s[4:5], s[2:3]
	s_cbranch_execz .LBB26_11
; %bb.8:
	v_mad_u64_u32 v[6:7], s[18:19], v0, 21, 20
	v_mov_b32_e32 v9, 0
	s_mov_b64 s[18:19], 0
	v_mov_b32_e32 v10, v0
	v_mov_b32_e32 v12, 0
	;; [unrolled: 1-line block ×4, first 2 shown]
.LBB26_9:                               ; =>This Inner Loop Header: Depth=1
	v_ashrrev_i32_e32 v11, 31, v10
	v_lshl_add_u64 v[14:15], v[10:11], 2, s[6:7]
	global_load_dword v1, v[14:15], off
	v_subrev_u32_e32 v8, 20, v6
	v_lshl_add_u64 v[16:17], v[8:9], 2, s[8:9]
	v_subrev_u32_e32 v8, 19, v6
	v_lshl_add_u64 v[20:21], v[8:9], 2, s[8:9]
	;; [unrolled: 2-line block ×3, first 2 shown]
	v_subrev_u32_e32 v8, 17, v6
	v_mov_b32_e32 v7, v9
	global_load_dword v16, v[16:17], off
	v_lshl_add_u64 v[18:19], v[6:7], 2, s[8:9]
	global_load_dword v17, v[20:21], off
	v_lshl_add_u64 v[20:21], v[8:9], 2, s[8:9]
	global_load_dword v7, v[22:23], off
	global_load_dword v24, v[20:21], off
	v_mov_b32_e32 v15, v9
	v_add_u32_e32 v10, 8, v10
	v_cmp_ge_i32_e32 vcc, v10, v13
	s_or_b64 s[18:19], vcc, s[18:19]
	s_waitcnt vmcnt(4)
	v_subrev_u32_e32 v1, s16, v1
	v_mul_lo_u32 v14, v1, 7
	v_add_u32_e32 v8, 1, v14
	v_lshl_add_u64 v[22:23], v[8:9], 2, s[10:11]
	v_add_u32_e32 v8, -16, v6
	v_lshl_add_u64 v[26:27], v[8:9], 2, s[8:9]
	v_add_u32_e32 v8, -15, v6
	;; [unrolled: 2-line block ×3, first 2 shown]
	v_lshl_add_u64 v[20:21], v[14:15], 2, s[10:11]
	global_load_dword v25, v[26:27], off
	v_lshl_add_u64 v[26:27], v[8:9], 2, s[8:9]
	v_add_u32_e32 v8, 2, v14
	global_load_dword v20, v[20:21], off
	s_nop 0
	global_load_dword v22, v[22:23], off
	s_nop 0
	global_load_dword v1, v[28:29], off
	global_load_dword v30, v[26:27], off
	v_lshl_add_u64 v[26:27], v[8:9], 2, s[10:11]
	v_add_u32_e32 v8, -13, v6
	v_lshl_add_u64 v[28:29], v[8:9], 2, s[8:9]
	v_add_u32_e32 v8, -12, v6
	v_lshl_add_u64 v[32:33], v[8:9], 2, s[8:9]
	v_add_u32_e32 v8, -11, v6
	global_load_dword v31, v[28:29], off
	v_lshl_add_u64 v[28:29], v[8:9], 2, s[8:9]
	v_add_u32_e32 v8, 3, v14
	global_load_dword v26, v[26:27], off
	s_nop 0
	global_load_dword v11, v[32:33], off
	global_load_dword v34, v[28:29], off
	v_lshl_add_u64 v[28:29], v[8:9], 2, s[10:11]
	v_add_u32_e32 v8, -10, v6
	v_lshl_add_u64 v[32:33], v[8:9], 2, s[8:9]
	v_add_u32_e32 v8, -9, v6
	v_lshl_add_u64 v[36:37], v[8:9], 2, s[8:9]
	v_add_u32_e32 v8, -8, v6
	global_load_dword v35, v[32:33], off
	v_lshl_add_u64 v[32:33], v[8:9], 2, s[8:9]
	v_add_u32_e32 v8, 4, v14
	;; [unrolled: 13-line block ×3, first 2 shown]
	global_load_dword v32, v[32:33], off
	s_nop 0
	global_load_dword v23, v[40:41], off
	global_load_dword v42, v[36:37], off
	v_lshl_add_u64 v[36:37], v[8:9], 2, s[10:11]
	v_add_u32_e32 v8, -4, v6
	v_lshl_add_u64 v[40:41], v[8:9], 2, s[8:9]
	v_add_u32_e32 v8, -3, v6
	;; [unrolled: 2-line block ×3, first 2 shown]
	global_load_dword v36, v[36:37], off
	s_waitcnt vmcnt(16)
	v_fmac_f32_e32 v12, v7, v20
	global_load_dword v43, v[40:41], off
	v_lshl_add_u64 v[40:41], v[8:9], 2, s[8:9]
	v_add_u32_e32 v8, 6, v14
	global_load_dword v27, v[44:45], off
	global_load_dword v14, v[40:41], off
	v_lshl_add_u64 v[40:41], v[8:9], 2, s[10:11]
	v_add_u32_e32 v8, -1, v6
	v_lshl_add_u64 v[44:45], v[8:9], 2, s[8:9]
	global_load_dword v40, v[40:41], off
	s_nop 0
	global_load_dword v15, v[44:45], off
	global_load_dword v8, v[18:19], off
	s_waitcnt vmcnt(20)
	v_fmac_f32_e32 v12, v1, v22
	v_add_u32_e32 v6, 0xa8, v6
	s_waitcnt vmcnt(16)
	v_fmac_f32_e32 v12, v11, v26
	s_waitcnt vmcnt(12)
	v_pk_fma_f32 v[4:5], v[16:17], v[20:21], v[4:5] op_sel_hi:[1,0,1]
	v_fmac_f32_e32 v12, v21, v28
	s_waitcnt vmcnt(8)
	v_pk_fma_f32 v[4:5], v[24:25], v[22:23], v[4:5] op_sel_hi:[1,0,1]
	;; [unrolled: 3-line block ×3, first 2 shown]
	s_nop 0
	v_pk_fma_f32 v[4:5], v[34:35], v[28:29], v[4:5] op_sel_hi:[1,0,1]
	v_fmac_f32_e32 v12, v27, v36
	v_pk_fma_f32 v[4:5], v[38:39], v[32:33], v[4:5] op_sel_hi:[1,0,1]
	s_waitcnt vmcnt(0)
	v_fmac_f32_e32 v12, v8, v40
	v_pk_fma_f32 v[4:5], v[42:43], v[36:37], v[4:5] op_sel_hi:[1,0,1]
	s_nop 0
	v_pk_fma_f32 v[4:5], v[14:15], v[40:41], v[4:5] op_sel_hi:[1,0,1]
	s_andn2_b64 exec, exec, s[18:19]
	s_cbranch_execnz .LBB26_9
; %bb.10:
	s_or_b64 exec, exec, s[18:19]
.LBB26_11:
	s_or_b64 exec, exec, s[4:5]
	s_cbranch_execz .LBB26_13
	s_branch .LBB26_18
.LBB26_12:
                                        ; implicit-def: $vgpr5
                                        ; implicit-def: $vgpr12
.LBB26_13:
	v_mov_b32_e32 v5, 0
	v_mov_b32_e32 v4, v5
	;; [unrolled: 1-line block ×3, first 2 shown]
	s_and_saveexec_b64 s[4:5], s[2:3]
	s_cbranch_execz .LBB26_17
; %bb.14:
	v_mad_u64_u32 v[6:7], s[2:3], v0, 21, 20
	v_mov_b32_e32 v9, 0
	s_mov_b64 s[2:3], 0
	v_mov_b32_e32 v12, 0
	v_mov_b32_e32 v4, v9
	;; [unrolled: 1-line block ×3, first 2 shown]
.LBB26_15:                              ; =>This Inner Loop Header: Depth=1
	v_ashrrev_i32_e32 v1, 31, v0
	v_lshl_add_u64 v[10:11], v[0:1], 2, s[6:7]
	global_load_dword v1, v[10:11], off
	v_subrev_u32_e32 v8, 20, v6
	v_add_u32_e32 v10, -13, v6
	v_add_u32_e32 v14, -6, v6
	v_mov_b32_e32 v11, v9
	v_mov_b32_e32 v15, v9
	v_lshl_add_u64 v[18:19], v[8:9], 2, s[8:9]
	v_subrev_u32_e32 v8, 19, v6
	v_mov_b32_e32 v7, v9
	v_lshl_add_u64 v[10:11], v[10:11], 2, s[8:9]
	v_lshl_add_u64 v[14:15], v[14:15], 2, s[8:9]
	;; [unrolled: 1-line block ×4, first 2 shown]
	global_load_dword v18, v[18:19], off
	s_nop 0
	global_load_dword v19, v[10:11], off
	global_load_dword v7, v[14:15], off
	;; [unrolled: 1-line block ×3, first 2 shown]
	v_mov_b32_e32 v17, v9
	v_add_u32_e32 v0, 8, v0
	v_cmp_ge_i32_e32 vcc, v0, v13
	s_or_b64 s[2:3], vcc, s[2:3]
	s_waitcnt vmcnt(4)
	v_subrev_u32_e32 v1, s16, v1
	v_mul_lo_u32 v16, v1, 7
	v_add_u32_e32 v8, 1, v16
	v_lshl_add_u64 v[14:15], v[8:9], 2, s[10:11]
	v_add_u32_e32 v8, -12, v6
	v_lshl_add_u64 v[22:23], v[8:9], 2, s[8:9]
	v_add_u32_e32 v8, -5, v6
	v_lshl_add_u64 v[26:27], v[8:9], 2, s[8:9]
	v_subrev_u32_e32 v8, 18, v6
	v_lshl_add_u64 v[10:11], v[16:17], 2, s[10:11]
	global_load_dword v25, v[22:23], off
	v_lshl_add_u64 v[22:23], v[8:9], 2, s[8:9]
	v_add_u32_e32 v8, 2, v16
	global_load_dword v10, v[10:11], off
	s_nop 0
	global_load_dword v14, v[14:15], off
	s_nop 0
	global_load_dword v1, v[26:27], off
	global_load_dword v28, v[22:23], off
	v_lshl_add_u64 v[22:23], v[8:9], 2, s[10:11]
	v_add_u32_e32 v8, -11, v6
	v_lshl_add_u64 v[26:27], v[8:9], 2, s[8:9]
	v_add_u32_e32 v8, -4, v6
	v_lshl_add_u64 v[30:31], v[8:9], 2, s[8:9]
	v_subrev_u32_e32 v8, 17, v6
	global_load_dword v29, v[26:27], off
	v_lshl_add_u64 v[26:27], v[8:9], 2, s[8:9]
	v_add_u32_e32 v8, 3, v16
	global_load_dword v22, v[22:23], off
	s_nop 0
	global_load_dword v11, v[30:31], off
	global_load_dword v32, v[26:27], off
	v_lshl_add_u64 v[26:27], v[8:9], 2, s[10:11]
	v_add_u32_e32 v8, -10, v6
	v_lshl_add_u64 v[30:31], v[8:9], 2, s[8:9]
	v_add_u32_e32 v8, -3, v6
	v_lshl_add_u64 v[34:35], v[8:9], 2, s[8:9]
	v_add_u32_e32 v8, -16, v6
	global_load_dword v33, v[30:31], off
	v_lshl_add_u64 v[30:31], v[8:9], 2, s[8:9]
	v_add_u32_e32 v8, 4, v16
	global_load_dword v26, v[26:27], off
	s_nop 0
	global_load_dword v15, v[34:35], off
	global_load_dword v36, v[30:31], off
	v_lshl_add_u64 v[30:31], v[8:9], 2, s[10:11]
	v_add_u32_e32 v8, -9, v6
	v_lshl_add_u64 v[34:35], v[8:9], 2, s[8:9]
	v_add_u32_e32 v8, -2, v6
	v_lshl_add_u64 v[38:39], v[8:9], 2, s[8:9]
	v_add_u32_e32 v8, -15, v6
	;; [unrolled: 13-line block ×3, first 2 shown]
	global_load_dword v41, v[38:39], off
	v_lshl_add_u64 v[38:39], v[8:9], 2, s[8:9]
	v_add_u32_e32 v8, 6, v16
	global_load_dword v34, v[34:35], off
	s_nop 0
	global_load_dword v27, v[42:43], off
	global_load_dword v16, v[38:39], off
	v_lshl_add_u64 v[38:39], v[8:9], 2, s[10:11]
	v_add_u32_e32 v8, -7, v6
	v_lshl_add_u64 v[42:43], v[8:9], 2, s[8:9]
	global_load_dword v38, v[38:39], off
	s_nop 0
	global_load_dword v17, v[42:43], off
	global_load_dword v8, v[20:21], off
	v_add_u32_e32 v6, 0xa8, v6
	s_waitcnt vmcnt(22)
	v_fmac_f32_e32 v12, v7, v10
	s_waitcnt vmcnt(20)
	v_fmac_f32_e32 v12, v1, v14
	s_waitcnt vmcnt(16)
	v_pk_fma_f32 v[4:5], v[18:19], v[10:11], v[4:5] op_sel_hi:[1,0,1]
	v_fmac_f32_e32 v12, v11, v22
	s_waitcnt vmcnt(12)
	v_pk_fma_f32 v[4:5], v[24:25], v[14:15], v[4:5] op_sel_hi:[1,0,1]
	v_fmac_f32_e32 v12, v15, v26
	s_waitcnt vmcnt(8)
	v_pk_fma_f32 v[4:5], v[28:29], v[22:23], v[4:5] op_sel_hi:[1,0,1]
	v_fmac_f32_e32 v12, v23, v30
	s_waitcnt vmcnt(4)
	v_pk_fma_f32 v[4:5], v[32:33], v[26:27], v[4:5] op_sel_hi:[1,0,1]
	s_nop 0
	v_pk_fma_f32 v[4:5], v[36:37], v[30:31], v[4:5] op_sel_hi:[1,0,1]
	v_fmac_f32_e32 v12, v27, v34
	v_pk_fma_f32 v[4:5], v[40:41], v[34:35], v[4:5] op_sel_hi:[1,0,1]
	s_waitcnt vmcnt(0)
	v_fmac_f32_e32 v12, v8, v38
	v_pk_fma_f32 v[4:5], v[16:17], v[38:39], v[4:5] op_sel_hi:[1,0,1]
	s_andn2_b64 exec, exec, s[2:3]
	s_cbranch_execnz .LBB26_15
; %bb.16:
	s_or_b64 exec, exec, s[2:3]
.LBB26_17:
	s_or_b64 exec, exec, s[4:5]
.LBB26_18:
	v_mov_b32_dpp v0, v4 row_shr:1 row_mask:0xf bank_mask:0xf
	v_mov_b32_dpp v1, v5 row_shr:1 row_mask:0xf bank_mask:0xf
	;; [unrolled: 1-line block ×3, first 2 shown]
	v_pk_add_f32 v[0:1], v[4:5], v[0:1]
	v_add_f32_e32 v6, v12, v6
	v_cmp_eq_u32_e32 vcc, 7, v3
	v_mov_b32_dpp v4, v0 row_shr:2 row_mask:0xf bank_mask:0xf
	v_mov_b32_dpp v5, v1 row_shr:2 row_mask:0xf bank_mask:0xf
	;; [unrolled: 1-line block ×3, first 2 shown]
	v_pk_add_f32 v[0:1], v[0:1], v[4:5]
	v_add_f32_e32 v6, v6, v7
	s_nop 0
	v_mov_b32_dpp v4, v0 row_shr:4 row_mask:0xf bank_mask:0xe
	v_mov_b32_dpp v5, v1 row_shr:4 row_mask:0xf bank_mask:0xe
	v_mov_b32_dpp v7, v6 row_shr:4 row_mask:0xf bank_mask:0xe
	s_and_b64 exec, exec, vcc
	s_cbranch_execz .LBB26_22
; %bb.19:
	s_load_dwordx2 s[0:1], s[0:1], 0x38
	v_pk_add_f32 v[4:5], v[0:1], v[4:5]
	v_add_f32_e32 v0, v6, v7
	v_cmp_eq_f32_e64 s[2:3], s12, 0
	v_lshl_add_u32 v6, v2, 1, v2
	s_and_b64 vcc, exec, s[2:3]
	v_mul_f32_e32 v2, s14, v0
	v_ashrrev_i32_e32 v7, 31, v6
	s_cbranch_vccz .LBB26_23
; %bb.20:
	s_waitcnt lgkmcnt(0)
	v_lshl_add_u64 v[8:9], v[6:7], 2, s[0:1]
	v_pk_mul_f32 v[0:1], s[14:15], v[4:5] op_sel_hi:[0,1]
	global_store_dwordx3 v[8:9], v[0:2], off
	s_cbranch_execnz .LBB26_22
.LBB26_21:
	s_waitcnt lgkmcnt(0)
	v_lshl_add_u64 v[10:11], v[6:7], 2, s[0:1]
	global_load_dwordx3 v[6:8], v[10:11], off
	v_pk_mul_f32 v[0:1], s[14:15], v[4:5] op_sel_hi:[0,1]
	s_waitcnt vmcnt(0)
	v_pk_fma_f32 v[0:1], s[12:13], v[6:7], v[0:1] op_sel_hi:[0,1,1]
	v_fmac_f32_e32 v2, s12, v8
	global_store_dwordx3 v[10:11], v[0:2], off
.LBB26_22:
	s_endpgm
.LBB26_23:
	s_branch .LBB26_21
	.section	.rodata,"a",@progbits
	.p2align	6, 0x0
	.amdhsa_kernel _ZN9rocsparseL19gebsrmvn_3xn_kernelILj128ELj7ELj8EfEEvi20rocsparse_direction_NS_24const_host_device_scalarIT2_EEPKiS6_PKS3_S8_S4_PS3_21rocsparse_index_base_b
		.amdhsa_group_segment_fixed_size 0
		.amdhsa_private_segment_fixed_size 0
		.amdhsa_kernarg_size 72
		.amdhsa_user_sgpr_count 2
		.amdhsa_user_sgpr_dispatch_ptr 0
		.amdhsa_user_sgpr_queue_ptr 0
		.amdhsa_user_sgpr_kernarg_segment_ptr 1
		.amdhsa_user_sgpr_dispatch_id 0
		.amdhsa_user_sgpr_kernarg_preload_length 0
		.amdhsa_user_sgpr_kernarg_preload_offset 0
		.amdhsa_user_sgpr_private_segment_size 0
		.amdhsa_uses_dynamic_stack 0
		.amdhsa_enable_private_segment 0
		.amdhsa_system_sgpr_workgroup_id_x 1
		.amdhsa_system_sgpr_workgroup_id_y 0
		.amdhsa_system_sgpr_workgroup_id_z 0
		.amdhsa_system_sgpr_workgroup_info 0
		.amdhsa_system_vgpr_workitem_id 0
		.amdhsa_next_free_vgpr 46
		.amdhsa_next_free_sgpr 20
		.amdhsa_accum_offset 48
		.amdhsa_reserve_vcc 1
		.amdhsa_float_round_mode_32 0
		.amdhsa_float_round_mode_16_64 0
		.amdhsa_float_denorm_mode_32 3
		.amdhsa_float_denorm_mode_16_64 3
		.amdhsa_dx10_clamp 1
		.amdhsa_ieee_mode 1
		.amdhsa_fp16_overflow 0
		.amdhsa_tg_split 0
		.amdhsa_exception_fp_ieee_invalid_op 0
		.amdhsa_exception_fp_denorm_src 0
		.amdhsa_exception_fp_ieee_div_zero 0
		.amdhsa_exception_fp_ieee_overflow 0
		.amdhsa_exception_fp_ieee_underflow 0
		.amdhsa_exception_fp_ieee_inexact 0
		.amdhsa_exception_int_div_zero 0
	.end_amdhsa_kernel
	.section	.text._ZN9rocsparseL19gebsrmvn_3xn_kernelILj128ELj7ELj8EfEEvi20rocsparse_direction_NS_24const_host_device_scalarIT2_EEPKiS6_PKS3_S8_S4_PS3_21rocsparse_index_base_b,"axG",@progbits,_ZN9rocsparseL19gebsrmvn_3xn_kernelILj128ELj7ELj8EfEEvi20rocsparse_direction_NS_24const_host_device_scalarIT2_EEPKiS6_PKS3_S8_S4_PS3_21rocsparse_index_base_b,comdat
.Lfunc_end26:
	.size	_ZN9rocsparseL19gebsrmvn_3xn_kernelILj128ELj7ELj8EfEEvi20rocsparse_direction_NS_24const_host_device_scalarIT2_EEPKiS6_PKS3_S8_S4_PS3_21rocsparse_index_base_b, .Lfunc_end26-_ZN9rocsparseL19gebsrmvn_3xn_kernelILj128ELj7ELj8EfEEvi20rocsparse_direction_NS_24const_host_device_scalarIT2_EEPKiS6_PKS3_S8_S4_PS3_21rocsparse_index_base_b
                                        ; -- End function
	.section	.AMDGPU.csdata,"",@progbits
; Kernel info:
; codeLenInByte = 2136
; NumSgprs: 26
; NumVgprs: 46
; NumAgprs: 0
; TotalNumVgprs: 46
; ScratchSize: 0
; MemoryBound: 0
; FloatMode: 240
; IeeeMode: 1
; LDSByteSize: 0 bytes/workgroup (compile time only)
; SGPRBlocks: 3
; VGPRBlocks: 5
; NumSGPRsForWavesPerEU: 26
; NumVGPRsForWavesPerEU: 46
; AccumOffset: 48
; Occupancy: 8
; WaveLimiterHint : 1
; COMPUTE_PGM_RSRC2:SCRATCH_EN: 0
; COMPUTE_PGM_RSRC2:USER_SGPR: 2
; COMPUTE_PGM_RSRC2:TRAP_HANDLER: 0
; COMPUTE_PGM_RSRC2:TGID_X_EN: 1
; COMPUTE_PGM_RSRC2:TGID_Y_EN: 0
; COMPUTE_PGM_RSRC2:TGID_Z_EN: 0
; COMPUTE_PGM_RSRC2:TIDIG_COMP_CNT: 0
; COMPUTE_PGM_RSRC3_GFX90A:ACCUM_OFFSET: 11
; COMPUTE_PGM_RSRC3_GFX90A:TG_SPLIT: 0
	.section	.text._ZN9rocsparseL19gebsrmvn_3xn_kernelILj128ELj7ELj16EfEEvi20rocsparse_direction_NS_24const_host_device_scalarIT2_EEPKiS6_PKS3_S8_S4_PS3_21rocsparse_index_base_b,"axG",@progbits,_ZN9rocsparseL19gebsrmvn_3xn_kernelILj128ELj7ELj16EfEEvi20rocsparse_direction_NS_24const_host_device_scalarIT2_EEPKiS6_PKS3_S8_S4_PS3_21rocsparse_index_base_b,comdat
	.globl	_ZN9rocsparseL19gebsrmvn_3xn_kernelILj128ELj7ELj16EfEEvi20rocsparse_direction_NS_24const_host_device_scalarIT2_EEPKiS6_PKS3_S8_S4_PS3_21rocsparse_index_base_b ; -- Begin function _ZN9rocsparseL19gebsrmvn_3xn_kernelILj128ELj7ELj16EfEEvi20rocsparse_direction_NS_24const_host_device_scalarIT2_EEPKiS6_PKS3_S8_S4_PS3_21rocsparse_index_base_b
	.p2align	8
	.type	_ZN9rocsparseL19gebsrmvn_3xn_kernelILj128ELj7ELj16EfEEvi20rocsparse_direction_NS_24const_host_device_scalarIT2_EEPKiS6_PKS3_S8_S4_PS3_21rocsparse_index_base_b,@function
_ZN9rocsparseL19gebsrmvn_3xn_kernelILj128ELj7ELj16EfEEvi20rocsparse_direction_NS_24const_host_device_scalarIT2_EEPKiS6_PKS3_S8_S4_PS3_21rocsparse_index_base_b: ; @_ZN9rocsparseL19gebsrmvn_3xn_kernelILj128ELj7ELj16EfEEvi20rocsparse_direction_NS_24const_host_device_scalarIT2_EEPKiS6_PKS3_S8_S4_PS3_21rocsparse_index_base_b
; %bb.0:
	s_load_dwordx2 s[16:17], s[0:1], 0x40
	s_load_dwordx2 s[14:15], s[0:1], 0x8
	;; [unrolled: 1-line block ×3, first 2 shown]
	s_waitcnt lgkmcnt(0)
	s_bitcmp1_b32 s17, 0
	s_cselect_b64 s[6:7], -1, 0
	s_xor_b64 s[4:5], s[6:7], -1
	s_and_b64 vcc, exec, s[6:7]
	s_cbranch_vccnz .LBB27_2
; %bb.1:
	s_load_dword s14, s[14:15], 0x0
.LBB27_2:
	s_andn2_b64 vcc, exec, s[4:5]
	s_cbranch_vccnz .LBB27_4
; %bb.3:
	s_load_dword s12, s[12:13], 0x0
.LBB27_4:
	s_waitcnt lgkmcnt(0)
	v_cmp_eq_f32_e64 s[4:5], s14, 0
	v_cmp_eq_f32_e64 s[6:7], s12, 1.0
	s_and_b64 s[4:5], s[4:5], s[6:7]
	s_and_b64 vcc, exec, s[4:5]
	s_cbranch_vccnz .LBB27_22
; %bb.5:
	s_load_dwordx2 s[18:19], s[0:1], 0x0
	v_lshrrev_b32_e32 v1, 4, v0
	v_lshl_or_b32 v2, s2, 3, v1
	s_waitcnt lgkmcnt(0)
	v_cmp_gt_i32_e32 vcc, s18, v2
	s_and_saveexec_b64 s[2:3], vcc
	s_cbranch_execz .LBB27_22
; %bb.6:
	s_load_dwordx8 s[4:11], s[0:1], 0x10
	v_ashrrev_i32_e32 v3, 31, v2
	s_cmp_lg_u32 s19, 0
	s_waitcnt lgkmcnt(0)
	v_lshl_add_u64 v[4:5], v[2:3], 2, s[4:5]
	global_load_dwordx2 v[4:5], v[4:5], off
	v_and_b32_e32 v3, 15, v0
	s_waitcnt vmcnt(0)
	v_subrev_u32_e32 v0, s16, v4
	v_subrev_u32_e32 v13, s16, v5
	v_add_u32_e32 v0, v0, v3
	v_cmp_lt_i32_e64 s[2:3], v0, v13
	s_cbranch_scc0 .LBB27_12
; %bb.7:
	v_mov_b32_e32 v5, 0
	v_mov_b32_e32 v4, v5
	;; [unrolled: 1-line block ×3, first 2 shown]
	s_and_saveexec_b64 s[4:5], s[2:3]
	s_cbranch_execz .LBB27_11
; %bb.8:
	v_mad_u64_u32 v[6:7], s[18:19], v0, 21, 20
	v_mov_b32_e32 v9, 0
	s_mov_b64 s[18:19], 0
	v_mov_b32_e32 v10, v0
	v_mov_b32_e32 v12, 0
	;; [unrolled: 1-line block ×4, first 2 shown]
.LBB27_9:                               ; =>This Inner Loop Header: Depth=1
	v_ashrrev_i32_e32 v11, 31, v10
	v_lshl_add_u64 v[14:15], v[10:11], 2, s[6:7]
	global_load_dword v1, v[14:15], off
	v_subrev_u32_e32 v8, 20, v6
	v_lshl_add_u64 v[16:17], v[8:9], 2, s[8:9]
	v_subrev_u32_e32 v8, 19, v6
	v_lshl_add_u64 v[20:21], v[8:9], 2, s[8:9]
	;; [unrolled: 2-line block ×3, first 2 shown]
	v_subrev_u32_e32 v8, 17, v6
	v_mov_b32_e32 v7, v9
	global_load_dword v16, v[16:17], off
	v_lshl_add_u64 v[18:19], v[6:7], 2, s[8:9]
	global_load_dword v17, v[20:21], off
	v_lshl_add_u64 v[20:21], v[8:9], 2, s[8:9]
	global_load_dword v7, v[22:23], off
	global_load_dword v24, v[20:21], off
	v_mov_b32_e32 v15, v9
	v_add_u32_e32 v10, 16, v10
	v_cmp_ge_i32_e32 vcc, v10, v13
	s_or_b64 s[18:19], vcc, s[18:19]
	s_waitcnt vmcnt(4)
	v_subrev_u32_e32 v1, s16, v1
	v_mul_lo_u32 v14, v1, 7
	v_add_u32_e32 v8, 1, v14
	v_lshl_add_u64 v[22:23], v[8:9], 2, s[10:11]
	v_add_u32_e32 v8, -16, v6
	v_lshl_add_u64 v[26:27], v[8:9], 2, s[8:9]
	v_add_u32_e32 v8, -15, v6
	;; [unrolled: 2-line block ×3, first 2 shown]
	v_lshl_add_u64 v[20:21], v[14:15], 2, s[10:11]
	global_load_dword v25, v[26:27], off
	v_lshl_add_u64 v[26:27], v[8:9], 2, s[8:9]
	v_add_u32_e32 v8, 2, v14
	global_load_dword v20, v[20:21], off
	s_nop 0
	global_load_dword v22, v[22:23], off
	s_nop 0
	global_load_dword v1, v[28:29], off
	global_load_dword v30, v[26:27], off
	v_lshl_add_u64 v[26:27], v[8:9], 2, s[10:11]
	v_add_u32_e32 v8, -13, v6
	v_lshl_add_u64 v[28:29], v[8:9], 2, s[8:9]
	v_add_u32_e32 v8, -12, v6
	v_lshl_add_u64 v[32:33], v[8:9], 2, s[8:9]
	v_add_u32_e32 v8, -11, v6
	global_load_dword v31, v[28:29], off
	v_lshl_add_u64 v[28:29], v[8:9], 2, s[8:9]
	v_add_u32_e32 v8, 3, v14
	global_load_dword v26, v[26:27], off
	s_nop 0
	global_load_dword v11, v[32:33], off
	global_load_dword v34, v[28:29], off
	v_lshl_add_u64 v[28:29], v[8:9], 2, s[10:11]
	v_add_u32_e32 v8, -10, v6
	v_lshl_add_u64 v[32:33], v[8:9], 2, s[8:9]
	v_add_u32_e32 v8, -9, v6
	v_lshl_add_u64 v[36:37], v[8:9], 2, s[8:9]
	v_add_u32_e32 v8, -8, v6
	global_load_dword v35, v[32:33], off
	v_lshl_add_u64 v[32:33], v[8:9], 2, s[8:9]
	v_add_u32_e32 v8, 4, v14
	;; [unrolled: 13-line block ×3, first 2 shown]
	global_load_dword v32, v[32:33], off
	s_nop 0
	global_load_dword v23, v[40:41], off
	global_load_dword v42, v[36:37], off
	v_lshl_add_u64 v[36:37], v[8:9], 2, s[10:11]
	v_add_u32_e32 v8, -4, v6
	v_lshl_add_u64 v[40:41], v[8:9], 2, s[8:9]
	v_add_u32_e32 v8, -3, v6
	;; [unrolled: 2-line block ×3, first 2 shown]
	global_load_dword v36, v[36:37], off
	s_waitcnt vmcnt(16)
	v_fmac_f32_e32 v12, v7, v20
	global_load_dword v43, v[40:41], off
	v_lshl_add_u64 v[40:41], v[8:9], 2, s[8:9]
	v_add_u32_e32 v8, 6, v14
	global_load_dword v27, v[44:45], off
	global_load_dword v14, v[40:41], off
	v_lshl_add_u64 v[40:41], v[8:9], 2, s[10:11]
	v_add_u32_e32 v8, -1, v6
	v_lshl_add_u64 v[44:45], v[8:9], 2, s[8:9]
	global_load_dword v40, v[40:41], off
	s_nop 0
	global_load_dword v15, v[44:45], off
	global_load_dword v8, v[18:19], off
	s_waitcnt vmcnt(20)
	v_fmac_f32_e32 v12, v1, v22
	v_add_u32_e32 v6, 0x150, v6
	s_waitcnt vmcnt(16)
	v_fmac_f32_e32 v12, v11, v26
	s_waitcnt vmcnt(12)
	v_pk_fma_f32 v[4:5], v[16:17], v[20:21], v[4:5] op_sel_hi:[1,0,1]
	v_fmac_f32_e32 v12, v21, v28
	s_waitcnt vmcnt(8)
	v_pk_fma_f32 v[4:5], v[24:25], v[22:23], v[4:5] op_sel_hi:[1,0,1]
	;; [unrolled: 3-line block ×3, first 2 shown]
	s_nop 0
	v_pk_fma_f32 v[4:5], v[34:35], v[28:29], v[4:5] op_sel_hi:[1,0,1]
	v_fmac_f32_e32 v12, v27, v36
	v_pk_fma_f32 v[4:5], v[38:39], v[32:33], v[4:5] op_sel_hi:[1,0,1]
	s_waitcnt vmcnt(0)
	v_fmac_f32_e32 v12, v8, v40
	v_pk_fma_f32 v[4:5], v[42:43], v[36:37], v[4:5] op_sel_hi:[1,0,1]
	s_nop 0
	v_pk_fma_f32 v[4:5], v[14:15], v[40:41], v[4:5] op_sel_hi:[1,0,1]
	s_andn2_b64 exec, exec, s[18:19]
	s_cbranch_execnz .LBB27_9
; %bb.10:
	s_or_b64 exec, exec, s[18:19]
.LBB27_11:
	s_or_b64 exec, exec, s[4:5]
	s_cbranch_execz .LBB27_13
	s_branch .LBB27_18
.LBB27_12:
                                        ; implicit-def: $vgpr5
                                        ; implicit-def: $vgpr12
.LBB27_13:
	v_mov_b32_e32 v5, 0
	v_mov_b32_e32 v4, v5
	;; [unrolled: 1-line block ×3, first 2 shown]
	s_and_saveexec_b64 s[4:5], s[2:3]
	s_cbranch_execz .LBB27_17
; %bb.14:
	v_mad_u64_u32 v[6:7], s[2:3], v0, 21, 20
	v_mov_b32_e32 v9, 0
	s_mov_b64 s[2:3], 0
	v_mov_b32_e32 v12, 0
	v_mov_b32_e32 v4, v9
	;; [unrolled: 1-line block ×3, first 2 shown]
.LBB27_15:                              ; =>This Inner Loop Header: Depth=1
	v_ashrrev_i32_e32 v1, 31, v0
	v_lshl_add_u64 v[10:11], v[0:1], 2, s[6:7]
	global_load_dword v1, v[10:11], off
	v_subrev_u32_e32 v8, 20, v6
	v_add_u32_e32 v10, -13, v6
	v_add_u32_e32 v14, -6, v6
	v_mov_b32_e32 v11, v9
	v_mov_b32_e32 v15, v9
	v_lshl_add_u64 v[18:19], v[8:9], 2, s[8:9]
	v_subrev_u32_e32 v8, 19, v6
	v_mov_b32_e32 v7, v9
	v_lshl_add_u64 v[10:11], v[10:11], 2, s[8:9]
	v_lshl_add_u64 v[14:15], v[14:15], 2, s[8:9]
	;; [unrolled: 1-line block ×4, first 2 shown]
	global_load_dword v18, v[18:19], off
	s_nop 0
	global_load_dword v19, v[10:11], off
	global_load_dword v7, v[14:15], off
	;; [unrolled: 1-line block ×3, first 2 shown]
	v_mov_b32_e32 v17, v9
	v_add_u32_e32 v0, 16, v0
	v_cmp_ge_i32_e32 vcc, v0, v13
	s_or_b64 s[2:3], vcc, s[2:3]
	s_waitcnt vmcnt(4)
	v_subrev_u32_e32 v1, s16, v1
	v_mul_lo_u32 v16, v1, 7
	v_add_u32_e32 v8, 1, v16
	v_lshl_add_u64 v[14:15], v[8:9], 2, s[10:11]
	v_add_u32_e32 v8, -12, v6
	v_lshl_add_u64 v[22:23], v[8:9], 2, s[8:9]
	v_add_u32_e32 v8, -5, v6
	v_lshl_add_u64 v[26:27], v[8:9], 2, s[8:9]
	v_subrev_u32_e32 v8, 18, v6
	v_lshl_add_u64 v[10:11], v[16:17], 2, s[10:11]
	global_load_dword v25, v[22:23], off
	v_lshl_add_u64 v[22:23], v[8:9], 2, s[8:9]
	v_add_u32_e32 v8, 2, v16
	global_load_dword v10, v[10:11], off
	s_nop 0
	global_load_dword v14, v[14:15], off
	s_nop 0
	global_load_dword v1, v[26:27], off
	global_load_dword v28, v[22:23], off
	v_lshl_add_u64 v[22:23], v[8:9], 2, s[10:11]
	v_add_u32_e32 v8, -11, v6
	v_lshl_add_u64 v[26:27], v[8:9], 2, s[8:9]
	v_add_u32_e32 v8, -4, v6
	v_lshl_add_u64 v[30:31], v[8:9], 2, s[8:9]
	v_subrev_u32_e32 v8, 17, v6
	global_load_dword v29, v[26:27], off
	v_lshl_add_u64 v[26:27], v[8:9], 2, s[8:9]
	v_add_u32_e32 v8, 3, v16
	global_load_dword v22, v[22:23], off
	s_nop 0
	global_load_dword v11, v[30:31], off
	global_load_dword v32, v[26:27], off
	v_lshl_add_u64 v[26:27], v[8:9], 2, s[10:11]
	v_add_u32_e32 v8, -10, v6
	v_lshl_add_u64 v[30:31], v[8:9], 2, s[8:9]
	v_add_u32_e32 v8, -3, v6
	v_lshl_add_u64 v[34:35], v[8:9], 2, s[8:9]
	v_add_u32_e32 v8, -16, v6
	global_load_dword v33, v[30:31], off
	v_lshl_add_u64 v[30:31], v[8:9], 2, s[8:9]
	v_add_u32_e32 v8, 4, v16
	global_load_dword v26, v[26:27], off
	s_nop 0
	global_load_dword v15, v[34:35], off
	global_load_dword v36, v[30:31], off
	v_lshl_add_u64 v[30:31], v[8:9], 2, s[10:11]
	v_add_u32_e32 v8, -9, v6
	v_lshl_add_u64 v[34:35], v[8:9], 2, s[8:9]
	v_add_u32_e32 v8, -2, v6
	v_lshl_add_u64 v[38:39], v[8:9], 2, s[8:9]
	v_add_u32_e32 v8, -15, v6
	;; [unrolled: 13-line block ×3, first 2 shown]
	global_load_dword v41, v[38:39], off
	v_lshl_add_u64 v[38:39], v[8:9], 2, s[8:9]
	v_add_u32_e32 v8, 6, v16
	global_load_dword v34, v[34:35], off
	s_nop 0
	global_load_dword v27, v[42:43], off
	global_load_dword v16, v[38:39], off
	v_lshl_add_u64 v[38:39], v[8:9], 2, s[10:11]
	v_add_u32_e32 v8, -7, v6
	v_lshl_add_u64 v[42:43], v[8:9], 2, s[8:9]
	global_load_dword v38, v[38:39], off
	s_nop 0
	global_load_dword v17, v[42:43], off
	global_load_dword v8, v[20:21], off
	v_add_u32_e32 v6, 0x150, v6
	s_waitcnt vmcnt(22)
	v_fmac_f32_e32 v12, v7, v10
	s_waitcnt vmcnt(20)
	v_fmac_f32_e32 v12, v1, v14
	s_waitcnt vmcnt(16)
	v_pk_fma_f32 v[4:5], v[18:19], v[10:11], v[4:5] op_sel_hi:[1,0,1]
	v_fmac_f32_e32 v12, v11, v22
	s_waitcnt vmcnt(12)
	v_pk_fma_f32 v[4:5], v[24:25], v[14:15], v[4:5] op_sel_hi:[1,0,1]
	;; [unrolled: 3-line block ×4, first 2 shown]
	s_nop 0
	v_pk_fma_f32 v[4:5], v[36:37], v[30:31], v[4:5] op_sel_hi:[1,0,1]
	v_fmac_f32_e32 v12, v27, v34
	v_pk_fma_f32 v[4:5], v[40:41], v[34:35], v[4:5] op_sel_hi:[1,0,1]
	s_waitcnt vmcnt(0)
	v_fmac_f32_e32 v12, v8, v38
	v_pk_fma_f32 v[4:5], v[16:17], v[38:39], v[4:5] op_sel_hi:[1,0,1]
	s_andn2_b64 exec, exec, s[2:3]
	s_cbranch_execnz .LBB27_15
; %bb.16:
	s_or_b64 exec, exec, s[2:3]
.LBB27_17:
	s_or_b64 exec, exec, s[4:5]
.LBB27_18:
	v_mov_b32_dpp v0, v4 row_shr:1 row_mask:0xf bank_mask:0xf
	v_mov_b32_dpp v1, v5 row_shr:1 row_mask:0xf bank_mask:0xf
	;; [unrolled: 1-line block ×3, first 2 shown]
	v_pk_add_f32 v[0:1], v[4:5], v[0:1]
	v_add_f32_e32 v6, v12, v6
	v_cmp_eq_u32_e32 vcc, 15, v3
	v_mov_b32_dpp v4, v0 row_shr:2 row_mask:0xf bank_mask:0xf
	v_mov_b32_dpp v5, v1 row_shr:2 row_mask:0xf bank_mask:0xf
	v_mov_b32_dpp v7, v6 row_shr:2 row_mask:0xf bank_mask:0xf
	v_pk_add_f32 v[0:1], v[0:1], v[4:5]
	v_add_f32_e32 v6, v6, v7
	s_nop 0
	v_mov_b32_dpp v4, v0 row_shr:4 row_mask:0xf bank_mask:0xe
	v_mov_b32_dpp v5, v1 row_shr:4 row_mask:0xf bank_mask:0xe
	;; [unrolled: 1-line block ×3, first 2 shown]
	v_pk_add_f32 v[0:1], v[0:1], v[4:5]
	v_add_f32_e32 v6, v6, v7
	s_nop 0
	v_mov_b32_dpp v4, v0 row_shr:8 row_mask:0xf bank_mask:0xc
	v_mov_b32_dpp v5, v1 row_shr:8 row_mask:0xf bank_mask:0xc
	;; [unrolled: 1-line block ×3, first 2 shown]
	s_and_b64 exec, exec, vcc
	s_cbranch_execz .LBB27_22
; %bb.19:
	s_load_dwordx2 s[0:1], s[0:1], 0x38
	v_pk_add_f32 v[4:5], v[0:1], v[4:5]
	v_add_f32_e32 v0, v6, v7
	v_cmp_eq_f32_e64 s[2:3], s12, 0
	v_lshl_add_u32 v6, v2, 1, v2
	s_and_b64 vcc, exec, s[2:3]
	v_mul_f32_e32 v2, s14, v0
	v_ashrrev_i32_e32 v7, 31, v6
	s_cbranch_vccz .LBB27_23
; %bb.20:
	s_waitcnt lgkmcnt(0)
	v_lshl_add_u64 v[8:9], v[6:7], 2, s[0:1]
	v_pk_mul_f32 v[0:1], s[14:15], v[4:5] op_sel_hi:[0,1]
	global_store_dwordx3 v[8:9], v[0:2], off
	s_cbranch_execnz .LBB27_22
.LBB27_21:
	s_waitcnt lgkmcnt(0)
	v_lshl_add_u64 v[10:11], v[6:7], 2, s[0:1]
	global_load_dwordx3 v[6:8], v[10:11], off
	v_pk_mul_f32 v[0:1], s[14:15], v[4:5] op_sel_hi:[0,1]
	s_waitcnt vmcnt(0)
	v_pk_fma_f32 v[0:1], s[12:13], v[6:7], v[0:1] op_sel_hi:[0,1,1]
	v_fmac_f32_e32 v2, s12, v8
	global_store_dwordx3 v[10:11], v[0:2], off
.LBB27_22:
	s_endpgm
.LBB27_23:
	s_branch .LBB27_21
	.section	.rodata,"a",@progbits
	.p2align	6, 0x0
	.amdhsa_kernel _ZN9rocsparseL19gebsrmvn_3xn_kernelILj128ELj7ELj16EfEEvi20rocsparse_direction_NS_24const_host_device_scalarIT2_EEPKiS6_PKS3_S8_S4_PS3_21rocsparse_index_base_b
		.amdhsa_group_segment_fixed_size 0
		.amdhsa_private_segment_fixed_size 0
		.amdhsa_kernarg_size 72
		.amdhsa_user_sgpr_count 2
		.amdhsa_user_sgpr_dispatch_ptr 0
		.amdhsa_user_sgpr_queue_ptr 0
		.amdhsa_user_sgpr_kernarg_segment_ptr 1
		.amdhsa_user_sgpr_dispatch_id 0
		.amdhsa_user_sgpr_kernarg_preload_length 0
		.amdhsa_user_sgpr_kernarg_preload_offset 0
		.amdhsa_user_sgpr_private_segment_size 0
		.amdhsa_uses_dynamic_stack 0
		.amdhsa_enable_private_segment 0
		.amdhsa_system_sgpr_workgroup_id_x 1
		.amdhsa_system_sgpr_workgroup_id_y 0
		.amdhsa_system_sgpr_workgroup_id_z 0
		.amdhsa_system_sgpr_workgroup_info 0
		.amdhsa_system_vgpr_workitem_id 0
		.amdhsa_next_free_vgpr 46
		.amdhsa_next_free_sgpr 20
		.amdhsa_accum_offset 48
		.amdhsa_reserve_vcc 1
		.amdhsa_float_round_mode_32 0
		.amdhsa_float_round_mode_16_64 0
		.amdhsa_float_denorm_mode_32 3
		.amdhsa_float_denorm_mode_16_64 3
		.amdhsa_dx10_clamp 1
		.amdhsa_ieee_mode 1
		.amdhsa_fp16_overflow 0
		.amdhsa_tg_split 0
		.amdhsa_exception_fp_ieee_invalid_op 0
		.amdhsa_exception_fp_denorm_src 0
		.amdhsa_exception_fp_ieee_div_zero 0
		.amdhsa_exception_fp_ieee_overflow 0
		.amdhsa_exception_fp_ieee_underflow 0
		.amdhsa_exception_fp_ieee_inexact 0
		.amdhsa_exception_int_div_zero 0
	.end_amdhsa_kernel
	.section	.text._ZN9rocsparseL19gebsrmvn_3xn_kernelILj128ELj7ELj16EfEEvi20rocsparse_direction_NS_24const_host_device_scalarIT2_EEPKiS6_PKS3_S8_S4_PS3_21rocsparse_index_base_b,"axG",@progbits,_ZN9rocsparseL19gebsrmvn_3xn_kernelILj128ELj7ELj16EfEEvi20rocsparse_direction_NS_24const_host_device_scalarIT2_EEPKiS6_PKS3_S8_S4_PS3_21rocsparse_index_base_b,comdat
.Lfunc_end27:
	.size	_ZN9rocsparseL19gebsrmvn_3xn_kernelILj128ELj7ELj16EfEEvi20rocsparse_direction_NS_24const_host_device_scalarIT2_EEPKiS6_PKS3_S8_S4_PS3_21rocsparse_index_base_b, .Lfunc_end27-_ZN9rocsparseL19gebsrmvn_3xn_kernelILj128ELj7ELj16EfEEvi20rocsparse_direction_NS_24const_host_device_scalarIT2_EEPKiS6_PKS3_S8_S4_PS3_21rocsparse_index_base_b
                                        ; -- End function
	.section	.AMDGPU.csdata,"",@progbits
; Kernel info:
; codeLenInByte = 2176
; NumSgprs: 26
; NumVgprs: 46
; NumAgprs: 0
; TotalNumVgprs: 46
; ScratchSize: 0
; MemoryBound: 0
; FloatMode: 240
; IeeeMode: 1
; LDSByteSize: 0 bytes/workgroup (compile time only)
; SGPRBlocks: 3
; VGPRBlocks: 5
; NumSGPRsForWavesPerEU: 26
; NumVGPRsForWavesPerEU: 46
; AccumOffset: 48
; Occupancy: 8
; WaveLimiterHint : 1
; COMPUTE_PGM_RSRC2:SCRATCH_EN: 0
; COMPUTE_PGM_RSRC2:USER_SGPR: 2
; COMPUTE_PGM_RSRC2:TRAP_HANDLER: 0
; COMPUTE_PGM_RSRC2:TGID_X_EN: 1
; COMPUTE_PGM_RSRC2:TGID_Y_EN: 0
; COMPUTE_PGM_RSRC2:TGID_Z_EN: 0
; COMPUTE_PGM_RSRC2:TIDIG_COMP_CNT: 0
; COMPUTE_PGM_RSRC3_GFX90A:ACCUM_OFFSET: 11
; COMPUTE_PGM_RSRC3_GFX90A:TG_SPLIT: 0
	.section	.text._ZN9rocsparseL19gebsrmvn_3xn_kernelILj128ELj7ELj32EfEEvi20rocsparse_direction_NS_24const_host_device_scalarIT2_EEPKiS6_PKS3_S8_S4_PS3_21rocsparse_index_base_b,"axG",@progbits,_ZN9rocsparseL19gebsrmvn_3xn_kernelILj128ELj7ELj32EfEEvi20rocsparse_direction_NS_24const_host_device_scalarIT2_EEPKiS6_PKS3_S8_S4_PS3_21rocsparse_index_base_b,comdat
	.globl	_ZN9rocsparseL19gebsrmvn_3xn_kernelILj128ELj7ELj32EfEEvi20rocsparse_direction_NS_24const_host_device_scalarIT2_EEPKiS6_PKS3_S8_S4_PS3_21rocsparse_index_base_b ; -- Begin function _ZN9rocsparseL19gebsrmvn_3xn_kernelILj128ELj7ELj32EfEEvi20rocsparse_direction_NS_24const_host_device_scalarIT2_EEPKiS6_PKS3_S8_S4_PS3_21rocsparse_index_base_b
	.p2align	8
	.type	_ZN9rocsparseL19gebsrmvn_3xn_kernelILj128ELj7ELj32EfEEvi20rocsparse_direction_NS_24const_host_device_scalarIT2_EEPKiS6_PKS3_S8_S4_PS3_21rocsparse_index_base_b,@function
_ZN9rocsparseL19gebsrmvn_3xn_kernelILj128ELj7ELj32EfEEvi20rocsparse_direction_NS_24const_host_device_scalarIT2_EEPKiS6_PKS3_S8_S4_PS3_21rocsparse_index_base_b: ; @_ZN9rocsparseL19gebsrmvn_3xn_kernelILj128ELj7ELj32EfEEvi20rocsparse_direction_NS_24const_host_device_scalarIT2_EEPKiS6_PKS3_S8_S4_PS3_21rocsparse_index_base_b
; %bb.0:
	s_load_dwordx2 s[16:17], s[0:1], 0x40
	s_load_dwordx2 s[14:15], s[0:1], 0x8
	;; [unrolled: 1-line block ×3, first 2 shown]
	s_waitcnt lgkmcnt(0)
	s_bitcmp1_b32 s17, 0
	s_cselect_b64 s[6:7], -1, 0
	s_xor_b64 s[4:5], s[6:7], -1
	s_and_b64 vcc, exec, s[6:7]
	s_cbranch_vccnz .LBB28_2
; %bb.1:
	s_load_dword s14, s[14:15], 0x0
.LBB28_2:
	s_andn2_b64 vcc, exec, s[4:5]
	s_cbranch_vccnz .LBB28_4
; %bb.3:
	s_load_dword s12, s[12:13], 0x0
.LBB28_4:
	s_waitcnt lgkmcnt(0)
	v_cmp_eq_f32_e64 s[4:5], s14, 0
	v_cmp_eq_f32_e64 s[6:7], s12, 1.0
	s_and_b64 s[4:5], s[4:5], s[6:7]
	s_and_b64 vcc, exec, s[4:5]
	s_cbranch_vccnz .LBB28_22
; %bb.5:
	s_load_dwordx2 s[18:19], s[0:1], 0x0
	v_lshrrev_b32_e32 v1, 5, v0
	v_lshl_or_b32 v2, s2, 2, v1
	s_waitcnt lgkmcnt(0)
	v_cmp_gt_i32_e32 vcc, s18, v2
	s_and_saveexec_b64 s[2:3], vcc
	s_cbranch_execz .LBB28_22
; %bb.6:
	s_load_dwordx8 s[4:11], s[0:1], 0x10
	v_ashrrev_i32_e32 v3, 31, v2
	s_cmp_lg_u32 s19, 0
	s_waitcnt lgkmcnt(0)
	v_lshl_add_u64 v[4:5], v[2:3], 2, s[4:5]
	global_load_dwordx2 v[4:5], v[4:5], off
	v_and_b32_e32 v3, 31, v0
	s_waitcnt vmcnt(0)
	v_subrev_u32_e32 v0, s16, v4
	v_subrev_u32_e32 v13, s16, v5
	v_add_u32_e32 v0, v0, v3
	v_cmp_lt_i32_e64 s[2:3], v0, v13
	s_cbranch_scc0 .LBB28_12
; %bb.7:
	v_mov_b32_e32 v5, 0
	v_mov_b32_e32 v4, v5
	;; [unrolled: 1-line block ×3, first 2 shown]
	s_and_saveexec_b64 s[4:5], s[2:3]
	s_cbranch_execz .LBB28_11
; %bb.8:
	v_mad_u64_u32 v[6:7], s[18:19], v0, 21, 20
	v_mov_b32_e32 v9, 0
	s_mov_b64 s[18:19], 0
	v_mov_b32_e32 v10, v0
	v_mov_b32_e32 v12, 0
	;; [unrolled: 1-line block ×4, first 2 shown]
.LBB28_9:                               ; =>This Inner Loop Header: Depth=1
	v_ashrrev_i32_e32 v11, 31, v10
	v_lshl_add_u64 v[14:15], v[10:11], 2, s[6:7]
	global_load_dword v1, v[14:15], off
	v_subrev_u32_e32 v8, 20, v6
	v_lshl_add_u64 v[16:17], v[8:9], 2, s[8:9]
	v_subrev_u32_e32 v8, 19, v6
	v_lshl_add_u64 v[20:21], v[8:9], 2, s[8:9]
	;; [unrolled: 2-line block ×3, first 2 shown]
	v_subrev_u32_e32 v8, 17, v6
	v_mov_b32_e32 v7, v9
	global_load_dword v16, v[16:17], off
	v_lshl_add_u64 v[18:19], v[6:7], 2, s[8:9]
	global_load_dword v17, v[20:21], off
	v_lshl_add_u64 v[20:21], v[8:9], 2, s[8:9]
	global_load_dword v7, v[22:23], off
	global_load_dword v24, v[20:21], off
	v_mov_b32_e32 v15, v9
	v_add_u32_e32 v10, 32, v10
	v_cmp_ge_i32_e32 vcc, v10, v13
	s_or_b64 s[18:19], vcc, s[18:19]
	s_waitcnt vmcnt(4)
	v_subrev_u32_e32 v1, s16, v1
	v_mul_lo_u32 v14, v1, 7
	v_add_u32_e32 v8, 1, v14
	v_lshl_add_u64 v[22:23], v[8:9], 2, s[10:11]
	v_add_u32_e32 v8, -16, v6
	v_lshl_add_u64 v[26:27], v[8:9], 2, s[8:9]
	v_add_u32_e32 v8, -15, v6
	;; [unrolled: 2-line block ×3, first 2 shown]
	v_lshl_add_u64 v[20:21], v[14:15], 2, s[10:11]
	global_load_dword v25, v[26:27], off
	v_lshl_add_u64 v[26:27], v[8:9], 2, s[8:9]
	v_add_u32_e32 v8, 2, v14
	global_load_dword v20, v[20:21], off
	s_nop 0
	global_load_dword v22, v[22:23], off
	s_nop 0
	global_load_dword v1, v[28:29], off
	global_load_dword v30, v[26:27], off
	v_lshl_add_u64 v[26:27], v[8:9], 2, s[10:11]
	v_add_u32_e32 v8, -13, v6
	v_lshl_add_u64 v[28:29], v[8:9], 2, s[8:9]
	v_add_u32_e32 v8, -12, v6
	v_lshl_add_u64 v[32:33], v[8:9], 2, s[8:9]
	v_add_u32_e32 v8, -11, v6
	global_load_dword v31, v[28:29], off
	v_lshl_add_u64 v[28:29], v[8:9], 2, s[8:9]
	v_add_u32_e32 v8, 3, v14
	global_load_dword v26, v[26:27], off
	s_nop 0
	global_load_dword v11, v[32:33], off
	global_load_dword v34, v[28:29], off
	v_lshl_add_u64 v[28:29], v[8:9], 2, s[10:11]
	v_add_u32_e32 v8, -10, v6
	v_lshl_add_u64 v[32:33], v[8:9], 2, s[8:9]
	v_add_u32_e32 v8, -9, v6
	v_lshl_add_u64 v[36:37], v[8:9], 2, s[8:9]
	v_add_u32_e32 v8, -8, v6
	global_load_dword v35, v[32:33], off
	v_lshl_add_u64 v[32:33], v[8:9], 2, s[8:9]
	v_add_u32_e32 v8, 4, v14
	;; [unrolled: 13-line block ×3, first 2 shown]
	global_load_dword v32, v[32:33], off
	s_nop 0
	global_load_dword v23, v[40:41], off
	global_load_dword v42, v[36:37], off
	v_lshl_add_u64 v[36:37], v[8:9], 2, s[10:11]
	v_add_u32_e32 v8, -4, v6
	v_lshl_add_u64 v[40:41], v[8:9], 2, s[8:9]
	v_add_u32_e32 v8, -3, v6
	;; [unrolled: 2-line block ×3, first 2 shown]
	global_load_dword v36, v[36:37], off
	s_waitcnt vmcnt(16)
	v_fmac_f32_e32 v12, v7, v20
	global_load_dword v43, v[40:41], off
	v_lshl_add_u64 v[40:41], v[8:9], 2, s[8:9]
	v_add_u32_e32 v8, 6, v14
	global_load_dword v27, v[44:45], off
	global_load_dword v14, v[40:41], off
	v_lshl_add_u64 v[40:41], v[8:9], 2, s[10:11]
	v_add_u32_e32 v8, -1, v6
	v_lshl_add_u64 v[44:45], v[8:9], 2, s[8:9]
	global_load_dword v40, v[40:41], off
	s_nop 0
	global_load_dword v15, v[44:45], off
	global_load_dword v8, v[18:19], off
	s_waitcnt vmcnt(20)
	v_fmac_f32_e32 v12, v1, v22
	v_add_u32_e32 v6, 0x2a0, v6
	s_waitcnt vmcnt(16)
	v_fmac_f32_e32 v12, v11, v26
	s_waitcnt vmcnt(12)
	v_pk_fma_f32 v[4:5], v[16:17], v[20:21], v[4:5] op_sel_hi:[1,0,1]
	v_fmac_f32_e32 v12, v21, v28
	s_waitcnt vmcnt(8)
	v_pk_fma_f32 v[4:5], v[24:25], v[22:23], v[4:5] op_sel_hi:[1,0,1]
	;; [unrolled: 3-line block ×3, first 2 shown]
	s_nop 0
	v_pk_fma_f32 v[4:5], v[34:35], v[28:29], v[4:5] op_sel_hi:[1,0,1]
	v_fmac_f32_e32 v12, v27, v36
	v_pk_fma_f32 v[4:5], v[38:39], v[32:33], v[4:5] op_sel_hi:[1,0,1]
	s_waitcnt vmcnt(0)
	v_fmac_f32_e32 v12, v8, v40
	v_pk_fma_f32 v[4:5], v[42:43], v[36:37], v[4:5] op_sel_hi:[1,0,1]
	s_nop 0
	v_pk_fma_f32 v[4:5], v[14:15], v[40:41], v[4:5] op_sel_hi:[1,0,1]
	s_andn2_b64 exec, exec, s[18:19]
	s_cbranch_execnz .LBB28_9
; %bb.10:
	s_or_b64 exec, exec, s[18:19]
.LBB28_11:
	s_or_b64 exec, exec, s[4:5]
	s_cbranch_execz .LBB28_13
	s_branch .LBB28_18
.LBB28_12:
                                        ; implicit-def: $vgpr5
                                        ; implicit-def: $vgpr12
.LBB28_13:
	v_mov_b32_e32 v5, 0
	v_mov_b32_e32 v4, v5
	;; [unrolled: 1-line block ×3, first 2 shown]
	s_and_saveexec_b64 s[4:5], s[2:3]
	s_cbranch_execz .LBB28_17
; %bb.14:
	v_mad_u64_u32 v[6:7], s[2:3], v0, 21, 20
	v_mov_b32_e32 v9, 0
	s_mov_b64 s[2:3], 0
	v_mov_b32_e32 v12, 0
	v_mov_b32_e32 v4, v9
	;; [unrolled: 1-line block ×3, first 2 shown]
.LBB28_15:                              ; =>This Inner Loop Header: Depth=1
	v_ashrrev_i32_e32 v1, 31, v0
	v_lshl_add_u64 v[10:11], v[0:1], 2, s[6:7]
	global_load_dword v1, v[10:11], off
	v_subrev_u32_e32 v8, 20, v6
	v_add_u32_e32 v10, -13, v6
	v_add_u32_e32 v14, -6, v6
	v_mov_b32_e32 v11, v9
	v_mov_b32_e32 v15, v9
	v_lshl_add_u64 v[18:19], v[8:9], 2, s[8:9]
	v_subrev_u32_e32 v8, 19, v6
	v_mov_b32_e32 v7, v9
	v_lshl_add_u64 v[10:11], v[10:11], 2, s[8:9]
	v_lshl_add_u64 v[14:15], v[14:15], 2, s[8:9]
	;; [unrolled: 1-line block ×4, first 2 shown]
	global_load_dword v18, v[18:19], off
	s_nop 0
	global_load_dword v19, v[10:11], off
	global_load_dword v7, v[14:15], off
	;; [unrolled: 1-line block ×3, first 2 shown]
	v_mov_b32_e32 v17, v9
	v_add_u32_e32 v0, 32, v0
	v_cmp_ge_i32_e32 vcc, v0, v13
	s_or_b64 s[2:3], vcc, s[2:3]
	s_waitcnt vmcnt(4)
	v_subrev_u32_e32 v1, s16, v1
	v_mul_lo_u32 v16, v1, 7
	v_add_u32_e32 v8, 1, v16
	v_lshl_add_u64 v[14:15], v[8:9], 2, s[10:11]
	v_add_u32_e32 v8, -12, v6
	v_lshl_add_u64 v[22:23], v[8:9], 2, s[8:9]
	v_add_u32_e32 v8, -5, v6
	v_lshl_add_u64 v[26:27], v[8:9], 2, s[8:9]
	v_subrev_u32_e32 v8, 18, v6
	v_lshl_add_u64 v[10:11], v[16:17], 2, s[10:11]
	global_load_dword v25, v[22:23], off
	v_lshl_add_u64 v[22:23], v[8:9], 2, s[8:9]
	v_add_u32_e32 v8, 2, v16
	global_load_dword v10, v[10:11], off
	s_nop 0
	global_load_dword v14, v[14:15], off
	s_nop 0
	global_load_dword v1, v[26:27], off
	global_load_dword v28, v[22:23], off
	v_lshl_add_u64 v[22:23], v[8:9], 2, s[10:11]
	v_add_u32_e32 v8, -11, v6
	v_lshl_add_u64 v[26:27], v[8:9], 2, s[8:9]
	v_add_u32_e32 v8, -4, v6
	v_lshl_add_u64 v[30:31], v[8:9], 2, s[8:9]
	v_subrev_u32_e32 v8, 17, v6
	global_load_dword v29, v[26:27], off
	v_lshl_add_u64 v[26:27], v[8:9], 2, s[8:9]
	v_add_u32_e32 v8, 3, v16
	global_load_dword v22, v[22:23], off
	s_nop 0
	global_load_dword v11, v[30:31], off
	global_load_dword v32, v[26:27], off
	v_lshl_add_u64 v[26:27], v[8:9], 2, s[10:11]
	v_add_u32_e32 v8, -10, v6
	v_lshl_add_u64 v[30:31], v[8:9], 2, s[8:9]
	v_add_u32_e32 v8, -3, v6
	v_lshl_add_u64 v[34:35], v[8:9], 2, s[8:9]
	v_add_u32_e32 v8, -16, v6
	global_load_dword v33, v[30:31], off
	v_lshl_add_u64 v[30:31], v[8:9], 2, s[8:9]
	v_add_u32_e32 v8, 4, v16
	global_load_dword v26, v[26:27], off
	s_nop 0
	global_load_dword v15, v[34:35], off
	global_load_dword v36, v[30:31], off
	v_lshl_add_u64 v[30:31], v[8:9], 2, s[10:11]
	v_add_u32_e32 v8, -9, v6
	v_lshl_add_u64 v[34:35], v[8:9], 2, s[8:9]
	v_add_u32_e32 v8, -2, v6
	v_lshl_add_u64 v[38:39], v[8:9], 2, s[8:9]
	v_add_u32_e32 v8, -15, v6
	;; [unrolled: 13-line block ×3, first 2 shown]
	global_load_dword v41, v[38:39], off
	v_lshl_add_u64 v[38:39], v[8:9], 2, s[8:9]
	v_add_u32_e32 v8, 6, v16
	global_load_dword v34, v[34:35], off
	s_nop 0
	global_load_dword v27, v[42:43], off
	global_load_dword v16, v[38:39], off
	v_lshl_add_u64 v[38:39], v[8:9], 2, s[10:11]
	v_add_u32_e32 v8, -7, v6
	v_lshl_add_u64 v[42:43], v[8:9], 2, s[8:9]
	global_load_dword v38, v[38:39], off
	s_nop 0
	global_load_dword v17, v[42:43], off
	global_load_dword v8, v[20:21], off
	v_add_u32_e32 v6, 0x2a0, v6
	s_waitcnt vmcnt(22)
	v_fmac_f32_e32 v12, v7, v10
	s_waitcnt vmcnt(20)
	v_fmac_f32_e32 v12, v1, v14
	s_waitcnt vmcnt(16)
	v_pk_fma_f32 v[4:5], v[18:19], v[10:11], v[4:5] op_sel_hi:[1,0,1]
	v_fmac_f32_e32 v12, v11, v22
	s_waitcnt vmcnt(12)
	v_pk_fma_f32 v[4:5], v[24:25], v[14:15], v[4:5] op_sel_hi:[1,0,1]
	v_fmac_f32_e32 v12, v15, v26
	s_waitcnt vmcnt(8)
	v_pk_fma_f32 v[4:5], v[28:29], v[22:23], v[4:5] op_sel_hi:[1,0,1]
	v_fmac_f32_e32 v12, v23, v30
	s_waitcnt vmcnt(4)
	v_pk_fma_f32 v[4:5], v[32:33], v[26:27], v[4:5] op_sel_hi:[1,0,1]
	s_nop 0
	v_pk_fma_f32 v[4:5], v[36:37], v[30:31], v[4:5] op_sel_hi:[1,0,1]
	v_fmac_f32_e32 v12, v27, v34
	v_pk_fma_f32 v[4:5], v[40:41], v[34:35], v[4:5] op_sel_hi:[1,0,1]
	s_waitcnt vmcnt(0)
	v_fmac_f32_e32 v12, v8, v38
	v_pk_fma_f32 v[4:5], v[16:17], v[38:39], v[4:5] op_sel_hi:[1,0,1]
	s_andn2_b64 exec, exec, s[2:3]
	s_cbranch_execnz .LBB28_15
; %bb.16:
	s_or_b64 exec, exec, s[2:3]
.LBB28_17:
	s_or_b64 exec, exec, s[4:5]
.LBB28_18:
	v_mov_b32_dpp v0, v4 row_shr:1 row_mask:0xf bank_mask:0xf
	v_mov_b32_dpp v1, v5 row_shr:1 row_mask:0xf bank_mask:0xf
	v_mov_b32_dpp v6, v12 row_shr:1 row_mask:0xf bank_mask:0xf
	v_pk_add_f32 v[0:1], v[4:5], v[0:1]
	v_add_f32_e32 v6, v12, v6
	v_cmp_eq_u32_e32 vcc, 31, v3
	v_mov_b32_dpp v4, v0 row_shr:2 row_mask:0xf bank_mask:0xf
	v_mov_b32_dpp v5, v1 row_shr:2 row_mask:0xf bank_mask:0xf
	v_mov_b32_dpp v7, v6 row_shr:2 row_mask:0xf bank_mask:0xf
	v_pk_add_f32 v[0:1], v[0:1], v[4:5]
	v_add_f32_e32 v6, v6, v7
	s_nop 0
	v_mov_b32_dpp v4, v0 row_shr:4 row_mask:0xf bank_mask:0xe
	v_mov_b32_dpp v5, v1 row_shr:4 row_mask:0xf bank_mask:0xe
	v_mov_b32_dpp v7, v6 row_shr:4 row_mask:0xf bank_mask:0xe
	v_pk_add_f32 v[0:1], v[0:1], v[4:5]
	v_add_f32_e32 v6, v6, v7
	s_nop 0
	;; [unrolled: 6-line block ×3, first 2 shown]
	v_mov_b32_dpp v4, v0 row_bcast:15 row_mask:0xa bank_mask:0xf
	v_mov_b32_dpp v5, v1 row_bcast:15 row_mask:0xa bank_mask:0xf
	;; [unrolled: 1-line block ×3, first 2 shown]
	s_and_b64 exec, exec, vcc
	s_cbranch_execz .LBB28_22
; %bb.19:
	s_load_dwordx2 s[0:1], s[0:1], 0x38
	v_pk_add_f32 v[4:5], v[0:1], v[4:5]
	v_add_f32_e32 v0, v6, v7
	v_cmp_eq_f32_e64 s[2:3], s12, 0
	v_lshl_add_u32 v6, v2, 1, v2
	s_and_b64 vcc, exec, s[2:3]
	v_mul_f32_e32 v2, s14, v0
	v_ashrrev_i32_e32 v7, 31, v6
	s_cbranch_vccz .LBB28_23
; %bb.20:
	s_waitcnt lgkmcnt(0)
	v_lshl_add_u64 v[8:9], v[6:7], 2, s[0:1]
	v_pk_mul_f32 v[0:1], s[14:15], v[4:5] op_sel_hi:[0,1]
	global_store_dwordx3 v[8:9], v[0:2], off
	s_cbranch_execnz .LBB28_22
.LBB28_21:
	s_waitcnt lgkmcnt(0)
	v_lshl_add_u64 v[10:11], v[6:7], 2, s[0:1]
	global_load_dwordx3 v[6:8], v[10:11], off
	v_pk_mul_f32 v[0:1], s[14:15], v[4:5] op_sel_hi:[0,1]
	s_waitcnt vmcnt(0)
	v_pk_fma_f32 v[0:1], s[12:13], v[6:7], v[0:1] op_sel_hi:[0,1,1]
	v_fmac_f32_e32 v2, s12, v8
	global_store_dwordx3 v[10:11], v[0:2], off
.LBB28_22:
	s_endpgm
.LBB28_23:
	s_branch .LBB28_21
	.section	.rodata,"a",@progbits
	.p2align	6, 0x0
	.amdhsa_kernel _ZN9rocsparseL19gebsrmvn_3xn_kernelILj128ELj7ELj32EfEEvi20rocsparse_direction_NS_24const_host_device_scalarIT2_EEPKiS6_PKS3_S8_S4_PS3_21rocsparse_index_base_b
		.amdhsa_group_segment_fixed_size 0
		.amdhsa_private_segment_fixed_size 0
		.amdhsa_kernarg_size 72
		.amdhsa_user_sgpr_count 2
		.amdhsa_user_sgpr_dispatch_ptr 0
		.amdhsa_user_sgpr_queue_ptr 0
		.amdhsa_user_sgpr_kernarg_segment_ptr 1
		.amdhsa_user_sgpr_dispatch_id 0
		.amdhsa_user_sgpr_kernarg_preload_length 0
		.amdhsa_user_sgpr_kernarg_preload_offset 0
		.amdhsa_user_sgpr_private_segment_size 0
		.amdhsa_uses_dynamic_stack 0
		.amdhsa_enable_private_segment 0
		.amdhsa_system_sgpr_workgroup_id_x 1
		.amdhsa_system_sgpr_workgroup_id_y 0
		.amdhsa_system_sgpr_workgroup_id_z 0
		.amdhsa_system_sgpr_workgroup_info 0
		.amdhsa_system_vgpr_workitem_id 0
		.amdhsa_next_free_vgpr 46
		.amdhsa_next_free_sgpr 20
		.amdhsa_accum_offset 48
		.amdhsa_reserve_vcc 1
		.amdhsa_float_round_mode_32 0
		.amdhsa_float_round_mode_16_64 0
		.amdhsa_float_denorm_mode_32 3
		.amdhsa_float_denorm_mode_16_64 3
		.amdhsa_dx10_clamp 1
		.amdhsa_ieee_mode 1
		.amdhsa_fp16_overflow 0
		.amdhsa_tg_split 0
		.amdhsa_exception_fp_ieee_invalid_op 0
		.amdhsa_exception_fp_denorm_src 0
		.amdhsa_exception_fp_ieee_div_zero 0
		.amdhsa_exception_fp_ieee_overflow 0
		.amdhsa_exception_fp_ieee_underflow 0
		.amdhsa_exception_fp_ieee_inexact 0
		.amdhsa_exception_int_div_zero 0
	.end_amdhsa_kernel
	.section	.text._ZN9rocsparseL19gebsrmvn_3xn_kernelILj128ELj7ELj32EfEEvi20rocsparse_direction_NS_24const_host_device_scalarIT2_EEPKiS6_PKS3_S8_S4_PS3_21rocsparse_index_base_b,"axG",@progbits,_ZN9rocsparseL19gebsrmvn_3xn_kernelILj128ELj7ELj32EfEEvi20rocsparse_direction_NS_24const_host_device_scalarIT2_EEPKiS6_PKS3_S8_S4_PS3_21rocsparse_index_base_b,comdat
.Lfunc_end28:
	.size	_ZN9rocsparseL19gebsrmvn_3xn_kernelILj128ELj7ELj32EfEEvi20rocsparse_direction_NS_24const_host_device_scalarIT2_EEPKiS6_PKS3_S8_S4_PS3_21rocsparse_index_base_b, .Lfunc_end28-_ZN9rocsparseL19gebsrmvn_3xn_kernelILj128ELj7ELj32EfEEvi20rocsparse_direction_NS_24const_host_device_scalarIT2_EEPKiS6_PKS3_S8_S4_PS3_21rocsparse_index_base_b
                                        ; -- End function
	.section	.AMDGPU.csdata,"",@progbits
; Kernel info:
; codeLenInByte = 2216
; NumSgprs: 26
; NumVgprs: 46
; NumAgprs: 0
; TotalNumVgprs: 46
; ScratchSize: 0
; MemoryBound: 0
; FloatMode: 240
; IeeeMode: 1
; LDSByteSize: 0 bytes/workgroup (compile time only)
; SGPRBlocks: 3
; VGPRBlocks: 5
; NumSGPRsForWavesPerEU: 26
; NumVGPRsForWavesPerEU: 46
; AccumOffset: 48
; Occupancy: 8
; WaveLimiterHint : 1
; COMPUTE_PGM_RSRC2:SCRATCH_EN: 0
; COMPUTE_PGM_RSRC2:USER_SGPR: 2
; COMPUTE_PGM_RSRC2:TRAP_HANDLER: 0
; COMPUTE_PGM_RSRC2:TGID_X_EN: 1
; COMPUTE_PGM_RSRC2:TGID_Y_EN: 0
; COMPUTE_PGM_RSRC2:TGID_Z_EN: 0
; COMPUTE_PGM_RSRC2:TIDIG_COMP_CNT: 0
; COMPUTE_PGM_RSRC3_GFX90A:ACCUM_OFFSET: 11
; COMPUTE_PGM_RSRC3_GFX90A:TG_SPLIT: 0
	.section	.text._ZN9rocsparseL19gebsrmvn_3xn_kernelILj128ELj7ELj64EfEEvi20rocsparse_direction_NS_24const_host_device_scalarIT2_EEPKiS6_PKS3_S8_S4_PS3_21rocsparse_index_base_b,"axG",@progbits,_ZN9rocsparseL19gebsrmvn_3xn_kernelILj128ELj7ELj64EfEEvi20rocsparse_direction_NS_24const_host_device_scalarIT2_EEPKiS6_PKS3_S8_S4_PS3_21rocsparse_index_base_b,comdat
	.globl	_ZN9rocsparseL19gebsrmvn_3xn_kernelILj128ELj7ELj64EfEEvi20rocsparse_direction_NS_24const_host_device_scalarIT2_EEPKiS6_PKS3_S8_S4_PS3_21rocsparse_index_base_b ; -- Begin function _ZN9rocsparseL19gebsrmvn_3xn_kernelILj128ELj7ELj64EfEEvi20rocsparse_direction_NS_24const_host_device_scalarIT2_EEPKiS6_PKS3_S8_S4_PS3_21rocsparse_index_base_b
	.p2align	8
	.type	_ZN9rocsparseL19gebsrmvn_3xn_kernelILj128ELj7ELj64EfEEvi20rocsparse_direction_NS_24const_host_device_scalarIT2_EEPKiS6_PKS3_S8_S4_PS3_21rocsparse_index_base_b,@function
_ZN9rocsparseL19gebsrmvn_3xn_kernelILj128ELj7ELj64EfEEvi20rocsparse_direction_NS_24const_host_device_scalarIT2_EEPKiS6_PKS3_S8_S4_PS3_21rocsparse_index_base_b: ; @_ZN9rocsparseL19gebsrmvn_3xn_kernelILj128ELj7ELj64EfEEvi20rocsparse_direction_NS_24const_host_device_scalarIT2_EEPKiS6_PKS3_S8_S4_PS3_21rocsparse_index_base_b
; %bb.0:
	s_load_dwordx2 s[16:17], s[0:1], 0x40
	s_load_dwordx2 s[14:15], s[0:1], 0x8
	;; [unrolled: 1-line block ×3, first 2 shown]
	s_waitcnt lgkmcnt(0)
	s_bitcmp1_b32 s17, 0
	s_cselect_b64 s[6:7], -1, 0
	s_xor_b64 s[4:5], s[6:7], -1
	s_and_b64 vcc, exec, s[6:7]
	s_cbranch_vccnz .LBB29_2
; %bb.1:
	s_load_dword s14, s[14:15], 0x0
.LBB29_2:
	s_andn2_b64 vcc, exec, s[4:5]
	s_cbranch_vccnz .LBB29_4
; %bb.3:
	s_load_dword s12, s[12:13], 0x0
.LBB29_4:
	s_waitcnt lgkmcnt(0)
	v_cmp_eq_f32_e64 s[4:5], s14, 0
	v_cmp_eq_f32_e64 s[6:7], s12, 1.0
	s_and_b64 s[4:5], s[4:5], s[6:7]
	s_and_b64 vcc, exec, s[4:5]
	s_cbranch_vccnz .LBB29_22
; %bb.5:
	s_load_dwordx2 s[18:19], s[0:1], 0x0
	v_lshrrev_b32_e32 v1, 6, v0
	v_lshl_or_b32 v2, s2, 1, v1
	s_waitcnt lgkmcnt(0)
	v_cmp_gt_i32_e32 vcc, s18, v2
	s_and_saveexec_b64 s[2:3], vcc
	s_cbranch_execz .LBB29_22
; %bb.6:
	s_load_dwordx8 s[4:11], s[0:1], 0x10
	v_ashrrev_i32_e32 v3, 31, v2
	s_cmp_lg_u32 s19, 0
	s_waitcnt lgkmcnt(0)
	v_lshl_add_u64 v[4:5], v[2:3], 2, s[4:5]
	global_load_dwordx2 v[4:5], v[4:5], off
	v_and_b32_e32 v3, 63, v0
	s_waitcnt vmcnt(0)
	v_subrev_u32_e32 v0, s16, v4
	v_subrev_u32_e32 v13, s16, v5
	v_add_u32_e32 v0, v0, v3
	v_cmp_lt_i32_e64 s[2:3], v0, v13
	s_cbranch_scc0 .LBB29_12
; %bb.7:
	v_mov_b32_e32 v5, 0
	v_mov_b32_e32 v4, v5
	v_mov_b32_e32 v12, v5
	s_and_saveexec_b64 s[4:5], s[2:3]
	s_cbranch_execz .LBB29_11
; %bb.8:
	v_mad_u64_u32 v[6:7], s[18:19], v0, 21, 20
	v_mov_b32_e32 v9, 0
	s_mov_b64 s[18:19], 0
	v_mov_b32_e32 v10, v0
	v_mov_b32_e32 v12, 0
	;; [unrolled: 1-line block ×4, first 2 shown]
.LBB29_9:                               ; =>This Inner Loop Header: Depth=1
	v_ashrrev_i32_e32 v11, 31, v10
	v_lshl_add_u64 v[14:15], v[10:11], 2, s[6:7]
	global_load_dword v1, v[14:15], off
	v_subrev_u32_e32 v8, 20, v6
	v_lshl_add_u64 v[16:17], v[8:9], 2, s[8:9]
	v_subrev_u32_e32 v8, 19, v6
	v_lshl_add_u64 v[20:21], v[8:9], 2, s[8:9]
	;; [unrolled: 2-line block ×3, first 2 shown]
	v_subrev_u32_e32 v8, 17, v6
	v_mov_b32_e32 v7, v9
	global_load_dword v16, v[16:17], off
	v_lshl_add_u64 v[18:19], v[6:7], 2, s[8:9]
	global_load_dword v17, v[20:21], off
	v_lshl_add_u64 v[20:21], v[8:9], 2, s[8:9]
	global_load_dword v7, v[22:23], off
	global_load_dword v24, v[20:21], off
	v_mov_b32_e32 v15, v9
	v_add_u32_e32 v10, 64, v10
	v_cmp_ge_i32_e32 vcc, v10, v13
	s_or_b64 s[18:19], vcc, s[18:19]
	s_waitcnt vmcnt(4)
	v_subrev_u32_e32 v1, s16, v1
	v_mul_lo_u32 v14, v1, 7
	v_add_u32_e32 v8, 1, v14
	v_lshl_add_u64 v[22:23], v[8:9], 2, s[10:11]
	v_add_u32_e32 v8, -16, v6
	v_lshl_add_u64 v[26:27], v[8:9], 2, s[8:9]
	v_add_u32_e32 v8, -15, v6
	;; [unrolled: 2-line block ×3, first 2 shown]
	v_lshl_add_u64 v[20:21], v[14:15], 2, s[10:11]
	global_load_dword v25, v[26:27], off
	v_lshl_add_u64 v[26:27], v[8:9], 2, s[8:9]
	v_add_u32_e32 v8, 2, v14
	global_load_dword v20, v[20:21], off
	s_nop 0
	global_load_dword v22, v[22:23], off
	s_nop 0
	global_load_dword v1, v[28:29], off
	global_load_dword v30, v[26:27], off
	v_lshl_add_u64 v[26:27], v[8:9], 2, s[10:11]
	v_add_u32_e32 v8, -13, v6
	v_lshl_add_u64 v[28:29], v[8:9], 2, s[8:9]
	v_add_u32_e32 v8, -12, v6
	v_lshl_add_u64 v[32:33], v[8:9], 2, s[8:9]
	v_add_u32_e32 v8, -11, v6
	global_load_dword v31, v[28:29], off
	v_lshl_add_u64 v[28:29], v[8:9], 2, s[8:9]
	v_add_u32_e32 v8, 3, v14
	global_load_dword v26, v[26:27], off
	s_nop 0
	global_load_dword v11, v[32:33], off
	global_load_dword v34, v[28:29], off
	v_lshl_add_u64 v[28:29], v[8:9], 2, s[10:11]
	v_add_u32_e32 v8, -10, v6
	v_lshl_add_u64 v[32:33], v[8:9], 2, s[8:9]
	v_add_u32_e32 v8, -9, v6
	v_lshl_add_u64 v[36:37], v[8:9], 2, s[8:9]
	v_add_u32_e32 v8, -8, v6
	global_load_dword v35, v[32:33], off
	v_lshl_add_u64 v[32:33], v[8:9], 2, s[8:9]
	v_add_u32_e32 v8, 4, v14
	;; [unrolled: 13-line block ×3, first 2 shown]
	global_load_dword v32, v[32:33], off
	s_nop 0
	global_load_dword v23, v[40:41], off
	global_load_dword v42, v[36:37], off
	v_lshl_add_u64 v[36:37], v[8:9], 2, s[10:11]
	v_add_u32_e32 v8, -4, v6
	v_lshl_add_u64 v[40:41], v[8:9], 2, s[8:9]
	v_add_u32_e32 v8, -3, v6
	;; [unrolled: 2-line block ×3, first 2 shown]
	global_load_dword v36, v[36:37], off
	s_waitcnt vmcnt(16)
	v_fmac_f32_e32 v12, v7, v20
	global_load_dword v43, v[40:41], off
	v_lshl_add_u64 v[40:41], v[8:9], 2, s[8:9]
	v_add_u32_e32 v8, 6, v14
	global_load_dword v27, v[44:45], off
	global_load_dword v14, v[40:41], off
	v_lshl_add_u64 v[40:41], v[8:9], 2, s[10:11]
	v_add_u32_e32 v8, -1, v6
	v_lshl_add_u64 v[44:45], v[8:9], 2, s[8:9]
	global_load_dword v40, v[40:41], off
	s_nop 0
	global_load_dword v15, v[44:45], off
	global_load_dword v8, v[18:19], off
	s_waitcnt vmcnt(20)
	v_fmac_f32_e32 v12, v1, v22
	v_add_u32_e32 v6, 0x540, v6
	s_waitcnt vmcnt(16)
	v_fmac_f32_e32 v12, v11, v26
	s_waitcnt vmcnt(12)
	v_pk_fma_f32 v[4:5], v[16:17], v[20:21], v[4:5] op_sel_hi:[1,0,1]
	v_fmac_f32_e32 v12, v21, v28
	s_waitcnt vmcnt(8)
	v_pk_fma_f32 v[4:5], v[24:25], v[22:23], v[4:5] op_sel_hi:[1,0,1]
	v_fmac_f32_e32 v12, v23, v32
	s_waitcnt vmcnt(4)
	v_pk_fma_f32 v[4:5], v[30:31], v[26:27], v[4:5] op_sel_hi:[1,0,1]
	s_nop 0
	v_pk_fma_f32 v[4:5], v[34:35], v[28:29], v[4:5] op_sel_hi:[1,0,1]
	v_fmac_f32_e32 v12, v27, v36
	v_pk_fma_f32 v[4:5], v[38:39], v[32:33], v[4:5] op_sel_hi:[1,0,1]
	s_waitcnt vmcnt(0)
	v_fmac_f32_e32 v12, v8, v40
	v_pk_fma_f32 v[4:5], v[42:43], v[36:37], v[4:5] op_sel_hi:[1,0,1]
	s_nop 0
	v_pk_fma_f32 v[4:5], v[14:15], v[40:41], v[4:5] op_sel_hi:[1,0,1]
	s_andn2_b64 exec, exec, s[18:19]
	s_cbranch_execnz .LBB29_9
; %bb.10:
	s_or_b64 exec, exec, s[18:19]
.LBB29_11:
	s_or_b64 exec, exec, s[4:5]
	s_cbranch_execz .LBB29_13
	s_branch .LBB29_18
.LBB29_12:
                                        ; implicit-def: $vgpr5
                                        ; implicit-def: $vgpr12
.LBB29_13:
	v_mov_b32_e32 v5, 0
	v_mov_b32_e32 v4, v5
	;; [unrolled: 1-line block ×3, first 2 shown]
	s_and_saveexec_b64 s[4:5], s[2:3]
	s_cbranch_execz .LBB29_17
; %bb.14:
	v_mad_u64_u32 v[6:7], s[2:3], v0, 21, 20
	v_mov_b32_e32 v9, 0
	s_mov_b64 s[2:3], 0
	v_mov_b32_e32 v12, 0
	v_mov_b32_e32 v4, v9
	;; [unrolled: 1-line block ×3, first 2 shown]
.LBB29_15:                              ; =>This Inner Loop Header: Depth=1
	v_ashrrev_i32_e32 v1, 31, v0
	v_lshl_add_u64 v[10:11], v[0:1], 2, s[6:7]
	global_load_dword v1, v[10:11], off
	v_subrev_u32_e32 v8, 20, v6
	v_add_u32_e32 v10, -13, v6
	v_add_u32_e32 v14, -6, v6
	v_mov_b32_e32 v11, v9
	v_mov_b32_e32 v15, v9
	v_lshl_add_u64 v[18:19], v[8:9], 2, s[8:9]
	v_subrev_u32_e32 v8, 19, v6
	v_mov_b32_e32 v7, v9
	v_lshl_add_u64 v[10:11], v[10:11], 2, s[8:9]
	v_lshl_add_u64 v[14:15], v[14:15], 2, s[8:9]
	v_lshl_add_u64 v[22:23], v[8:9], 2, s[8:9]
	v_lshl_add_u64 v[20:21], v[6:7], 2, s[8:9]
	global_load_dword v18, v[18:19], off
	s_nop 0
	global_load_dword v19, v[10:11], off
	global_load_dword v7, v[14:15], off
	;; [unrolled: 1-line block ×3, first 2 shown]
	v_mov_b32_e32 v17, v9
	v_add_u32_e32 v0, 64, v0
	v_cmp_ge_i32_e32 vcc, v0, v13
	s_or_b64 s[2:3], vcc, s[2:3]
	s_waitcnt vmcnt(4)
	v_subrev_u32_e32 v1, s16, v1
	v_mul_lo_u32 v16, v1, 7
	v_add_u32_e32 v8, 1, v16
	v_lshl_add_u64 v[14:15], v[8:9], 2, s[10:11]
	v_add_u32_e32 v8, -12, v6
	v_lshl_add_u64 v[22:23], v[8:9], 2, s[8:9]
	v_add_u32_e32 v8, -5, v6
	v_lshl_add_u64 v[26:27], v[8:9], 2, s[8:9]
	v_subrev_u32_e32 v8, 18, v6
	v_lshl_add_u64 v[10:11], v[16:17], 2, s[10:11]
	global_load_dword v25, v[22:23], off
	v_lshl_add_u64 v[22:23], v[8:9], 2, s[8:9]
	v_add_u32_e32 v8, 2, v16
	global_load_dword v10, v[10:11], off
	s_nop 0
	global_load_dword v14, v[14:15], off
	s_nop 0
	global_load_dword v1, v[26:27], off
	global_load_dword v28, v[22:23], off
	v_lshl_add_u64 v[22:23], v[8:9], 2, s[10:11]
	v_add_u32_e32 v8, -11, v6
	v_lshl_add_u64 v[26:27], v[8:9], 2, s[8:9]
	v_add_u32_e32 v8, -4, v6
	v_lshl_add_u64 v[30:31], v[8:9], 2, s[8:9]
	v_subrev_u32_e32 v8, 17, v6
	global_load_dword v29, v[26:27], off
	v_lshl_add_u64 v[26:27], v[8:9], 2, s[8:9]
	v_add_u32_e32 v8, 3, v16
	global_load_dword v22, v[22:23], off
	s_nop 0
	global_load_dword v11, v[30:31], off
	global_load_dword v32, v[26:27], off
	v_lshl_add_u64 v[26:27], v[8:9], 2, s[10:11]
	v_add_u32_e32 v8, -10, v6
	v_lshl_add_u64 v[30:31], v[8:9], 2, s[8:9]
	v_add_u32_e32 v8, -3, v6
	v_lshl_add_u64 v[34:35], v[8:9], 2, s[8:9]
	v_add_u32_e32 v8, -16, v6
	global_load_dword v33, v[30:31], off
	v_lshl_add_u64 v[30:31], v[8:9], 2, s[8:9]
	v_add_u32_e32 v8, 4, v16
	global_load_dword v26, v[26:27], off
	s_nop 0
	global_load_dword v15, v[34:35], off
	global_load_dword v36, v[30:31], off
	v_lshl_add_u64 v[30:31], v[8:9], 2, s[10:11]
	v_add_u32_e32 v8, -9, v6
	v_lshl_add_u64 v[34:35], v[8:9], 2, s[8:9]
	v_add_u32_e32 v8, -2, v6
	v_lshl_add_u64 v[38:39], v[8:9], 2, s[8:9]
	v_add_u32_e32 v8, -15, v6
	;; [unrolled: 13-line block ×3, first 2 shown]
	global_load_dword v41, v[38:39], off
	v_lshl_add_u64 v[38:39], v[8:9], 2, s[8:9]
	v_add_u32_e32 v8, 6, v16
	global_load_dword v34, v[34:35], off
	s_nop 0
	global_load_dword v27, v[42:43], off
	global_load_dword v16, v[38:39], off
	v_lshl_add_u64 v[38:39], v[8:9], 2, s[10:11]
	v_add_u32_e32 v8, -7, v6
	v_lshl_add_u64 v[42:43], v[8:9], 2, s[8:9]
	global_load_dword v38, v[38:39], off
	s_nop 0
	global_load_dword v17, v[42:43], off
	global_load_dword v8, v[20:21], off
	v_add_u32_e32 v6, 0x540, v6
	s_waitcnt vmcnt(22)
	v_fmac_f32_e32 v12, v7, v10
	s_waitcnt vmcnt(20)
	v_fmac_f32_e32 v12, v1, v14
	s_waitcnt vmcnt(16)
	v_pk_fma_f32 v[4:5], v[18:19], v[10:11], v[4:5] op_sel_hi:[1,0,1]
	v_fmac_f32_e32 v12, v11, v22
	s_waitcnt vmcnt(12)
	v_pk_fma_f32 v[4:5], v[24:25], v[14:15], v[4:5] op_sel_hi:[1,0,1]
	;; [unrolled: 3-line block ×4, first 2 shown]
	s_nop 0
	v_pk_fma_f32 v[4:5], v[36:37], v[30:31], v[4:5] op_sel_hi:[1,0,1]
	v_fmac_f32_e32 v12, v27, v34
	v_pk_fma_f32 v[4:5], v[40:41], v[34:35], v[4:5] op_sel_hi:[1,0,1]
	s_waitcnt vmcnt(0)
	v_fmac_f32_e32 v12, v8, v38
	v_pk_fma_f32 v[4:5], v[16:17], v[38:39], v[4:5] op_sel_hi:[1,0,1]
	s_andn2_b64 exec, exec, s[2:3]
	s_cbranch_execnz .LBB29_15
; %bb.16:
	s_or_b64 exec, exec, s[2:3]
.LBB29_17:
	s_or_b64 exec, exec, s[4:5]
.LBB29_18:
	v_mov_b32_dpp v0, v4 row_shr:1 row_mask:0xf bank_mask:0xf
	v_mov_b32_dpp v1, v5 row_shr:1 row_mask:0xf bank_mask:0xf
	;; [unrolled: 1-line block ×3, first 2 shown]
	v_pk_add_f32 v[0:1], v[4:5], v[0:1]
	v_add_f32_e32 v6, v12, v6
	v_cmp_eq_u32_e32 vcc, 63, v3
	v_mov_b32_dpp v4, v0 row_shr:2 row_mask:0xf bank_mask:0xf
	v_mov_b32_dpp v5, v1 row_shr:2 row_mask:0xf bank_mask:0xf
	v_mov_b32_dpp v7, v6 row_shr:2 row_mask:0xf bank_mask:0xf
	v_pk_add_f32 v[0:1], v[0:1], v[4:5]
	v_add_f32_e32 v6, v6, v7
	s_nop 0
	v_mov_b32_dpp v4, v0 row_shr:4 row_mask:0xf bank_mask:0xe
	v_mov_b32_dpp v5, v1 row_shr:4 row_mask:0xf bank_mask:0xe
	v_mov_b32_dpp v7, v6 row_shr:4 row_mask:0xf bank_mask:0xe
	v_pk_add_f32 v[0:1], v[0:1], v[4:5]
	v_add_f32_e32 v6, v6, v7
	s_nop 0
	;; [unrolled: 6-line block ×3, first 2 shown]
	v_mov_b32_dpp v4, v0 row_bcast:15 row_mask:0xa bank_mask:0xf
	v_mov_b32_dpp v5, v1 row_bcast:15 row_mask:0xa bank_mask:0xf
	;; [unrolled: 1-line block ×3, first 2 shown]
	v_pk_add_f32 v[0:1], v[0:1], v[4:5]
	v_add_f32_e32 v6, v6, v7
	s_nop 0
	v_mov_b32_dpp v4, v0 row_bcast:31 row_mask:0xc bank_mask:0xf
	v_mov_b32_dpp v5, v1 row_bcast:31 row_mask:0xc bank_mask:0xf
	;; [unrolled: 1-line block ×3, first 2 shown]
	s_and_b64 exec, exec, vcc
	s_cbranch_execz .LBB29_22
; %bb.19:
	s_load_dwordx2 s[0:1], s[0:1], 0x38
	v_pk_add_f32 v[4:5], v[0:1], v[4:5]
	v_add_f32_e32 v0, v6, v7
	v_cmp_eq_f32_e64 s[2:3], s12, 0
	v_lshl_add_u32 v6, v2, 1, v2
	s_and_b64 vcc, exec, s[2:3]
	v_mul_f32_e32 v2, s14, v0
	v_ashrrev_i32_e32 v7, 31, v6
	s_cbranch_vccz .LBB29_23
; %bb.20:
	s_waitcnt lgkmcnt(0)
	v_lshl_add_u64 v[8:9], v[6:7], 2, s[0:1]
	v_pk_mul_f32 v[0:1], s[14:15], v[4:5] op_sel_hi:[0,1]
	global_store_dwordx3 v[8:9], v[0:2], off
	s_cbranch_execnz .LBB29_22
.LBB29_21:
	s_waitcnt lgkmcnt(0)
	v_lshl_add_u64 v[10:11], v[6:7], 2, s[0:1]
	global_load_dwordx3 v[6:8], v[10:11], off
	v_pk_mul_f32 v[0:1], s[14:15], v[4:5] op_sel_hi:[0,1]
	s_waitcnt vmcnt(0)
	v_pk_fma_f32 v[0:1], s[12:13], v[6:7], v[0:1] op_sel_hi:[0,1,1]
	v_fmac_f32_e32 v2, s12, v8
	global_store_dwordx3 v[10:11], v[0:2], off
.LBB29_22:
	s_endpgm
.LBB29_23:
	s_branch .LBB29_21
	.section	.rodata,"a",@progbits
	.p2align	6, 0x0
	.amdhsa_kernel _ZN9rocsparseL19gebsrmvn_3xn_kernelILj128ELj7ELj64EfEEvi20rocsparse_direction_NS_24const_host_device_scalarIT2_EEPKiS6_PKS3_S8_S4_PS3_21rocsparse_index_base_b
		.amdhsa_group_segment_fixed_size 0
		.amdhsa_private_segment_fixed_size 0
		.amdhsa_kernarg_size 72
		.amdhsa_user_sgpr_count 2
		.amdhsa_user_sgpr_dispatch_ptr 0
		.amdhsa_user_sgpr_queue_ptr 0
		.amdhsa_user_sgpr_kernarg_segment_ptr 1
		.amdhsa_user_sgpr_dispatch_id 0
		.amdhsa_user_sgpr_kernarg_preload_length 0
		.amdhsa_user_sgpr_kernarg_preload_offset 0
		.amdhsa_user_sgpr_private_segment_size 0
		.amdhsa_uses_dynamic_stack 0
		.amdhsa_enable_private_segment 0
		.amdhsa_system_sgpr_workgroup_id_x 1
		.amdhsa_system_sgpr_workgroup_id_y 0
		.amdhsa_system_sgpr_workgroup_id_z 0
		.amdhsa_system_sgpr_workgroup_info 0
		.amdhsa_system_vgpr_workitem_id 0
		.amdhsa_next_free_vgpr 46
		.amdhsa_next_free_sgpr 20
		.amdhsa_accum_offset 48
		.amdhsa_reserve_vcc 1
		.amdhsa_float_round_mode_32 0
		.amdhsa_float_round_mode_16_64 0
		.amdhsa_float_denorm_mode_32 3
		.amdhsa_float_denorm_mode_16_64 3
		.amdhsa_dx10_clamp 1
		.amdhsa_ieee_mode 1
		.amdhsa_fp16_overflow 0
		.amdhsa_tg_split 0
		.amdhsa_exception_fp_ieee_invalid_op 0
		.amdhsa_exception_fp_denorm_src 0
		.amdhsa_exception_fp_ieee_div_zero 0
		.amdhsa_exception_fp_ieee_overflow 0
		.amdhsa_exception_fp_ieee_underflow 0
		.amdhsa_exception_fp_ieee_inexact 0
		.amdhsa_exception_int_div_zero 0
	.end_amdhsa_kernel
	.section	.text._ZN9rocsparseL19gebsrmvn_3xn_kernelILj128ELj7ELj64EfEEvi20rocsparse_direction_NS_24const_host_device_scalarIT2_EEPKiS6_PKS3_S8_S4_PS3_21rocsparse_index_base_b,"axG",@progbits,_ZN9rocsparseL19gebsrmvn_3xn_kernelILj128ELj7ELj64EfEEvi20rocsparse_direction_NS_24const_host_device_scalarIT2_EEPKiS6_PKS3_S8_S4_PS3_21rocsparse_index_base_b,comdat
.Lfunc_end29:
	.size	_ZN9rocsparseL19gebsrmvn_3xn_kernelILj128ELj7ELj64EfEEvi20rocsparse_direction_NS_24const_host_device_scalarIT2_EEPKiS6_PKS3_S8_S4_PS3_21rocsparse_index_base_b, .Lfunc_end29-_ZN9rocsparseL19gebsrmvn_3xn_kernelILj128ELj7ELj64EfEEvi20rocsparse_direction_NS_24const_host_device_scalarIT2_EEPKiS6_PKS3_S8_S4_PS3_21rocsparse_index_base_b
                                        ; -- End function
	.section	.AMDGPU.csdata,"",@progbits
; Kernel info:
; codeLenInByte = 2256
; NumSgprs: 26
; NumVgprs: 46
; NumAgprs: 0
; TotalNumVgprs: 46
; ScratchSize: 0
; MemoryBound: 0
; FloatMode: 240
; IeeeMode: 1
; LDSByteSize: 0 bytes/workgroup (compile time only)
; SGPRBlocks: 3
; VGPRBlocks: 5
; NumSGPRsForWavesPerEU: 26
; NumVGPRsForWavesPerEU: 46
; AccumOffset: 48
; Occupancy: 8
; WaveLimiterHint : 1
; COMPUTE_PGM_RSRC2:SCRATCH_EN: 0
; COMPUTE_PGM_RSRC2:USER_SGPR: 2
; COMPUTE_PGM_RSRC2:TRAP_HANDLER: 0
; COMPUTE_PGM_RSRC2:TGID_X_EN: 1
; COMPUTE_PGM_RSRC2:TGID_Y_EN: 0
; COMPUTE_PGM_RSRC2:TGID_Z_EN: 0
; COMPUTE_PGM_RSRC2:TIDIG_COMP_CNT: 0
; COMPUTE_PGM_RSRC3_GFX90A:ACCUM_OFFSET: 11
; COMPUTE_PGM_RSRC3_GFX90A:TG_SPLIT: 0
	.section	.text._ZN9rocsparseL19gebsrmvn_3xn_kernelILj128ELj8ELj4EfEEvi20rocsparse_direction_NS_24const_host_device_scalarIT2_EEPKiS6_PKS3_S8_S4_PS3_21rocsparse_index_base_b,"axG",@progbits,_ZN9rocsparseL19gebsrmvn_3xn_kernelILj128ELj8ELj4EfEEvi20rocsparse_direction_NS_24const_host_device_scalarIT2_EEPKiS6_PKS3_S8_S4_PS3_21rocsparse_index_base_b,comdat
	.globl	_ZN9rocsparseL19gebsrmvn_3xn_kernelILj128ELj8ELj4EfEEvi20rocsparse_direction_NS_24const_host_device_scalarIT2_EEPKiS6_PKS3_S8_S4_PS3_21rocsparse_index_base_b ; -- Begin function _ZN9rocsparseL19gebsrmvn_3xn_kernelILj128ELj8ELj4EfEEvi20rocsparse_direction_NS_24const_host_device_scalarIT2_EEPKiS6_PKS3_S8_S4_PS3_21rocsparse_index_base_b
	.p2align	8
	.type	_ZN9rocsparseL19gebsrmvn_3xn_kernelILj128ELj8ELj4EfEEvi20rocsparse_direction_NS_24const_host_device_scalarIT2_EEPKiS6_PKS3_S8_S4_PS3_21rocsparse_index_base_b,@function
_ZN9rocsparseL19gebsrmvn_3xn_kernelILj128ELj8ELj4EfEEvi20rocsparse_direction_NS_24const_host_device_scalarIT2_EEPKiS6_PKS3_S8_S4_PS3_21rocsparse_index_base_b: ; @_ZN9rocsparseL19gebsrmvn_3xn_kernelILj128ELj8ELj4EfEEvi20rocsparse_direction_NS_24const_host_device_scalarIT2_EEPKiS6_PKS3_S8_S4_PS3_21rocsparse_index_base_b
; %bb.0:
	s_load_dwordx2 s[16:17], s[0:1], 0x40
	s_load_dwordx2 s[14:15], s[0:1], 0x8
	;; [unrolled: 1-line block ×3, first 2 shown]
	s_waitcnt lgkmcnt(0)
	s_bitcmp1_b32 s17, 0
	s_cselect_b64 s[6:7], -1, 0
	s_xor_b64 s[4:5], s[6:7], -1
	s_and_b64 vcc, exec, s[6:7]
	s_cbranch_vccnz .LBB30_2
; %bb.1:
	s_load_dword s14, s[14:15], 0x0
.LBB30_2:
	s_andn2_b64 vcc, exec, s[4:5]
	s_cbranch_vccnz .LBB30_4
; %bb.3:
	s_load_dword s12, s[12:13], 0x0
.LBB30_4:
	s_waitcnt lgkmcnt(0)
	v_cmp_eq_f32_e64 s[4:5], s14, 0
	v_cmp_eq_f32_e64 s[6:7], s12, 1.0
	s_and_b64 s[4:5], s[4:5], s[6:7]
	s_and_b64 vcc, exec, s[4:5]
	s_cbranch_vccnz .LBB30_22
; %bb.5:
	s_load_dwordx2 s[18:19], s[0:1], 0x0
	v_lshrrev_b32_e32 v1, 2, v0
	v_lshl_or_b32 v2, s2, 5, v1
	s_waitcnt lgkmcnt(0)
	v_cmp_gt_i32_e32 vcc, s18, v2
	s_and_saveexec_b64 s[2:3], vcc
	s_cbranch_execz .LBB30_22
; %bb.6:
	s_load_dwordx8 s[4:11], s[0:1], 0x10
	v_ashrrev_i32_e32 v3, 31, v2
	s_cmp_lg_u32 s19, 0
	s_waitcnt lgkmcnt(0)
	v_lshl_add_u64 v[4:5], v[2:3], 2, s[4:5]
	global_load_dwordx2 v[4:5], v[4:5], off
	v_and_b32_e32 v3, 3, v0
	s_waitcnt vmcnt(0)
	v_subrev_u32_e32 v0, s16, v4
	v_subrev_u32_e32 v12, s16, v5
	v_add_u32_e32 v0, v0, v3
	v_cmp_lt_i32_e64 s[2:3], v0, v12
	s_cbranch_scc0 .LBB30_12
; %bb.7:
	v_mov_b32_e32 v5, 0
	v_mov_b32_e32 v4, v5
	;; [unrolled: 1-line block ×3, first 2 shown]
	s_and_saveexec_b64 s[4:5], s[2:3]
	s_cbranch_execz .LBB30_11
; %bb.8:
	v_mad_u64_u32 v[6:7], s[18:19], v0, 24, 23
	v_mov_b32_e32 v9, 0
	s_mov_b64 s[18:19], 0
	v_mov_b32_e32 v10, v0
	v_mov_b32_e32 v13, 0
	;; [unrolled: 1-line block ×4, first 2 shown]
.LBB30_9:                               ; =>This Inner Loop Header: Depth=1
	v_ashrrev_i32_e32 v11, 31, v10
	v_lshl_add_u64 v[14:15], v[10:11], 2, s[6:7]
	global_load_dword v1, v[14:15], off
	v_subrev_u32_e32 v8, 23, v6
	v_lshl_add_u64 v[24:25], v[8:9], 2, s[8:9]
	v_add_u32_e32 v8, -15, v6
	global_load_dwordx4 v[14:17], v[24:25], off offset:16
	global_load_dwordx4 v[18:21], v[24:25], off
	v_lshl_add_u64 v[24:25], v[8:9], 2, s[8:9]
	v_add_u32_e32 v8, -14, v6
	v_mov_b32_e32 v7, v9
	v_lshl_add_u64 v[26:27], v[8:9], 2, s[8:9]
	v_add_u32_e32 v8, -13, v6
	v_lshl_add_u64 v[30:31], v[6:7], 2, s[8:9]
	global_load_dword v7, v[24:25], off
	global_load_dword v32, v[26:27], off
	v_lshl_add_u64 v[24:25], v[8:9], 2, s[8:9]
	v_add_u32_e32 v8, -12, v6
	v_lshl_add_u64 v[26:27], v[8:9], 2, s[8:9]
	v_add_u32_e32 v8, -11, v6
	global_load_dword v33, v[24:25], off
	global_load_dword v11, v[26:27], off
	v_lshl_add_u64 v[24:25], v[8:9], 2, s[8:9]
	v_add_u32_e32 v8, -10, v6
	v_lshl_add_u64 v[26:27], v[8:9], 2, s[8:9]
	v_add_u32_e32 v8, -9, v6
	;; [unrolled: 6-line block ×4, first 2 shown]
	v_mov_b32_e32 v23, v9
	global_load_dword v37, v[24:25], off
	global_load_dword v47, v[26:27], off
	v_lshl_add_u64 v[24:25], v[8:9], 2, s[8:9]
	v_add_u32_e32 v8, -4, v6
	v_lshl_add_u64 v[26:27], v[8:9], 2, s[8:9]
	global_load_dword v38, v[24:25], off
	global_load_dword v39, v[26:27], off
	v_add_u32_e32 v8, -3, v6
	v_lshl_add_u64 v[40:41], v[8:9], 2, s[8:9]
	v_add_u32_e32 v8, -2, v6
	v_add_u32_e32 v10, 4, v10
	v_cmp_ge_i32_e32 vcc, v10, v12
	s_or_b64 s[18:19], vcc, s[18:19]
	s_waitcnt vmcnt(14)
	v_subrev_u32_e32 v1, s16, v1
	v_lshlrev_b32_e32 v22, 3, v1
	v_lshl_add_u64 v[42:43], v[22:23], 2, s[10:11]
	global_load_dwordx4 v[22:25], v[42:43], off
	global_load_dwordx4 v[26:29], v[42:43], off offset:16
	v_lshl_add_u64 v[42:43], v[8:9], 2, s[8:9]
	v_add_u32_e32 v8, -1, v6
	global_load_dword v1, v[40:41], off
	v_lshl_add_u64 v[40:41], v[8:9], 2, s[8:9]
	global_load_dword v44, v[42:43], off
	global_load_dword v45, v[40:41], off
	;; [unrolled: 1-line block ×3, first 2 shown]
	s_waitcnt vmcnt(18)
	v_mov_b32_e32 v30, v21
	v_mov_b32_e32 v31, v14
	v_add_u32_e32 v6, 0x60, v6
	s_waitcnt vmcnt(5)
	v_fmac_f32_e32 v13, v20, v22
	v_pk_fma_f32 v[4:5], v[18:19], v[22:23], v[4:5] op_sel_hi:[1,0,1]
	v_fmac_f32_e32 v13, v15, v23
	v_pk_fma_f32 v[4:5], v[30:31], v[22:23], v[4:5] op_sel:[0,1,0]
	v_mov_b32_e32 v8, v25
	v_fmac_f32_e32 v13, v7, v24
	v_pk_fma_f32 v[4:5], v[16:17], v[24:25], v[4:5] op_sel_hi:[1,0,1]
	v_fmac_f32_e32 v13, v11, v25
	v_pk_fma_f32 v[4:5], v[32:33], v[8:9], v[4:5] op_sel_hi:[1,0,1]
	s_waitcnt vmcnt(4)
	v_fmac_f32_e32 v13, v46, v26
	v_pk_fma_f32 v[4:5], v[34:35], v[26:27], v[4:5] op_sel_hi:[1,0,1]
	v_fmac_f32_e32 v13, v47, v27
	v_pk_fma_f32 v[4:5], v[36:37], v[26:27], v[4:5] op_sel:[0,1,0]
	v_mov_b32_e32 v14, v29
	v_pk_fma_f32 v[4:5], v[38:39], v[28:29], v[4:5] op_sel_hi:[1,0,1]
	s_waitcnt vmcnt(3)
	v_fmac_f32_e32 v13, v1, v28
	s_waitcnt vmcnt(1)
	v_pk_fma_f32 v[4:5], v[44:45], v[14:15], v[4:5] op_sel_hi:[1,0,1]
	s_waitcnt vmcnt(0)
	v_fmac_f32_e32 v13, v48, v29
	s_andn2_b64 exec, exec, s[18:19]
	s_cbranch_execnz .LBB30_9
; %bb.10:
	s_or_b64 exec, exec, s[18:19]
.LBB30_11:
	s_or_b64 exec, exec, s[4:5]
	s_cbranch_execz .LBB30_13
	s_branch .LBB30_18
.LBB30_12:
                                        ; implicit-def: $vgpr5
                                        ; implicit-def: $vgpr13
.LBB30_13:
	v_mov_b32_e32 v5, 0
	v_mov_b32_e32 v4, v5
	;; [unrolled: 1-line block ×3, first 2 shown]
	s_and_saveexec_b64 s[4:5], s[2:3]
	s_cbranch_execz .LBB30_17
; %bb.14:
	v_mad_u64_u32 v[6:7], s[2:3], v0, 24, 23
	v_mov_b32_e32 v9, 0
	s_mov_b64 s[2:3], 0
	v_mov_b32_e32 v13, 0
	v_mov_b32_e32 v4, v9
	;; [unrolled: 1-line block ×3, first 2 shown]
.LBB30_15:                              ; =>This Inner Loop Header: Depth=1
	v_ashrrev_i32_e32 v1, 31, v0
	v_lshl_add_u64 v[10:11], v[0:1], 2, s[6:7]
	global_load_dword v1, v[10:11], off
	v_subrev_u32_e32 v8, 23, v6
	v_add_u32_e32 v10, -15, v6
	v_add_u32_e32 v14, -7, v6
	v_mov_b32_e32 v11, v9
	v_mov_b32_e32 v15, v9
	v_lshl_add_u64 v[24:25], v[8:9], 2, s[8:9]
	v_add_u32_e32 v8, -14, v6
	v_mov_b32_e32 v7, v9
	v_lshl_add_u64 v[10:11], v[10:11], 2, s[8:9]
	v_lshl_add_u64 v[26:27], v[14:15], 2, s[8:9]
	global_load_dwordx4 v[14:17], v[24:25], off offset:16
	global_load_dwordx4 v[18:21], v[24:25], off
	v_lshl_add_u64 v[24:25], v[8:9], 2, s[8:9]
	v_add_u32_e32 v8, -6, v6
	v_lshl_add_u64 v[30:31], v[6:7], 2, s[8:9]
	global_load_dword v33, v[10:11], off
	global_load_dword v7, v[26:27], off
	v_lshl_add_u64 v[10:11], v[8:9], 2, s[8:9]
	v_add_u32_e32 v8, -13, v6
	global_load_dword v35, v[24:25], off
	global_load_dword v50, v[10:11], off
	v_lshl_add_u64 v[24:25], v[8:9], 2, s[8:9]
	v_add_u32_e32 v8, -5, v6
	v_lshl_add_u64 v[10:11], v[8:9], 2, s[8:9]
	v_add_u32_e32 v8, -12, v6
	global_load_dword v37, v[24:25], off
	global_load_dword v51, v[10:11], off
	v_lshl_add_u64 v[24:25], v[8:9], 2, s[8:9]
	v_add_u32_e32 v8, -4, v6
	v_lshl_add_u64 v[10:11], v[8:9], 2, s[8:9]
	v_add_u32_e32 v8, -11, v6
	global_load_dword v39, v[24:25], off
	global_load_dword v52, v[10:11], off
	v_lshl_add_u64 v[10:11], v[8:9], 2, s[8:9]
	v_add_u32_e32 v8, -3, v6
	v_lshl_add_u64 v[24:25], v[8:9], 2, s[8:9]
	v_add_u32_e32 v8, -10, v6
	v_mov_b32_e32 v23, v9
	v_lshl_add_u64 v[26:27], v[8:9], 2, s[8:9]
	v_add_u32_e32 v8, -2, v6
	global_load_dword v11, v[10:11], off
	v_add_u32_e32 v0, 4, v0
	global_load_dword v53, v[24:25], off
	v_lshl_add_u64 v[24:25], v[8:9], 2, s[8:9]
	global_load_dword v41, v[26:27], off
	global_load_dword v54, v[24:25], off
	v_add_u32_e32 v8, -9, v6
	v_lshl_add_u64 v[42:43], v[8:9], 2, s[8:9]
	v_add_u32_e32 v8, -1, v6
	v_cmp_ge_i32_e32 vcc, v0, v12
	s_or_b64 s[2:3], vcc, s[2:3]
	s_waitcnt vmcnt(14)
	v_subrev_u32_e32 v1, s16, v1
	v_lshlrev_b32_e32 v22, 3, v1
	v_lshl_add_u64 v[44:45], v[22:23], 2, s[10:11]
	global_load_dwordx4 v[22:25], v[44:45], off
	global_load_dwordx4 v[26:29], v[44:45], off offset:16
	v_lshl_add_u64 v[44:45], v[8:9], 2, s[8:9]
	v_add_u32_e32 v8, -8, v6
	global_load_dword v43, v[42:43], off
	v_lshl_add_u64 v[46:47], v[8:9], 2, s[8:9]
	global_load_dword v1, v[44:45], off
	global_load_dword v49, v[46:47], off
	;; [unrolled: 1-line block ×3, first 2 shown]
	v_add_u32_e32 v6, 0x60, v6
	s_waitcnt vmcnt(19)
	v_mov_b32_e32 v10, v14
	s_waitcnt vmcnt(18)
	v_mov_b32_e32 v32, v18
	v_mov_b32_e32 v34, v19
	;; [unrolled: 1-line block ×7, first 2 shown]
	s_waitcnt vmcnt(5)
	v_fmac_f32_e32 v13, v7, v22
	v_pk_fma_f32 v[4:5], v[32:33], v[22:23], v[4:5] op_sel_hi:[1,0,1]
	v_fmac_f32_e32 v13, v50, v23
	v_pk_fma_f32 v[4:5], v[34:35], v[22:23], v[4:5] op_sel:[0,1,0]
	v_mov_b32_e32 v8, v25
	v_fmac_f32_e32 v13, v51, v24
	v_pk_fma_f32 v[4:5], v[36:37], v[24:25], v[4:5] op_sel_hi:[1,0,1]
	v_fmac_f32_e32 v13, v52, v25
	v_pk_fma_f32 v[4:5], v[38:39], v[8:9], v[4:5] op_sel_hi:[1,0,1]
	s_waitcnt vmcnt(4)
	v_fmac_f32_e32 v13, v53, v26
	v_pk_fma_f32 v[4:5], v[10:11], v[26:27], v[4:5] op_sel_hi:[1,0,1]
	v_fmac_f32_e32 v13, v54, v27
	v_pk_fma_f32 v[4:5], v[40:41], v[26:27], v[4:5] op_sel:[0,1,0]
	v_mov_b32_e32 v14, v29
	s_waitcnt vmcnt(3)
	v_pk_fma_f32 v[4:5], v[42:43], v[28:29], v[4:5] op_sel_hi:[1,0,1]
	s_waitcnt vmcnt(2)
	v_fmac_f32_e32 v13, v1, v28
	s_waitcnt vmcnt(1)
	v_pk_fma_f32 v[4:5], v[48:49], v[14:15], v[4:5] op_sel_hi:[1,0,1]
	s_waitcnt vmcnt(0)
	v_fmac_f32_e32 v13, v55, v29
	s_andn2_b64 exec, exec, s[2:3]
	s_cbranch_execnz .LBB30_15
; %bb.16:
	s_or_b64 exec, exec, s[2:3]
.LBB30_17:
	s_or_b64 exec, exec, s[4:5]
.LBB30_18:
	v_mov_b32_dpp v0, v4 row_shr:1 row_mask:0xf bank_mask:0xf
	v_mov_b32_dpp v1, v5 row_shr:1 row_mask:0xf bank_mask:0xf
	;; [unrolled: 1-line block ×3, first 2 shown]
	v_pk_add_f32 v[0:1], v[4:5], v[0:1]
	v_add_f32_e32 v6, v13, v6
	v_cmp_eq_u32_e32 vcc, 3, v3
	v_mov_b32_dpp v4, v0 row_shr:2 row_mask:0xf bank_mask:0xf
	v_mov_b32_dpp v5, v1 row_shr:2 row_mask:0xf bank_mask:0xf
	;; [unrolled: 1-line block ×3, first 2 shown]
	s_and_b64 exec, exec, vcc
	s_cbranch_execz .LBB30_22
; %bb.19:
	s_load_dwordx2 s[0:1], s[0:1], 0x38
	v_pk_add_f32 v[4:5], v[0:1], v[4:5]
	v_add_f32_e32 v0, v6, v7
	v_cmp_eq_f32_e64 s[2:3], s12, 0
	v_lshl_add_u32 v6, v2, 1, v2
	s_and_b64 vcc, exec, s[2:3]
	v_mul_f32_e32 v2, s14, v0
	v_ashrrev_i32_e32 v7, 31, v6
	s_cbranch_vccz .LBB30_23
; %bb.20:
	s_waitcnt lgkmcnt(0)
	v_lshl_add_u64 v[8:9], v[6:7], 2, s[0:1]
	v_pk_mul_f32 v[0:1], s[14:15], v[4:5] op_sel_hi:[0,1]
	global_store_dwordx3 v[8:9], v[0:2], off
	s_cbranch_execnz .LBB30_22
.LBB30_21:
	s_waitcnt lgkmcnt(0)
	v_lshl_add_u64 v[10:11], v[6:7], 2, s[0:1]
	global_load_dwordx3 v[6:8], v[10:11], off
	v_pk_mul_f32 v[0:1], s[14:15], v[4:5] op_sel_hi:[0,1]
	s_waitcnt vmcnt(0)
	v_pk_fma_f32 v[0:1], s[12:13], v[6:7], v[0:1] op_sel_hi:[0,1,1]
	v_fmac_f32_e32 v2, s12, v8
	global_store_dwordx3 v[10:11], v[0:2], off
.LBB30_22:
	s_endpgm
.LBB30_23:
	s_branch .LBB30_21
	.section	.rodata,"a",@progbits
	.p2align	6, 0x0
	.amdhsa_kernel _ZN9rocsparseL19gebsrmvn_3xn_kernelILj128ELj8ELj4EfEEvi20rocsparse_direction_NS_24const_host_device_scalarIT2_EEPKiS6_PKS3_S8_S4_PS3_21rocsparse_index_base_b
		.amdhsa_group_segment_fixed_size 0
		.amdhsa_private_segment_fixed_size 0
		.amdhsa_kernarg_size 72
		.amdhsa_user_sgpr_count 2
		.amdhsa_user_sgpr_dispatch_ptr 0
		.amdhsa_user_sgpr_queue_ptr 0
		.amdhsa_user_sgpr_kernarg_segment_ptr 1
		.amdhsa_user_sgpr_dispatch_id 0
		.amdhsa_user_sgpr_kernarg_preload_length 0
		.amdhsa_user_sgpr_kernarg_preload_offset 0
		.amdhsa_user_sgpr_private_segment_size 0
		.amdhsa_uses_dynamic_stack 0
		.amdhsa_enable_private_segment 0
		.amdhsa_system_sgpr_workgroup_id_x 1
		.amdhsa_system_sgpr_workgroup_id_y 0
		.amdhsa_system_sgpr_workgroup_id_z 0
		.amdhsa_system_sgpr_workgroup_info 0
		.amdhsa_system_vgpr_workitem_id 0
		.amdhsa_next_free_vgpr 56
		.amdhsa_next_free_sgpr 20
		.amdhsa_accum_offset 56
		.amdhsa_reserve_vcc 1
		.amdhsa_float_round_mode_32 0
		.amdhsa_float_round_mode_16_64 0
		.amdhsa_float_denorm_mode_32 3
		.amdhsa_float_denorm_mode_16_64 3
		.amdhsa_dx10_clamp 1
		.amdhsa_ieee_mode 1
		.amdhsa_fp16_overflow 0
		.amdhsa_tg_split 0
		.amdhsa_exception_fp_ieee_invalid_op 0
		.amdhsa_exception_fp_denorm_src 0
		.amdhsa_exception_fp_ieee_div_zero 0
		.amdhsa_exception_fp_ieee_overflow 0
		.amdhsa_exception_fp_ieee_underflow 0
		.amdhsa_exception_fp_ieee_inexact 0
		.amdhsa_exception_int_div_zero 0
	.end_amdhsa_kernel
	.section	.text._ZN9rocsparseL19gebsrmvn_3xn_kernelILj128ELj8ELj4EfEEvi20rocsparse_direction_NS_24const_host_device_scalarIT2_EEPKiS6_PKS3_S8_S4_PS3_21rocsparse_index_base_b,"axG",@progbits,_ZN9rocsparseL19gebsrmvn_3xn_kernelILj128ELj8ELj4EfEEvi20rocsparse_direction_NS_24const_host_device_scalarIT2_EEPKiS6_PKS3_S8_S4_PS3_21rocsparse_index_base_b,comdat
.Lfunc_end30:
	.size	_ZN9rocsparseL19gebsrmvn_3xn_kernelILj128ELj8ELj4EfEEvi20rocsparse_direction_NS_24const_host_device_scalarIT2_EEPKiS6_PKS3_S8_S4_PS3_21rocsparse_index_base_b, .Lfunc_end30-_ZN9rocsparseL19gebsrmvn_3xn_kernelILj128ELj8ELj4EfEEvi20rocsparse_direction_NS_24const_host_device_scalarIT2_EEPKiS6_PKS3_S8_S4_PS3_21rocsparse_index_base_b
                                        ; -- End function
	.section	.AMDGPU.csdata,"",@progbits
; Kernel info:
; codeLenInByte = 1732
; NumSgprs: 26
; NumVgprs: 56
; NumAgprs: 0
; TotalNumVgprs: 56
; ScratchSize: 0
; MemoryBound: 0
; FloatMode: 240
; IeeeMode: 1
; LDSByteSize: 0 bytes/workgroup (compile time only)
; SGPRBlocks: 3
; VGPRBlocks: 6
; NumSGPRsForWavesPerEU: 26
; NumVGPRsForWavesPerEU: 56
; AccumOffset: 56
; Occupancy: 8
; WaveLimiterHint : 1
; COMPUTE_PGM_RSRC2:SCRATCH_EN: 0
; COMPUTE_PGM_RSRC2:USER_SGPR: 2
; COMPUTE_PGM_RSRC2:TRAP_HANDLER: 0
; COMPUTE_PGM_RSRC2:TGID_X_EN: 1
; COMPUTE_PGM_RSRC2:TGID_Y_EN: 0
; COMPUTE_PGM_RSRC2:TGID_Z_EN: 0
; COMPUTE_PGM_RSRC2:TIDIG_COMP_CNT: 0
; COMPUTE_PGM_RSRC3_GFX90A:ACCUM_OFFSET: 13
; COMPUTE_PGM_RSRC3_GFX90A:TG_SPLIT: 0
	.section	.text._ZN9rocsparseL19gebsrmvn_3xn_kernelILj128ELj8ELj8EfEEvi20rocsparse_direction_NS_24const_host_device_scalarIT2_EEPKiS6_PKS3_S8_S4_PS3_21rocsparse_index_base_b,"axG",@progbits,_ZN9rocsparseL19gebsrmvn_3xn_kernelILj128ELj8ELj8EfEEvi20rocsparse_direction_NS_24const_host_device_scalarIT2_EEPKiS6_PKS3_S8_S4_PS3_21rocsparse_index_base_b,comdat
	.globl	_ZN9rocsparseL19gebsrmvn_3xn_kernelILj128ELj8ELj8EfEEvi20rocsparse_direction_NS_24const_host_device_scalarIT2_EEPKiS6_PKS3_S8_S4_PS3_21rocsparse_index_base_b ; -- Begin function _ZN9rocsparseL19gebsrmvn_3xn_kernelILj128ELj8ELj8EfEEvi20rocsparse_direction_NS_24const_host_device_scalarIT2_EEPKiS6_PKS3_S8_S4_PS3_21rocsparse_index_base_b
	.p2align	8
	.type	_ZN9rocsparseL19gebsrmvn_3xn_kernelILj128ELj8ELj8EfEEvi20rocsparse_direction_NS_24const_host_device_scalarIT2_EEPKiS6_PKS3_S8_S4_PS3_21rocsparse_index_base_b,@function
_ZN9rocsparseL19gebsrmvn_3xn_kernelILj128ELj8ELj8EfEEvi20rocsparse_direction_NS_24const_host_device_scalarIT2_EEPKiS6_PKS3_S8_S4_PS3_21rocsparse_index_base_b: ; @_ZN9rocsparseL19gebsrmvn_3xn_kernelILj128ELj8ELj8EfEEvi20rocsparse_direction_NS_24const_host_device_scalarIT2_EEPKiS6_PKS3_S8_S4_PS3_21rocsparse_index_base_b
; %bb.0:
	s_load_dwordx2 s[16:17], s[0:1], 0x40
	s_load_dwordx2 s[14:15], s[0:1], 0x8
	;; [unrolled: 1-line block ×3, first 2 shown]
	s_waitcnt lgkmcnt(0)
	s_bitcmp1_b32 s17, 0
	s_cselect_b64 s[6:7], -1, 0
	s_xor_b64 s[4:5], s[6:7], -1
	s_and_b64 vcc, exec, s[6:7]
	s_cbranch_vccnz .LBB31_2
; %bb.1:
	s_load_dword s14, s[14:15], 0x0
.LBB31_2:
	s_andn2_b64 vcc, exec, s[4:5]
	s_cbranch_vccnz .LBB31_4
; %bb.3:
	s_load_dword s12, s[12:13], 0x0
.LBB31_4:
	s_waitcnt lgkmcnt(0)
	v_cmp_eq_f32_e64 s[4:5], s14, 0
	v_cmp_eq_f32_e64 s[6:7], s12, 1.0
	s_and_b64 s[4:5], s[4:5], s[6:7]
	s_and_b64 vcc, exec, s[4:5]
	s_cbranch_vccnz .LBB31_22
; %bb.5:
	s_load_dwordx2 s[18:19], s[0:1], 0x0
	v_lshrrev_b32_e32 v1, 3, v0
	v_lshl_or_b32 v2, s2, 4, v1
	s_waitcnt lgkmcnt(0)
	v_cmp_gt_i32_e32 vcc, s18, v2
	s_and_saveexec_b64 s[2:3], vcc
	s_cbranch_execz .LBB31_22
; %bb.6:
	s_load_dwordx8 s[4:11], s[0:1], 0x10
	v_ashrrev_i32_e32 v3, 31, v2
	s_cmp_lg_u32 s19, 0
	s_waitcnt lgkmcnt(0)
	v_lshl_add_u64 v[4:5], v[2:3], 2, s[4:5]
	global_load_dwordx2 v[4:5], v[4:5], off
	v_and_b32_e32 v3, 7, v0
	s_waitcnt vmcnt(0)
	v_subrev_u32_e32 v0, s16, v4
	v_subrev_u32_e32 v13, s16, v5
	v_add_u32_e32 v0, v0, v3
	v_cmp_lt_i32_e64 s[2:3], v0, v13
	s_cbranch_scc0 .LBB31_12
; %bb.7:
	v_mov_b32_e32 v5, 0
	v_mov_b32_e32 v4, v5
	v_mov_b32_e32 v12, v5
	s_and_saveexec_b64 s[4:5], s[2:3]
	s_cbranch_execz .LBB31_11
; %bb.8:
	v_mad_u64_u32 v[6:7], s[18:19], v0, 24, 23
	v_mov_b32_e32 v9, 0
	s_mov_b64 s[18:19], 0
	v_mov_b32_e32 v10, v0
	v_mov_b32_e32 v12, 0
	;; [unrolled: 1-line block ×4, first 2 shown]
.LBB31_9:                               ; =>This Inner Loop Header: Depth=1
	v_ashrrev_i32_e32 v11, 31, v10
	v_lshl_add_u64 v[14:15], v[10:11], 2, s[6:7]
	global_load_dword v1, v[14:15], off
	v_subrev_u32_e32 v8, 23, v6
	v_lshl_add_u64 v[24:25], v[8:9], 2, s[8:9]
	v_add_u32_e32 v8, -15, v6
	global_load_dwordx4 v[14:17], v[24:25], off offset:16
	global_load_dwordx4 v[18:21], v[24:25], off
	v_lshl_add_u64 v[24:25], v[8:9], 2, s[8:9]
	v_add_u32_e32 v8, -14, v6
	v_mov_b32_e32 v7, v9
	v_lshl_add_u64 v[26:27], v[8:9], 2, s[8:9]
	v_add_u32_e32 v8, -13, v6
	v_lshl_add_u64 v[30:31], v[6:7], 2, s[8:9]
	global_load_dword v7, v[24:25], off
	global_load_dword v32, v[26:27], off
	v_lshl_add_u64 v[24:25], v[8:9], 2, s[8:9]
	v_add_u32_e32 v8, -12, v6
	v_lshl_add_u64 v[26:27], v[8:9], 2, s[8:9]
	v_add_u32_e32 v8, -11, v6
	global_load_dword v33, v[24:25], off
	global_load_dword v11, v[26:27], off
	v_lshl_add_u64 v[24:25], v[8:9], 2, s[8:9]
	v_add_u32_e32 v8, -10, v6
	v_lshl_add_u64 v[26:27], v[8:9], 2, s[8:9]
	v_add_u32_e32 v8, -9, v6
	;; [unrolled: 6-line block ×4, first 2 shown]
	v_mov_b32_e32 v23, v9
	global_load_dword v37, v[24:25], off
	global_load_dword v47, v[26:27], off
	v_lshl_add_u64 v[24:25], v[8:9], 2, s[8:9]
	v_add_u32_e32 v8, -4, v6
	v_lshl_add_u64 v[26:27], v[8:9], 2, s[8:9]
	global_load_dword v38, v[24:25], off
	global_load_dword v39, v[26:27], off
	v_add_u32_e32 v8, -3, v6
	v_lshl_add_u64 v[40:41], v[8:9], 2, s[8:9]
	v_add_u32_e32 v8, -2, v6
	v_add_u32_e32 v10, 8, v10
	v_cmp_ge_i32_e32 vcc, v10, v13
	s_or_b64 s[18:19], vcc, s[18:19]
	s_waitcnt vmcnt(14)
	v_subrev_u32_e32 v1, s16, v1
	v_lshlrev_b32_e32 v22, 3, v1
	v_lshl_add_u64 v[42:43], v[22:23], 2, s[10:11]
	global_load_dwordx4 v[22:25], v[42:43], off
	global_load_dwordx4 v[26:29], v[42:43], off offset:16
	v_lshl_add_u64 v[42:43], v[8:9], 2, s[8:9]
	v_add_u32_e32 v8, -1, v6
	global_load_dword v1, v[40:41], off
	v_lshl_add_u64 v[40:41], v[8:9], 2, s[8:9]
	global_load_dword v44, v[42:43], off
	global_load_dword v45, v[40:41], off
	;; [unrolled: 1-line block ×3, first 2 shown]
	s_waitcnt vmcnt(18)
	v_mov_b32_e32 v30, v21
	v_mov_b32_e32 v31, v14
	v_add_u32_e32 v6, 0xc0, v6
	s_waitcnt vmcnt(5)
	v_fmac_f32_e32 v12, v20, v22
	v_pk_fma_f32 v[4:5], v[18:19], v[22:23], v[4:5] op_sel_hi:[1,0,1]
	v_fmac_f32_e32 v12, v15, v23
	v_pk_fma_f32 v[4:5], v[30:31], v[22:23], v[4:5] op_sel:[0,1,0]
	v_mov_b32_e32 v8, v25
	v_pk_fma_f32 v[4:5], v[16:17], v[24:25], v[4:5] op_sel_hi:[1,0,1]
	v_fmac_f32_e32 v12, v7, v24
	v_fmac_f32_e32 v12, v11, v25
	v_pk_fma_f32 v[4:5], v[32:33], v[8:9], v[4:5] op_sel_hi:[1,0,1]
	s_waitcnt vmcnt(4)
	v_fmac_f32_e32 v12, v46, v26
	v_pk_fma_f32 v[4:5], v[34:35], v[26:27], v[4:5] op_sel_hi:[1,0,1]
	v_fmac_f32_e32 v12, v47, v27
	v_pk_fma_f32 v[4:5], v[36:37], v[26:27], v[4:5] op_sel:[0,1,0]
	v_mov_b32_e32 v14, v29
	v_pk_fma_f32 v[4:5], v[38:39], v[28:29], v[4:5] op_sel_hi:[1,0,1]
	s_waitcnt vmcnt(3)
	v_fmac_f32_e32 v12, v1, v28
	s_waitcnt vmcnt(1)
	v_pk_fma_f32 v[4:5], v[44:45], v[14:15], v[4:5] op_sel_hi:[1,0,1]
	s_waitcnt vmcnt(0)
	v_fmac_f32_e32 v12, v48, v29
	s_andn2_b64 exec, exec, s[18:19]
	s_cbranch_execnz .LBB31_9
; %bb.10:
	s_or_b64 exec, exec, s[18:19]
.LBB31_11:
	s_or_b64 exec, exec, s[4:5]
	s_cbranch_execz .LBB31_13
	s_branch .LBB31_18
.LBB31_12:
                                        ; implicit-def: $vgpr5
                                        ; implicit-def: $vgpr12
.LBB31_13:
	v_mov_b32_e32 v5, 0
	v_mov_b32_e32 v4, v5
	;; [unrolled: 1-line block ×3, first 2 shown]
	s_and_saveexec_b64 s[4:5], s[2:3]
	s_cbranch_execz .LBB31_17
; %bb.14:
	v_mad_u64_u32 v[6:7], s[2:3], v0, 24, 23
	v_mov_b32_e32 v9, 0
	s_mov_b64 s[2:3], 0
	v_mov_b32_e32 v12, 0
	v_mov_b32_e32 v4, v9
	;; [unrolled: 1-line block ×3, first 2 shown]
.LBB31_15:                              ; =>This Inner Loop Header: Depth=1
	v_ashrrev_i32_e32 v1, 31, v0
	v_lshl_add_u64 v[10:11], v[0:1], 2, s[6:7]
	global_load_dword v1, v[10:11], off
	v_subrev_u32_e32 v8, 23, v6
	v_add_u32_e32 v10, -15, v6
	v_add_u32_e32 v14, -7, v6
	v_mov_b32_e32 v11, v9
	v_mov_b32_e32 v15, v9
	v_lshl_add_u64 v[24:25], v[8:9], 2, s[8:9]
	v_add_u32_e32 v8, -14, v6
	v_mov_b32_e32 v7, v9
	v_lshl_add_u64 v[10:11], v[10:11], 2, s[8:9]
	v_lshl_add_u64 v[26:27], v[14:15], 2, s[8:9]
	global_load_dwordx4 v[14:17], v[24:25], off offset:16
	global_load_dwordx4 v[18:21], v[24:25], off
	v_lshl_add_u64 v[24:25], v[8:9], 2, s[8:9]
	v_add_u32_e32 v8, -6, v6
	v_lshl_add_u64 v[30:31], v[6:7], 2, s[8:9]
	global_load_dword v33, v[10:11], off
	global_load_dword v7, v[26:27], off
	v_lshl_add_u64 v[10:11], v[8:9], 2, s[8:9]
	v_add_u32_e32 v8, -13, v6
	global_load_dword v35, v[24:25], off
	global_load_dword v50, v[10:11], off
	v_lshl_add_u64 v[24:25], v[8:9], 2, s[8:9]
	v_add_u32_e32 v8, -5, v6
	v_lshl_add_u64 v[10:11], v[8:9], 2, s[8:9]
	v_add_u32_e32 v8, -12, v6
	global_load_dword v37, v[24:25], off
	global_load_dword v51, v[10:11], off
	v_lshl_add_u64 v[24:25], v[8:9], 2, s[8:9]
	v_add_u32_e32 v8, -4, v6
	;; [unrolled: 6-line block ×3, first 2 shown]
	v_lshl_add_u64 v[24:25], v[8:9], 2, s[8:9]
	v_add_u32_e32 v8, -10, v6
	v_mov_b32_e32 v23, v9
	v_lshl_add_u64 v[26:27], v[8:9], 2, s[8:9]
	v_add_u32_e32 v8, -2, v6
	global_load_dword v11, v[10:11], off
	v_add_u32_e32 v0, 8, v0
	global_load_dword v53, v[24:25], off
	v_lshl_add_u64 v[24:25], v[8:9], 2, s[8:9]
	global_load_dword v41, v[26:27], off
	global_load_dword v54, v[24:25], off
	v_add_u32_e32 v8, -9, v6
	v_lshl_add_u64 v[42:43], v[8:9], 2, s[8:9]
	v_add_u32_e32 v8, -1, v6
	v_cmp_ge_i32_e32 vcc, v0, v13
	s_or_b64 s[2:3], vcc, s[2:3]
	s_waitcnt vmcnt(14)
	v_subrev_u32_e32 v1, s16, v1
	v_lshlrev_b32_e32 v22, 3, v1
	v_lshl_add_u64 v[44:45], v[22:23], 2, s[10:11]
	global_load_dwordx4 v[22:25], v[44:45], off
	global_load_dwordx4 v[26:29], v[44:45], off offset:16
	v_lshl_add_u64 v[44:45], v[8:9], 2, s[8:9]
	v_add_u32_e32 v8, -8, v6
	global_load_dword v43, v[42:43], off
	v_lshl_add_u64 v[46:47], v[8:9], 2, s[8:9]
	global_load_dword v1, v[44:45], off
	global_load_dword v49, v[46:47], off
	;; [unrolled: 1-line block ×3, first 2 shown]
	v_add_u32_e32 v6, 0xc0, v6
	s_waitcnt vmcnt(19)
	v_mov_b32_e32 v10, v14
	s_waitcnt vmcnt(18)
	v_mov_b32_e32 v32, v18
	v_mov_b32_e32 v34, v19
	;; [unrolled: 1-line block ×7, first 2 shown]
	s_waitcnt vmcnt(5)
	v_fmac_f32_e32 v12, v7, v22
	v_pk_fma_f32 v[4:5], v[32:33], v[22:23], v[4:5] op_sel_hi:[1,0,1]
	v_fmac_f32_e32 v12, v50, v23
	v_pk_fma_f32 v[4:5], v[34:35], v[22:23], v[4:5] op_sel:[0,1,0]
	v_mov_b32_e32 v8, v25
	v_pk_fma_f32 v[4:5], v[36:37], v[24:25], v[4:5] op_sel_hi:[1,0,1]
	v_fmac_f32_e32 v12, v51, v24
	v_fmac_f32_e32 v12, v52, v25
	v_pk_fma_f32 v[4:5], v[38:39], v[8:9], v[4:5] op_sel_hi:[1,0,1]
	s_waitcnt vmcnt(4)
	v_fmac_f32_e32 v12, v53, v26
	v_pk_fma_f32 v[4:5], v[10:11], v[26:27], v[4:5] op_sel_hi:[1,0,1]
	v_fmac_f32_e32 v12, v54, v27
	v_pk_fma_f32 v[4:5], v[40:41], v[26:27], v[4:5] op_sel:[0,1,0]
	v_mov_b32_e32 v14, v29
	s_waitcnt vmcnt(3)
	v_pk_fma_f32 v[4:5], v[42:43], v[28:29], v[4:5] op_sel_hi:[1,0,1]
	s_waitcnt vmcnt(2)
	v_fmac_f32_e32 v12, v1, v28
	s_waitcnt vmcnt(1)
	v_pk_fma_f32 v[4:5], v[48:49], v[14:15], v[4:5] op_sel_hi:[1,0,1]
	s_waitcnt vmcnt(0)
	v_fmac_f32_e32 v12, v55, v29
	s_andn2_b64 exec, exec, s[2:3]
	s_cbranch_execnz .LBB31_15
; %bb.16:
	s_or_b64 exec, exec, s[2:3]
.LBB31_17:
	s_or_b64 exec, exec, s[4:5]
.LBB31_18:
	v_mov_b32_dpp v0, v4 row_shr:1 row_mask:0xf bank_mask:0xf
	v_mov_b32_dpp v1, v5 row_shr:1 row_mask:0xf bank_mask:0xf
	;; [unrolled: 1-line block ×3, first 2 shown]
	v_pk_add_f32 v[0:1], v[4:5], v[0:1]
	v_add_f32_e32 v6, v12, v6
	v_cmp_eq_u32_e32 vcc, 7, v3
	v_mov_b32_dpp v4, v0 row_shr:2 row_mask:0xf bank_mask:0xf
	v_mov_b32_dpp v5, v1 row_shr:2 row_mask:0xf bank_mask:0xf
	;; [unrolled: 1-line block ×3, first 2 shown]
	v_pk_add_f32 v[0:1], v[0:1], v[4:5]
	v_add_f32_e32 v6, v6, v7
	s_nop 0
	v_mov_b32_dpp v4, v0 row_shr:4 row_mask:0xf bank_mask:0xe
	v_mov_b32_dpp v5, v1 row_shr:4 row_mask:0xf bank_mask:0xe
	;; [unrolled: 1-line block ×3, first 2 shown]
	s_and_b64 exec, exec, vcc
	s_cbranch_execz .LBB31_22
; %bb.19:
	s_load_dwordx2 s[0:1], s[0:1], 0x38
	v_pk_add_f32 v[4:5], v[0:1], v[4:5]
	v_add_f32_e32 v0, v6, v7
	v_cmp_eq_f32_e64 s[2:3], s12, 0
	v_lshl_add_u32 v6, v2, 1, v2
	s_and_b64 vcc, exec, s[2:3]
	v_mul_f32_e32 v2, s14, v0
	v_ashrrev_i32_e32 v7, 31, v6
	s_cbranch_vccz .LBB31_23
; %bb.20:
	s_waitcnt lgkmcnt(0)
	v_lshl_add_u64 v[8:9], v[6:7], 2, s[0:1]
	v_pk_mul_f32 v[0:1], s[14:15], v[4:5] op_sel_hi:[0,1]
	global_store_dwordx3 v[8:9], v[0:2], off
	s_cbranch_execnz .LBB31_22
.LBB31_21:
	s_waitcnt lgkmcnt(0)
	v_lshl_add_u64 v[10:11], v[6:7], 2, s[0:1]
	global_load_dwordx3 v[6:8], v[10:11], off
	v_pk_mul_f32 v[0:1], s[14:15], v[4:5] op_sel_hi:[0,1]
	s_waitcnt vmcnt(0)
	v_pk_fma_f32 v[0:1], s[12:13], v[6:7], v[0:1] op_sel_hi:[0,1,1]
	v_fmac_f32_e32 v2, s12, v8
	global_store_dwordx3 v[10:11], v[0:2], off
.LBB31_22:
	s_endpgm
.LBB31_23:
	s_branch .LBB31_21
	.section	.rodata,"a",@progbits
	.p2align	6, 0x0
	.amdhsa_kernel _ZN9rocsparseL19gebsrmvn_3xn_kernelILj128ELj8ELj8EfEEvi20rocsparse_direction_NS_24const_host_device_scalarIT2_EEPKiS6_PKS3_S8_S4_PS3_21rocsparse_index_base_b
		.amdhsa_group_segment_fixed_size 0
		.amdhsa_private_segment_fixed_size 0
		.amdhsa_kernarg_size 72
		.amdhsa_user_sgpr_count 2
		.amdhsa_user_sgpr_dispatch_ptr 0
		.amdhsa_user_sgpr_queue_ptr 0
		.amdhsa_user_sgpr_kernarg_segment_ptr 1
		.amdhsa_user_sgpr_dispatch_id 0
		.amdhsa_user_sgpr_kernarg_preload_length 0
		.amdhsa_user_sgpr_kernarg_preload_offset 0
		.amdhsa_user_sgpr_private_segment_size 0
		.amdhsa_uses_dynamic_stack 0
		.amdhsa_enable_private_segment 0
		.amdhsa_system_sgpr_workgroup_id_x 1
		.amdhsa_system_sgpr_workgroup_id_y 0
		.amdhsa_system_sgpr_workgroup_id_z 0
		.amdhsa_system_sgpr_workgroup_info 0
		.amdhsa_system_vgpr_workitem_id 0
		.amdhsa_next_free_vgpr 56
		.amdhsa_next_free_sgpr 20
		.amdhsa_accum_offset 56
		.amdhsa_reserve_vcc 1
		.amdhsa_float_round_mode_32 0
		.amdhsa_float_round_mode_16_64 0
		.amdhsa_float_denorm_mode_32 3
		.amdhsa_float_denorm_mode_16_64 3
		.amdhsa_dx10_clamp 1
		.amdhsa_ieee_mode 1
		.amdhsa_fp16_overflow 0
		.amdhsa_tg_split 0
		.amdhsa_exception_fp_ieee_invalid_op 0
		.amdhsa_exception_fp_denorm_src 0
		.amdhsa_exception_fp_ieee_div_zero 0
		.amdhsa_exception_fp_ieee_overflow 0
		.amdhsa_exception_fp_ieee_underflow 0
		.amdhsa_exception_fp_ieee_inexact 0
		.amdhsa_exception_int_div_zero 0
	.end_amdhsa_kernel
	.section	.text._ZN9rocsparseL19gebsrmvn_3xn_kernelILj128ELj8ELj8EfEEvi20rocsparse_direction_NS_24const_host_device_scalarIT2_EEPKiS6_PKS3_S8_S4_PS3_21rocsparse_index_base_b,"axG",@progbits,_ZN9rocsparseL19gebsrmvn_3xn_kernelILj128ELj8ELj8EfEEvi20rocsparse_direction_NS_24const_host_device_scalarIT2_EEPKiS6_PKS3_S8_S4_PS3_21rocsparse_index_base_b,comdat
.Lfunc_end31:
	.size	_ZN9rocsparseL19gebsrmvn_3xn_kernelILj128ELj8ELj8EfEEvi20rocsparse_direction_NS_24const_host_device_scalarIT2_EEPKiS6_PKS3_S8_S4_PS3_21rocsparse_index_base_b, .Lfunc_end31-_ZN9rocsparseL19gebsrmvn_3xn_kernelILj128ELj8ELj8EfEEvi20rocsparse_direction_NS_24const_host_device_scalarIT2_EEPKiS6_PKS3_S8_S4_PS3_21rocsparse_index_base_b
                                        ; -- End function
	.section	.AMDGPU.csdata,"",@progbits
; Kernel info:
; codeLenInByte = 1772
; NumSgprs: 26
; NumVgprs: 56
; NumAgprs: 0
; TotalNumVgprs: 56
; ScratchSize: 0
; MemoryBound: 0
; FloatMode: 240
; IeeeMode: 1
; LDSByteSize: 0 bytes/workgroup (compile time only)
; SGPRBlocks: 3
; VGPRBlocks: 6
; NumSGPRsForWavesPerEU: 26
; NumVGPRsForWavesPerEU: 56
; AccumOffset: 56
; Occupancy: 8
; WaveLimiterHint : 1
; COMPUTE_PGM_RSRC2:SCRATCH_EN: 0
; COMPUTE_PGM_RSRC2:USER_SGPR: 2
; COMPUTE_PGM_RSRC2:TRAP_HANDLER: 0
; COMPUTE_PGM_RSRC2:TGID_X_EN: 1
; COMPUTE_PGM_RSRC2:TGID_Y_EN: 0
; COMPUTE_PGM_RSRC2:TGID_Z_EN: 0
; COMPUTE_PGM_RSRC2:TIDIG_COMP_CNT: 0
; COMPUTE_PGM_RSRC3_GFX90A:ACCUM_OFFSET: 13
; COMPUTE_PGM_RSRC3_GFX90A:TG_SPLIT: 0
	.section	.text._ZN9rocsparseL19gebsrmvn_3xn_kernelILj128ELj8ELj16EfEEvi20rocsparse_direction_NS_24const_host_device_scalarIT2_EEPKiS6_PKS3_S8_S4_PS3_21rocsparse_index_base_b,"axG",@progbits,_ZN9rocsparseL19gebsrmvn_3xn_kernelILj128ELj8ELj16EfEEvi20rocsparse_direction_NS_24const_host_device_scalarIT2_EEPKiS6_PKS3_S8_S4_PS3_21rocsparse_index_base_b,comdat
	.globl	_ZN9rocsparseL19gebsrmvn_3xn_kernelILj128ELj8ELj16EfEEvi20rocsparse_direction_NS_24const_host_device_scalarIT2_EEPKiS6_PKS3_S8_S4_PS3_21rocsparse_index_base_b ; -- Begin function _ZN9rocsparseL19gebsrmvn_3xn_kernelILj128ELj8ELj16EfEEvi20rocsparse_direction_NS_24const_host_device_scalarIT2_EEPKiS6_PKS3_S8_S4_PS3_21rocsparse_index_base_b
	.p2align	8
	.type	_ZN9rocsparseL19gebsrmvn_3xn_kernelILj128ELj8ELj16EfEEvi20rocsparse_direction_NS_24const_host_device_scalarIT2_EEPKiS6_PKS3_S8_S4_PS3_21rocsparse_index_base_b,@function
_ZN9rocsparseL19gebsrmvn_3xn_kernelILj128ELj8ELj16EfEEvi20rocsparse_direction_NS_24const_host_device_scalarIT2_EEPKiS6_PKS3_S8_S4_PS3_21rocsparse_index_base_b: ; @_ZN9rocsparseL19gebsrmvn_3xn_kernelILj128ELj8ELj16EfEEvi20rocsparse_direction_NS_24const_host_device_scalarIT2_EEPKiS6_PKS3_S8_S4_PS3_21rocsparse_index_base_b
; %bb.0:
	s_load_dwordx2 s[16:17], s[0:1], 0x40
	s_load_dwordx2 s[14:15], s[0:1], 0x8
	;; [unrolled: 1-line block ×3, first 2 shown]
	s_waitcnt lgkmcnt(0)
	s_bitcmp1_b32 s17, 0
	s_cselect_b64 s[6:7], -1, 0
	s_xor_b64 s[4:5], s[6:7], -1
	s_and_b64 vcc, exec, s[6:7]
	s_cbranch_vccnz .LBB32_2
; %bb.1:
	s_load_dword s14, s[14:15], 0x0
.LBB32_2:
	s_andn2_b64 vcc, exec, s[4:5]
	s_cbranch_vccnz .LBB32_4
; %bb.3:
	s_load_dword s12, s[12:13], 0x0
.LBB32_4:
	s_waitcnt lgkmcnt(0)
	v_cmp_eq_f32_e64 s[4:5], s14, 0
	v_cmp_eq_f32_e64 s[6:7], s12, 1.0
	s_and_b64 s[4:5], s[4:5], s[6:7]
	s_and_b64 vcc, exec, s[4:5]
	s_cbranch_vccnz .LBB32_22
; %bb.5:
	s_load_dwordx2 s[18:19], s[0:1], 0x0
	v_lshrrev_b32_e32 v1, 4, v0
	v_lshl_or_b32 v2, s2, 3, v1
	s_waitcnt lgkmcnt(0)
	v_cmp_gt_i32_e32 vcc, s18, v2
	s_and_saveexec_b64 s[2:3], vcc
	s_cbranch_execz .LBB32_22
; %bb.6:
	s_load_dwordx8 s[4:11], s[0:1], 0x10
	v_ashrrev_i32_e32 v3, 31, v2
	s_cmp_lg_u32 s19, 0
	s_waitcnt lgkmcnt(0)
	v_lshl_add_u64 v[4:5], v[2:3], 2, s[4:5]
	global_load_dwordx2 v[4:5], v[4:5], off
	v_and_b32_e32 v3, 15, v0
	s_waitcnt vmcnt(0)
	v_subrev_u32_e32 v0, s16, v4
	v_subrev_u32_e32 v13, s16, v5
	v_add_u32_e32 v0, v0, v3
	v_cmp_lt_i32_e64 s[2:3], v0, v13
	s_cbranch_scc0 .LBB32_12
; %bb.7:
	v_mov_b32_e32 v5, 0
	v_mov_b32_e32 v4, v5
	;; [unrolled: 1-line block ×3, first 2 shown]
	s_and_saveexec_b64 s[4:5], s[2:3]
	s_cbranch_execz .LBB32_11
; %bb.8:
	v_mad_u64_u32 v[6:7], s[18:19], v0, 24, 23
	v_mov_b32_e32 v9, 0
	s_mov_b64 s[18:19], 0
	v_mov_b32_e32 v10, v0
	v_mov_b32_e32 v12, 0
	;; [unrolled: 1-line block ×4, first 2 shown]
.LBB32_9:                               ; =>This Inner Loop Header: Depth=1
	v_ashrrev_i32_e32 v11, 31, v10
	v_lshl_add_u64 v[14:15], v[10:11], 2, s[6:7]
	global_load_dword v1, v[14:15], off
	v_subrev_u32_e32 v8, 23, v6
	v_lshl_add_u64 v[24:25], v[8:9], 2, s[8:9]
	v_add_u32_e32 v8, -15, v6
	global_load_dwordx4 v[14:17], v[24:25], off offset:16
	global_load_dwordx4 v[18:21], v[24:25], off
	v_lshl_add_u64 v[24:25], v[8:9], 2, s[8:9]
	v_add_u32_e32 v8, -14, v6
	v_mov_b32_e32 v7, v9
	v_lshl_add_u64 v[26:27], v[8:9], 2, s[8:9]
	v_add_u32_e32 v8, -13, v6
	v_lshl_add_u64 v[30:31], v[6:7], 2, s[8:9]
	global_load_dword v7, v[24:25], off
	global_load_dword v32, v[26:27], off
	v_lshl_add_u64 v[24:25], v[8:9], 2, s[8:9]
	v_add_u32_e32 v8, -12, v6
	v_lshl_add_u64 v[26:27], v[8:9], 2, s[8:9]
	v_add_u32_e32 v8, -11, v6
	global_load_dword v33, v[24:25], off
	global_load_dword v11, v[26:27], off
	v_lshl_add_u64 v[24:25], v[8:9], 2, s[8:9]
	v_add_u32_e32 v8, -10, v6
	v_lshl_add_u64 v[26:27], v[8:9], 2, s[8:9]
	v_add_u32_e32 v8, -9, v6
	;; [unrolled: 6-line block ×4, first 2 shown]
	v_mov_b32_e32 v23, v9
	global_load_dword v37, v[24:25], off
	global_load_dword v47, v[26:27], off
	v_lshl_add_u64 v[24:25], v[8:9], 2, s[8:9]
	v_add_u32_e32 v8, -4, v6
	v_lshl_add_u64 v[26:27], v[8:9], 2, s[8:9]
	global_load_dword v38, v[24:25], off
	global_load_dword v39, v[26:27], off
	v_add_u32_e32 v8, -3, v6
	v_lshl_add_u64 v[40:41], v[8:9], 2, s[8:9]
	v_add_u32_e32 v8, -2, v6
	v_add_u32_e32 v10, 16, v10
	v_cmp_ge_i32_e32 vcc, v10, v13
	s_or_b64 s[18:19], vcc, s[18:19]
	s_waitcnt vmcnt(14)
	v_subrev_u32_e32 v1, s16, v1
	v_lshlrev_b32_e32 v22, 3, v1
	v_lshl_add_u64 v[42:43], v[22:23], 2, s[10:11]
	global_load_dwordx4 v[22:25], v[42:43], off
	global_load_dwordx4 v[26:29], v[42:43], off offset:16
	v_lshl_add_u64 v[42:43], v[8:9], 2, s[8:9]
	v_add_u32_e32 v8, -1, v6
	global_load_dword v1, v[40:41], off
	v_lshl_add_u64 v[40:41], v[8:9], 2, s[8:9]
	global_load_dword v44, v[42:43], off
	global_load_dword v45, v[40:41], off
	;; [unrolled: 1-line block ×3, first 2 shown]
	s_waitcnt vmcnt(18)
	v_mov_b32_e32 v30, v21
	v_mov_b32_e32 v31, v14
	v_add_u32_e32 v6, 0x180, v6
	s_waitcnt vmcnt(5)
	v_fmac_f32_e32 v12, v20, v22
	v_pk_fma_f32 v[4:5], v[18:19], v[22:23], v[4:5] op_sel_hi:[1,0,1]
	v_fmac_f32_e32 v12, v15, v23
	v_pk_fma_f32 v[4:5], v[30:31], v[22:23], v[4:5] op_sel:[0,1,0]
	v_mov_b32_e32 v8, v25
	v_fmac_f32_e32 v12, v7, v24
	v_pk_fma_f32 v[4:5], v[16:17], v[24:25], v[4:5] op_sel_hi:[1,0,1]
	v_fmac_f32_e32 v12, v11, v25
	v_pk_fma_f32 v[4:5], v[32:33], v[8:9], v[4:5] op_sel_hi:[1,0,1]
	s_waitcnt vmcnt(4)
	v_fmac_f32_e32 v12, v46, v26
	v_pk_fma_f32 v[4:5], v[34:35], v[26:27], v[4:5] op_sel_hi:[1,0,1]
	v_fmac_f32_e32 v12, v47, v27
	v_pk_fma_f32 v[4:5], v[36:37], v[26:27], v[4:5] op_sel:[0,1,0]
	v_mov_b32_e32 v14, v29
	v_pk_fma_f32 v[4:5], v[38:39], v[28:29], v[4:5] op_sel_hi:[1,0,1]
	s_waitcnt vmcnt(3)
	v_fmac_f32_e32 v12, v1, v28
	s_waitcnt vmcnt(1)
	v_pk_fma_f32 v[4:5], v[44:45], v[14:15], v[4:5] op_sel_hi:[1,0,1]
	s_waitcnt vmcnt(0)
	v_fmac_f32_e32 v12, v48, v29
	s_andn2_b64 exec, exec, s[18:19]
	s_cbranch_execnz .LBB32_9
; %bb.10:
	s_or_b64 exec, exec, s[18:19]
.LBB32_11:
	s_or_b64 exec, exec, s[4:5]
	s_cbranch_execz .LBB32_13
	s_branch .LBB32_18
.LBB32_12:
                                        ; implicit-def: $vgpr5
                                        ; implicit-def: $vgpr12
.LBB32_13:
	v_mov_b32_e32 v5, 0
	v_mov_b32_e32 v4, v5
	;; [unrolled: 1-line block ×3, first 2 shown]
	s_and_saveexec_b64 s[4:5], s[2:3]
	s_cbranch_execz .LBB32_17
; %bb.14:
	v_mad_u64_u32 v[6:7], s[2:3], v0, 24, 23
	v_mov_b32_e32 v9, 0
	s_mov_b64 s[2:3], 0
	v_mov_b32_e32 v12, 0
	v_mov_b32_e32 v4, v9
	;; [unrolled: 1-line block ×3, first 2 shown]
.LBB32_15:                              ; =>This Inner Loop Header: Depth=1
	v_ashrrev_i32_e32 v1, 31, v0
	v_lshl_add_u64 v[10:11], v[0:1], 2, s[6:7]
	global_load_dword v1, v[10:11], off
	v_subrev_u32_e32 v8, 23, v6
	v_add_u32_e32 v10, -15, v6
	v_add_u32_e32 v14, -7, v6
	v_mov_b32_e32 v11, v9
	v_mov_b32_e32 v15, v9
	v_lshl_add_u64 v[24:25], v[8:9], 2, s[8:9]
	v_add_u32_e32 v8, -14, v6
	v_mov_b32_e32 v7, v9
	v_lshl_add_u64 v[10:11], v[10:11], 2, s[8:9]
	v_lshl_add_u64 v[26:27], v[14:15], 2, s[8:9]
	global_load_dwordx4 v[14:17], v[24:25], off offset:16
	global_load_dwordx4 v[18:21], v[24:25], off
	v_lshl_add_u64 v[24:25], v[8:9], 2, s[8:9]
	v_add_u32_e32 v8, -6, v6
	v_lshl_add_u64 v[30:31], v[6:7], 2, s[8:9]
	global_load_dword v33, v[10:11], off
	global_load_dword v7, v[26:27], off
	v_lshl_add_u64 v[10:11], v[8:9], 2, s[8:9]
	v_add_u32_e32 v8, -13, v6
	global_load_dword v35, v[24:25], off
	global_load_dword v50, v[10:11], off
	v_lshl_add_u64 v[24:25], v[8:9], 2, s[8:9]
	v_add_u32_e32 v8, -5, v6
	v_lshl_add_u64 v[10:11], v[8:9], 2, s[8:9]
	v_add_u32_e32 v8, -12, v6
	global_load_dword v37, v[24:25], off
	global_load_dword v51, v[10:11], off
	v_lshl_add_u64 v[24:25], v[8:9], 2, s[8:9]
	v_add_u32_e32 v8, -4, v6
	;; [unrolled: 6-line block ×3, first 2 shown]
	v_lshl_add_u64 v[24:25], v[8:9], 2, s[8:9]
	v_add_u32_e32 v8, -10, v6
	v_mov_b32_e32 v23, v9
	v_lshl_add_u64 v[26:27], v[8:9], 2, s[8:9]
	v_add_u32_e32 v8, -2, v6
	global_load_dword v11, v[10:11], off
	v_add_u32_e32 v0, 16, v0
	global_load_dword v53, v[24:25], off
	v_lshl_add_u64 v[24:25], v[8:9], 2, s[8:9]
	global_load_dword v41, v[26:27], off
	global_load_dword v54, v[24:25], off
	v_add_u32_e32 v8, -9, v6
	v_lshl_add_u64 v[42:43], v[8:9], 2, s[8:9]
	v_add_u32_e32 v8, -1, v6
	v_cmp_ge_i32_e32 vcc, v0, v13
	s_or_b64 s[2:3], vcc, s[2:3]
	s_waitcnt vmcnt(14)
	v_subrev_u32_e32 v1, s16, v1
	v_lshlrev_b32_e32 v22, 3, v1
	v_lshl_add_u64 v[44:45], v[22:23], 2, s[10:11]
	global_load_dwordx4 v[22:25], v[44:45], off
	global_load_dwordx4 v[26:29], v[44:45], off offset:16
	v_lshl_add_u64 v[44:45], v[8:9], 2, s[8:9]
	v_add_u32_e32 v8, -8, v6
	global_load_dword v43, v[42:43], off
	v_lshl_add_u64 v[46:47], v[8:9], 2, s[8:9]
	global_load_dword v1, v[44:45], off
	global_load_dword v49, v[46:47], off
	;; [unrolled: 1-line block ×3, first 2 shown]
	v_add_u32_e32 v6, 0x180, v6
	s_waitcnt vmcnt(19)
	v_mov_b32_e32 v10, v14
	s_waitcnt vmcnt(18)
	v_mov_b32_e32 v32, v18
	v_mov_b32_e32 v34, v19
	;; [unrolled: 1-line block ×7, first 2 shown]
	s_waitcnt vmcnt(5)
	v_fmac_f32_e32 v12, v7, v22
	v_pk_fma_f32 v[4:5], v[32:33], v[22:23], v[4:5] op_sel_hi:[1,0,1]
	v_fmac_f32_e32 v12, v50, v23
	v_pk_fma_f32 v[4:5], v[34:35], v[22:23], v[4:5] op_sel:[0,1,0]
	v_mov_b32_e32 v8, v25
	v_fmac_f32_e32 v12, v51, v24
	v_pk_fma_f32 v[4:5], v[36:37], v[24:25], v[4:5] op_sel_hi:[1,0,1]
	v_fmac_f32_e32 v12, v52, v25
	v_pk_fma_f32 v[4:5], v[38:39], v[8:9], v[4:5] op_sel_hi:[1,0,1]
	s_waitcnt vmcnt(4)
	v_fmac_f32_e32 v12, v53, v26
	v_pk_fma_f32 v[4:5], v[10:11], v[26:27], v[4:5] op_sel_hi:[1,0,1]
	v_fmac_f32_e32 v12, v54, v27
	v_pk_fma_f32 v[4:5], v[40:41], v[26:27], v[4:5] op_sel:[0,1,0]
	v_mov_b32_e32 v14, v29
	s_waitcnt vmcnt(3)
	v_pk_fma_f32 v[4:5], v[42:43], v[28:29], v[4:5] op_sel_hi:[1,0,1]
	s_waitcnt vmcnt(2)
	v_fmac_f32_e32 v12, v1, v28
	s_waitcnt vmcnt(1)
	v_pk_fma_f32 v[4:5], v[48:49], v[14:15], v[4:5] op_sel_hi:[1,0,1]
	s_waitcnt vmcnt(0)
	v_fmac_f32_e32 v12, v55, v29
	s_andn2_b64 exec, exec, s[2:3]
	s_cbranch_execnz .LBB32_15
; %bb.16:
	s_or_b64 exec, exec, s[2:3]
.LBB32_17:
	s_or_b64 exec, exec, s[4:5]
.LBB32_18:
	v_mov_b32_dpp v0, v4 row_shr:1 row_mask:0xf bank_mask:0xf
	v_mov_b32_dpp v1, v5 row_shr:1 row_mask:0xf bank_mask:0xf
	;; [unrolled: 1-line block ×3, first 2 shown]
	v_pk_add_f32 v[0:1], v[4:5], v[0:1]
	v_add_f32_e32 v6, v12, v6
	v_cmp_eq_u32_e32 vcc, 15, v3
	v_mov_b32_dpp v4, v0 row_shr:2 row_mask:0xf bank_mask:0xf
	v_mov_b32_dpp v5, v1 row_shr:2 row_mask:0xf bank_mask:0xf
	;; [unrolled: 1-line block ×3, first 2 shown]
	v_pk_add_f32 v[0:1], v[0:1], v[4:5]
	v_add_f32_e32 v6, v6, v7
	s_nop 0
	v_mov_b32_dpp v4, v0 row_shr:4 row_mask:0xf bank_mask:0xe
	v_mov_b32_dpp v5, v1 row_shr:4 row_mask:0xf bank_mask:0xe
	;; [unrolled: 1-line block ×3, first 2 shown]
	v_pk_add_f32 v[0:1], v[0:1], v[4:5]
	v_add_f32_e32 v6, v6, v7
	s_nop 0
	v_mov_b32_dpp v4, v0 row_shr:8 row_mask:0xf bank_mask:0xc
	v_mov_b32_dpp v5, v1 row_shr:8 row_mask:0xf bank_mask:0xc
	;; [unrolled: 1-line block ×3, first 2 shown]
	s_and_b64 exec, exec, vcc
	s_cbranch_execz .LBB32_22
; %bb.19:
	s_load_dwordx2 s[0:1], s[0:1], 0x38
	v_pk_add_f32 v[4:5], v[0:1], v[4:5]
	v_add_f32_e32 v0, v6, v7
	v_cmp_eq_f32_e64 s[2:3], s12, 0
	v_lshl_add_u32 v6, v2, 1, v2
	s_and_b64 vcc, exec, s[2:3]
	v_mul_f32_e32 v2, s14, v0
	v_ashrrev_i32_e32 v7, 31, v6
	s_cbranch_vccz .LBB32_23
; %bb.20:
	s_waitcnt lgkmcnt(0)
	v_lshl_add_u64 v[8:9], v[6:7], 2, s[0:1]
	v_pk_mul_f32 v[0:1], s[14:15], v[4:5] op_sel_hi:[0,1]
	global_store_dwordx3 v[8:9], v[0:2], off
	s_cbranch_execnz .LBB32_22
.LBB32_21:
	s_waitcnt lgkmcnt(0)
	v_lshl_add_u64 v[10:11], v[6:7], 2, s[0:1]
	global_load_dwordx3 v[6:8], v[10:11], off
	v_pk_mul_f32 v[0:1], s[14:15], v[4:5] op_sel_hi:[0,1]
	s_waitcnt vmcnt(0)
	v_pk_fma_f32 v[0:1], s[12:13], v[6:7], v[0:1] op_sel_hi:[0,1,1]
	v_fmac_f32_e32 v2, s12, v8
	global_store_dwordx3 v[10:11], v[0:2], off
.LBB32_22:
	s_endpgm
.LBB32_23:
	s_branch .LBB32_21
	.section	.rodata,"a",@progbits
	.p2align	6, 0x0
	.amdhsa_kernel _ZN9rocsparseL19gebsrmvn_3xn_kernelILj128ELj8ELj16EfEEvi20rocsparse_direction_NS_24const_host_device_scalarIT2_EEPKiS6_PKS3_S8_S4_PS3_21rocsparse_index_base_b
		.amdhsa_group_segment_fixed_size 0
		.amdhsa_private_segment_fixed_size 0
		.amdhsa_kernarg_size 72
		.amdhsa_user_sgpr_count 2
		.amdhsa_user_sgpr_dispatch_ptr 0
		.amdhsa_user_sgpr_queue_ptr 0
		.amdhsa_user_sgpr_kernarg_segment_ptr 1
		.amdhsa_user_sgpr_dispatch_id 0
		.amdhsa_user_sgpr_kernarg_preload_length 0
		.amdhsa_user_sgpr_kernarg_preload_offset 0
		.amdhsa_user_sgpr_private_segment_size 0
		.amdhsa_uses_dynamic_stack 0
		.amdhsa_enable_private_segment 0
		.amdhsa_system_sgpr_workgroup_id_x 1
		.amdhsa_system_sgpr_workgroup_id_y 0
		.amdhsa_system_sgpr_workgroup_id_z 0
		.amdhsa_system_sgpr_workgroup_info 0
		.amdhsa_system_vgpr_workitem_id 0
		.amdhsa_next_free_vgpr 56
		.amdhsa_next_free_sgpr 20
		.amdhsa_accum_offset 56
		.amdhsa_reserve_vcc 1
		.amdhsa_float_round_mode_32 0
		.amdhsa_float_round_mode_16_64 0
		.amdhsa_float_denorm_mode_32 3
		.amdhsa_float_denorm_mode_16_64 3
		.amdhsa_dx10_clamp 1
		.amdhsa_ieee_mode 1
		.amdhsa_fp16_overflow 0
		.amdhsa_tg_split 0
		.amdhsa_exception_fp_ieee_invalid_op 0
		.amdhsa_exception_fp_denorm_src 0
		.amdhsa_exception_fp_ieee_div_zero 0
		.amdhsa_exception_fp_ieee_overflow 0
		.amdhsa_exception_fp_ieee_underflow 0
		.amdhsa_exception_fp_ieee_inexact 0
		.amdhsa_exception_int_div_zero 0
	.end_amdhsa_kernel
	.section	.text._ZN9rocsparseL19gebsrmvn_3xn_kernelILj128ELj8ELj16EfEEvi20rocsparse_direction_NS_24const_host_device_scalarIT2_EEPKiS6_PKS3_S8_S4_PS3_21rocsparse_index_base_b,"axG",@progbits,_ZN9rocsparseL19gebsrmvn_3xn_kernelILj128ELj8ELj16EfEEvi20rocsparse_direction_NS_24const_host_device_scalarIT2_EEPKiS6_PKS3_S8_S4_PS3_21rocsparse_index_base_b,comdat
.Lfunc_end32:
	.size	_ZN9rocsparseL19gebsrmvn_3xn_kernelILj128ELj8ELj16EfEEvi20rocsparse_direction_NS_24const_host_device_scalarIT2_EEPKiS6_PKS3_S8_S4_PS3_21rocsparse_index_base_b, .Lfunc_end32-_ZN9rocsparseL19gebsrmvn_3xn_kernelILj128ELj8ELj16EfEEvi20rocsparse_direction_NS_24const_host_device_scalarIT2_EEPKiS6_PKS3_S8_S4_PS3_21rocsparse_index_base_b
                                        ; -- End function
	.section	.AMDGPU.csdata,"",@progbits
; Kernel info:
; codeLenInByte = 1812
; NumSgprs: 26
; NumVgprs: 56
; NumAgprs: 0
; TotalNumVgprs: 56
; ScratchSize: 0
; MemoryBound: 0
; FloatMode: 240
; IeeeMode: 1
; LDSByteSize: 0 bytes/workgroup (compile time only)
; SGPRBlocks: 3
; VGPRBlocks: 6
; NumSGPRsForWavesPerEU: 26
; NumVGPRsForWavesPerEU: 56
; AccumOffset: 56
; Occupancy: 8
; WaveLimiterHint : 1
; COMPUTE_PGM_RSRC2:SCRATCH_EN: 0
; COMPUTE_PGM_RSRC2:USER_SGPR: 2
; COMPUTE_PGM_RSRC2:TRAP_HANDLER: 0
; COMPUTE_PGM_RSRC2:TGID_X_EN: 1
; COMPUTE_PGM_RSRC2:TGID_Y_EN: 0
; COMPUTE_PGM_RSRC2:TGID_Z_EN: 0
; COMPUTE_PGM_RSRC2:TIDIG_COMP_CNT: 0
; COMPUTE_PGM_RSRC3_GFX90A:ACCUM_OFFSET: 13
; COMPUTE_PGM_RSRC3_GFX90A:TG_SPLIT: 0
	.section	.text._ZN9rocsparseL19gebsrmvn_3xn_kernelILj128ELj8ELj32EfEEvi20rocsparse_direction_NS_24const_host_device_scalarIT2_EEPKiS6_PKS3_S8_S4_PS3_21rocsparse_index_base_b,"axG",@progbits,_ZN9rocsparseL19gebsrmvn_3xn_kernelILj128ELj8ELj32EfEEvi20rocsparse_direction_NS_24const_host_device_scalarIT2_EEPKiS6_PKS3_S8_S4_PS3_21rocsparse_index_base_b,comdat
	.globl	_ZN9rocsparseL19gebsrmvn_3xn_kernelILj128ELj8ELj32EfEEvi20rocsparse_direction_NS_24const_host_device_scalarIT2_EEPKiS6_PKS3_S8_S4_PS3_21rocsparse_index_base_b ; -- Begin function _ZN9rocsparseL19gebsrmvn_3xn_kernelILj128ELj8ELj32EfEEvi20rocsparse_direction_NS_24const_host_device_scalarIT2_EEPKiS6_PKS3_S8_S4_PS3_21rocsparse_index_base_b
	.p2align	8
	.type	_ZN9rocsparseL19gebsrmvn_3xn_kernelILj128ELj8ELj32EfEEvi20rocsparse_direction_NS_24const_host_device_scalarIT2_EEPKiS6_PKS3_S8_S4_PS3_21rocsparse_index_base_b,@function
_ZN9rocsparseL19gebsrmvn_3xn_kernelILj128ELj8ELj32EfEEvi20rocsparse_direction_NS_24const_host_device_scalarIT2_EEPKiS6_PKS3_S8_S4_PS3_21rocsparse_index_base_b: ; @_ZN9rocsparseL19gebsrmvn_3xn_kernelILj128ELj8ELj32EfEEvi20rocsparse_direction_NS_24const_host_device_scalarIT2_EEPKiS6_PKS3_S8_S4_PS3_21rocsparse_index_base_b
; %bb.0:
	s_load_dwordx2 s[16:17], s[0:1], 0x40
	s_load_dwordx2 s[14:15], s[0:1], 0x8
	;; [unrolled: 1-line block ×3, first 2 shown]
	s_waitcnt lgkmcnt(0)
	s_bitcmp1_b32 s17, 0
	s_cselect_b64 s[6:7], -1, 0
	s_xor_b64 s[4:5], s[6:7], -1
	s_and_b64 vcc, exec, s[6:7]
	s_cbranch_vccnz .LBB33_2
; %bb.1:
	s_load_dword s14, s[14:15], 0x0
.LBB33_2:
	s_andn2_b64 vcc, exec, s[4:5]
	s_cbranch_vccnz .LBB33_4
; %bb.3:
	s_load_dword s12, s[12:13], 0x0
.LBB33_4:
	s_waitcnt lgkmcnt(0)
	v_cmp_eq_f32_e64 s[4:5], s14, 0
	v_cmp_eq_f32_e64 s[6:7], s12, 1.0
	s_and_b64 s[4:5], s[4:5], s[6:7]
	s_and_b64 vcc, exec, s[4:5]
	s_cbranch_vccnz .LBB33_22
; %bb.5:
	s_load_dwordx2 s[18:19], s[0:1], 0x0
	v_lshrrev_b32_e32 v1, 5, v0
	v_lshl_or_b32 v2, s2, 2, v1
	s_waitcnt lgkmcnt(0)
	v_cmp_gt_i32_e32 vcc, s18, v2
	s_and_saveexec_b64 s[2:3], vcc
	s_cbranch_execz .LBB33_22
; %bb.6:
	s_load_dwordx8 s[4:11], s[0:1], 0x10
	v_ashrrev_i32_e32 v3, 31, v2
	s_cmp_lg_u32 s19, 0
	s_waitcnt lgkmcnt(0)
	v_lshl_add_u64 v[4:5], v[2:3], 2, s[4:5]
	global_load_dwordx2 v[4:5], v[4:5], off
	v_and_b32_e32 v3, 31, v0
	s_waitcnt vmcnt(0)
	v_subrev_u32_e32 v0, s16, v4
	v_subrev_u32_e32 v13, s16, v5
	v_add_u32_e32 v0, v0, v3
	v_cmp_lt_i32_e64 s[2:3], v0, v13
	s_cbranch_scc0 .LBB33_12
; %bb.7:
	v_mov_b32_e32 v5, 0
	v_mov_b32_e32 v4, v5
	;; [unrolled: 1-line block ×3, first 2 shown]
	s_and_saveexec_b64 s[4:5], s[2:3]
	s_cbranch_execz .LBB33_11
; %bb.8:
	v_mad_u64_u32 v[6:7], s[18:19], v0, 24, 23
	v_mov_b32_e32 v9, 0
	s_mov_b64 s[18:19], 0
	v_mov_b32_e32 v10, v0
	v_mov_b32_e32 v12, 0
	;; [unrolled: 1-line block ×4, first 2 shown]
.LBB33_9:                               ; =>This Inner Loop Header: Depth=1
	v_ashrrev_i32_e32 v11, 31, v10
	v_lshl_add_u64 v[14:15], v[10:11], 2, s[6:7]
	global_load_dword v1, v[14:15], off
	v_subrev_u32_e32 v8, 23, v6
	v_lshl_add_u64 v[24:25], v[8:9], 2, s[8:9]
	v_add_u32_e32 v8, -15, v6
	global_load_dwordx4 v[14:17], v[24:25], off offset:16
	global_load_dwordx4 v[18:21], v[24:25], off
	v_lshl_add_u64 v[24:25], v[8:9], 2, s[8:9]
	v_add_u32_e32 v8, -14, v6
	v_mov_b32_e32 v7, v9
	v_lshl_add_u64 v[26:27], v[8:9], 2, s[8:9]
	v_add_u32_e32 v8, -13, v6
	v_lshl_add_u64 v[30:31], v[6:7], 2, s[8:9]
	global_load_dword v7, v[24:25], off
	global_load_dword v32, v[26:27], off
	v_lshl_add_u64 v[24:25], v[8:9], 2, s[8:9]
	v_add_u32_e32 v8, -12, v6
	v_lshl_add_u64 v[26:27], v[8:9], 2, s[8:9]
	v_add_u32_e32 v8, -11, v6
	global_load_dword v33, v[24:25], off
	global_load_dword v11, v[26:27], off
	v_lshl_add_u64 v[24:25], v[8:9], 2, s[8:9]
	v_add_u32_e32 v8, -10, v6
	v_lshl_add_u64 v[26:27], v[8:9], 2, s[8:9]
	v_add_u32_e32 v8, -9, v6
	;; [unrolled: 6-line block ×4, first 2 shown]
	v_mov_b32_e32 v23, v9
	global_load_dword v37, v[24:25], off
	global_load_dword v47, v[26:27], off
	v_lshl_add_u64 v[24:25], v[8:9], 2, s[8:9]
	v_add_u32_e32 v8, -4, v6
	v_lshl_add_u64 v[26:27], v[8:9], 2, s[8:9]
	global_load_dword v38, v[24:25], off
	global_load_dword v39, v[26:27], off
	v_add_u32_e32 v8, -3, v6
	v_lshl_add_u64 v[40:41], v[8:9], 2, s[8:9]
	v_add_u32_e32 v8, -2, v6
	v_add_u32_e32 v10, 32, v10
	v_cmp_ge_i32_e32 vcc, v10, v13
	s_or_b64 s[18:19], vcc, s[18:19]
	s_waitcnt vmcnt(14)
	v_subrev_u32_e32 v1, s16, v1
	v_lshlrev_b32_e32 v22, 3, v1
	v_lshl_add_u64 v[42:43], v[22:23], 2, s[10:11]
	global_load_dwordx4 v[22:25], v[42:43], off
	global_load_dwordx4 v[26:29], v[42:43], off offset:16
	v_lshl_add_u64 v[42:43], v[8:9], 2, s[8:9]
	v_add_u32_e32 v8, -1, v6
	global_load_dword v1, v[40:41], off
	v_lshl_add_u64 v[40:41], v[8:9], 2, s[8:9]
	global_load_dword v44, v[42:43], off
	global_load_dword v45, v[40:41], off
	;; [unrolled: 1-line block ×3, first 2 shown]
	s_waitcnt vmcnt(18)
	v_mov_b32_e32 v30, v21
	v_mov_b32_e32 v31, v14
	v_add_u32_e32 v6, 0x300, v6
	s_waitcnt vmcnt(5)
	v_fmac_f32_e32 v12, v20, v22
	v_pk_fma_f32 v[4:5], v[18:19], v[22:23], v[4:5] op_sel_hi:[1,0,1]
	v_fmac_f32_e32 v12, v15, v23
	v_pk_fma_f32 v[4:5], v[30:31], v[22:23], v[4:5] op_sel:[0,1,0]
	v_mov_b32_e32 v8, v25
	v_fmac_f32_e32 v12, v7, v24
	v_pk_fma_f32 v[4:5], v[16:17], v[24:25], v[4:5] op_sel_hi:[1,0,1]
	v_fmac_f32_e32 v12, v11, v25
	v_pk_fma_f32 v[4:5], v[32:33], v[8:9], v[4:5] op_sel_hi:[1,0,1]
	s_waitcnt vmcnt(4)
	v_fmac_f32_e32 v12, v46, v26
	v_pk_fma_f32 v[4:5], v[34:35], v[26:27], v[4:5] op_sel_hi:[1,0,1]
	v_fmac_f32_e32 v12, v47, v27
	v_pk_fma_f32 v[4:5], v[36:37], v[26:27], v[4:5] op_sel:[0,1,0]
	v_mov_b32_e32 v14, v29
	v_pk_fma_f32 v[4:5], v[38:39], v[28:29], v[4:5] op_sel_hi:[1,0,1]
	s_waitcnt vmcnt(3)
	v_fmac_f32_e32 v12, v1, v28
	s_waitcnt vmcnt(1)
	v_pk_fma_f32 v[4:5], v[44:45], v[14:15], v[4:5] op_sel_hi:[1,0,1]
	s_waitcnt vmcnt(0)
	v_fmac_f32_e32 v12, v48, v29
	s_andn2_b64 exec, exec, s[18:19]
	s_cbranch_execnz .LBB33_9
; %bb.10:
	s_or_b64 exec, exec, s[18:19]
.LBB33_11:
	s_or_b64 exec, exec, s[4:5]
	s_cbranch_execz .LBB33_13
	s_branch .LBB33_18
.LBB33_12:
                                        ; implicit-def: $vgpr5
                                        ; implicit-def: $vgpr12
.LBB33_13:
	v_mov_b32_e32 v5, 0
	v_mov_b32_e32 v4, v5
	;; [unrolled: 1-line block ×3, first 2 shown]
	s_and_saveexec_b64 s[4:5], s[2:3]
	s_cbranch_execz .LBB33_17
; %bb.14:
	v_mad_u64_u32 v[6:7], s[2:3], v0, 24, 23
	v_mov_b32_e32 v9, 0
	s_mov_b64 s[2:3], 0
	v_mov_b32_e32 v12, 0
	v_mov_b32_e32 v4, v9
	;; [unrolled: 1-line block ×3, first 2 shown]
.LBB33_15:                              ; =>This Inner Loop Header: Depth=1
	v_ashrrev_i32_e32 v1, 31, v0
	v_lshl_add_u64 v[10:11], v[0:1], 2, s[6:7]
	global_load_dword v1, v[10:11], off
	v_subrev_u32_e32 v8, 23, v6
	v_add_u32_e32 v10, -15, v6
	v_add_u32_e32 v14, -7, v6
	v_mov_b32_e32 v11, v9
	v_mov_b32_e32 v15, v9
	v_lshl_add_u64 v[24:25], v[8:9], 2, s[8:9]
	v_add_u32_e32 v8, -14, v6
	v_mov_b32_e32 v7, v9
	v_lshl_add_u64 v[10:11], v[10:11], 2, s[8:9]
	v_lshl_add_u64 v[26:27], v[14:15], 2, s[8:9]
	global_load_dwordx4 v[14:17], v[24:25], off offset:16
	global_load_dwordx4 v[18:21], v[24:25], off
	v_lshl_add_u64 v[24:25], v[8:9], 2, s[8:9]
	v_add_u32_e32 v8, -6, v6
	v_lshl_add_u64 v[30:31], v[6:7], 2, s[8:9]
	global_load_dword v33, v[10:11], off
	global_load_dword v7, v[26:27], off
	v_lshl_add_u64 v[10:11], v[8:9], 2, s[8:9]
	v_add_u32_e32 v8, -13, v6
	global_load_dword v35, v[24:25], off
	global_load_dword v50, v[10:11], off
	v_lshl_add_u64 v[24:25], v[8:9], 2, s[8:9]
	v_add_u32_e32 v8, -5, v6
	v_lshl_add_u64 v[10:11], v[8:9], 2, s[8:9]
	v_add_u32_e32 v8, -12, v6
	global_load_dword v37, v[24:25], off
	global_load_dword v51, v[10:11], off
	v_lshl_add_u64 v[24:25], v[8:9], 2, s[8:9]
	v_add_u32_e32 v8, -4, v6
	;; [unrolled: 6-line block ×3, first 2 shown]
	v_lshl_add_u64 v[24:25], v[8:9], 2, s[8:9]
	v_add_u32_e32 v8, -10, v6
	v_mov_b32_e32 v23, v9
	v_lshl_add_u64 v[26:27], v[8:9], 2, s[8:9]
	v_add_u32_e32 v8, -2, v6
	global_load_dword v11, v[10:11], off
	v_add_u32_e32 v0, 32, v0
	global_load_dword v53, v[24:25], off
	v_lshl_add_u64 v[24:25], v[8:9], 2, s[8:9]
	global_load_dword v41, v[26:27], off
	global_load_dword v54, v[24:25], off
	v_add_u32_e32 v8, -9, v6
	v_lshl_add_u64 v[42:43], v[8:9], 2, s[8:9]
	v_add_u32_e32 v8, -1, v6
	v_cmp_ge_i32_e32 vcc, v0, v13
	s_or_b64 s[2:3], vcc, s[2:3]
	s_waitcnt vmcnt(14)
	v_subrev_u32_e32 v1, s16, v1
	v_lshlrev_b32_e32 v22, 3, v1
	v_lshl_add_u64 v[44:45], v[22:23], 2, s[10:11]
	global_load_dwordx4 v[22:25], v[44:45], off
	global_load_dwordx4 v[26:29], v[44:45], off offset:16
	v_lshl_add_u64 v[44:45], v[8:9], 2, s[8:9]
	v_add_u32_e32 v8, -8, v6
	global_load_dword v43, v[42:43], off
	v_lshl_add_u64 v[46:47], v[8:9], 2, s[8:9]
	global_load_dword v1, v[44:45], off
	global_load_dword v49, v[46:47], off
	;; [unrolled: 1-line block ×3, first 2 shown]
	v_add_u32_e32 v6, 0x300, v6
	s_waitcnt vmcnt(19)
	v_mov_b32_e32 v10, v14
	s_waitcnt vmcnt(18)
	v_mov_b32_e32 v32, v18
	v_mov_b32_e32 v34, v19
	v_mov_b32_e32 v36, v20
	v_mov_b32_e32 v38, v21
	v_mov_b32_e32 v40, v15
	v_mov_b32_e32 v42, v16
	v_mov_b32_e32 v48, v17
	s_waitcnt vmcnt(5)
	v_fmac_f32_e32 v12, v7, v22
	v_pk_fma_f32 v[4:5], v[32:33], v[22:23], v[4:5] op_sel_hi:[1,0,1]
	v_fmac_f32_e32 v12, v50, v23
	v_pk_fma_f32 v[4:5], v[34:35], v[22:23], v[4:5] op_sel:[0,1,0]
	v_mov_b32_e32 v8, v25
	v_fmac_f32_e32 v12, v51, v24
	v_pk_fma_f32 v[4:5], v[36:37], v[24:25], v[4:5] op_sel_hi:[1,0,1]
	v_fmac_f32_e32 v12, v52, v25
	v_pk_fma_f32 v[4:5], v[38:39], v[8:9], v[4:5] op_sel_hi:[1,0,1]
	s_waitcnt vmcnt(4)
	v_fmac_f32_e32 v12, v53, v26
	v_pk_fma_f32 v[4:5], v[10:11], v[26:27], v[4:5] op_sel_hi:[1,0,1]
	v_fmac_f32_e32 v12, v54, v27
	v_pk_fma_f32 v[4:5], v[40:41], v[26:27], v[4:5] op_sel:[0,1,0]
	v_mov_b32_e32 v14, v29
	s_waitcnt vmcnt(3)
	v_pk_fma_f32 v[4:5], v[42:43], v[28:29], v[4:5] op_sel_hi:[1,0,1]
	s_waitcnt vmcnt(2)
	v_fmac_f32_e32 v12, v1, v28
	s_waitcnt vmcnt(1)
	v_pk_fma_f32 v[4:5], v[48:49], v[14:15], v[4:5] op_sel_hi:[1,0,1]
	s_waitcnt vmcnt(0)
	v_fmac_f32_e32 v12, v55, v29
	s_andn2_b64 exec, exec, s[2:3]
	s_cbranch_execnz .LBB33_15
; %bb.16:
	s_or_b64 exec, exec, s[2:3]
.LBB33_17:
	s_or_b64 exec, exec, s[4:5]
.LBB33_18:
	v_mov_b32_dpp v0, v4 row_shr:1 row_mask:0xf bank_mask:0xf
	v_mov_b32_dpp v1, v5 row_shr:1 row_mask:0xf bank_mask:0xf
	;; [unrolled: 1-line block ×3, first 2 shown]
	v_pk_add_f32 v[0:1], v[4:5], v[0:1]
	v_add_f32_e32 v6, v12, v6
	v_cmp_eq_u32_e32 vcc, 31, v3
	v_mov_b32_dpp v4, v0 row_shr:2 row_mask:0xf bank_mask:0xf
	v_mov_b32_dpp v5, v1 row_shr:2 row_mask:0xf bank_mask:0xf
	v_mov_b32_dpp v7, v6 row_shr:2 row_mask:0xf bank_mask:0xf
	v_pk_add_f32 v[0:1], v[0:1], v[4:5]
	v_add_f32_e32 v6, v6, v7
	s_nop 0
	v_mov_b32_dpp v4, v0 row_shr:4 row_mask:0xf bank_mask:0xe
	v_mov_b32_dpp v5, v1 row_shr:4 row_mask:0xf bank_mask:0xe
	v_mov_b32_dpp v7, v6 row_shr:4 row_mask:0xf bank_mask:0xe
	v_pk_add_f32 v[0:1], v[0:1], v[4:5]
	v_add_f32_e32 v6, v6, v7
	s_nop 0
	;; [unrolled: 6-line block ×3, first 2 shown]
	v_mov_b32_dpp v4, v0 row_bcast:15 row_mask:0xa bank_mask:0xf
	v_mov_b32_dpp v5, v1 row_bcast:15 row_mask:0xa bank_mask:0xf
	;; [unrolled: 1-line block ×3, first 2 shown]
	s_and_b64 exec, exec, vcc
	s_cbranch_execz .LBB33_22
; %bb.19:
	s_load_dwordx2 s[0:1], s[0:1], 0x38
	v_pk_add_f32 v[4:5], v[0:1], v[4:5]
	v_add_f32_e32 v0, v6, v7
	v_cmp_eq_f32_e64 s[2:3], s12, 0
	v_lshl_add_u32 v6, v2, 1, v2
	s_and_b64 vcc, exec, s[2:3]
	v_mul_f32_e32 v2, s14, v0
	v_ashrrev_i32_e32 v7, 31, v6
	s_cbranch_vccz .LBB33_23
; %bb.20:
	s_waitcnt lgkmcnt(0)
	v_lshl_add_u64 v[8:9], v[6:7], 2, s[0:1]
	v_pk_mul_f32 v[0:1], s[14:15], v[4:5] op_sel_hi:[0,1]
	global_store_dwordx3 v[8:9], v[0:2], off
	s_cbranch_execnz .LBB33_22
.LBB33_21:
	s_waitcnt lgkmcnt(0)
	v_lshl_add_u64 v[10:11], v[6:7], 2, s[0:1]
	global_load_dwordx3 v[6:8], v[10:11], off
	v_pk_mul_f32 v[0:1], s[14:15], v[4:5] op_sel_hi:[0,1]
	s_waitcnt vmcnt(0)
	v_pk_fma_f32 v[0:1], s[12:13], v[6:7], v[0:1] op_sel_hi:[0,1,1]
	v_fmac_f32_e32 v2, s12, v8
	global_store_dwordx3 v[10:11], v[0:2], off
.LBB33_22:
	s_endpgm
.LBB33_23:
	s_branch .LBB33_21
	.section	.rodata,"a",@progbits
	.p2align	6, 0x0
	.amdhsa_kernel _ZN9rocsparseL19gebsrmvn_3xn_kernelILj128ELj8ELj32EfEEvi20rocsparse_direction_NS_24const_host_device_scalarIT2_EEPKiS6_PKS3_S8_S4_PS3_21rocsparse_index_base_b
		.amdhsa_group_segment_fixed_size 0
		.amdhsa_private_segment_fixed_size 0
		.amdhsa_kernarg_size 72
		.amdhsa_user_sgpr_count 2
		.amdhsa_user_sgpr_dispatch_ptr 0
		.amdhsa_user_sgpr_queue_ptr 0
		.amdhsa_user_sgpr_kernarg_segment_ptr 1
		.amdhsa_user_sgpr_dispatch_id 0
		.amdhsa_user_sgpr_kernarg_preload_length 0
		.amdhsa_user_sgpr_kernarg_preload_offset 0
		.amdhsa_user_sgpr_private_segment_size 0
		.amdhsa_uses_dynamic_stack 0
		.amdhsa_enable_private_segment 0
		.amdhsa_system_sgpr_workgroup_id_x 1
		.amdhsa_system_sgpr_workgroup_id_y 0
		.amdhsa_system_sgpr_workgroup_id_z 0
		.amdhsa_system_sgpr_workgroup_info 0
		.amdhsa_system_vgpr_workitem_id 0
		.amdhsa_next_free_vgpr 56
		.amdhsa_next_free_sgpr 20
		.amdhsa_accum_offset 56
		.amdhsa_reserve_vcc 1
		.amdhsa_float_round_mode_32 0
		.amdhsa_float_round_mode_16_64 0
		.amdhsa_float_denorm_mode_32 3
		.amdhsa_float_denorm_mode_16_64 3
		.amdhsa_dx10_clamp 1
		.amdhsa_ieee_mode 1
		.amdhsa_fp16_overflow 0
		.amdhsa_tg_split 0
		.amdhsa_exception_fp_ieee_invalid_op 0
		.amdhsa_exception_fp_denorm_src 0
		.amdhsa_exception_fp_ieee_div_zero 0
		.amdhsa_exception_fp_ieee_overflow 0
		.amdhsa_exception_fp_ieee_underflow 0
		.amdhsa_exception_fp_ieee_inexact 0
		.amdhsa_exception_int_div_zero 0
	.end_amdhsa_kernel
	.section	.text._ZN9rocsparseL19gebsrmvn_3xn_kernelILj128ELj8ELj32EfEEvi20rocsparse_direction_NS_24const_host_device_scalarIT2_EEPKiS6_PKS3_S8_S4_PS3_21rocsparse_index_base_b,"axG",@progbits,_ZN9rocsparseL19gebsrmvn_3xn_kernelILj128ELj8ELj32EfEEvi20rocsparse_direction_NS_24const_host_device_scalarIT2_EEPKiS6_PKS3_S8_S4_PS3_21rocsparse_index_base_b,comdat
.Lfunc_end33:
	.size	_ZN9rocsparseL19gebsrmvn_3xn_kernelILj128ELj8ELj32EfEEvi20rocsparse_direction_NS_24const_host_device_scalarIT2_EEPKiS6_PKS3_S8_S4_PS3_21rocsparse_index_base_b, .Lfunc_end33-_ZN9rocsparseL19gebsrmvn_3xn_kernelILj128ELj8ELj32EfEEvi20rocsparse_direction_NS_24const_host_device_scalarIT2_EEPKiS6_PKS3_S8_S4_PS3_21rocsparse_index_base_b
                                        ; -- End function
	.section	.AMDGPU.csdata,"",@progbits
; Kernel info:
; codeLenInByte = 1852
; NumSgprs: 26
; NumVgprs: 56
; NumAgprs: 0
; TotalNumVgprs: 56
; ScratchSize: 0
; MemoryBound: 0
; FloatMode: 240
; IeeeMode: 1
; LDSByteSize: 0 bytes/workgroup (compile time only)
; SGPRBlocks: 3
; VGPRBlocks: 6
; NumSGPRsForWavesPerEU: 26
; NumVGPRsForWavesPerEU: 56
; AccumOffset: 56
; Occupancy: 8
; WaveLimiterHint : 1
; COMPUTE_PGM_RSRC2:SCRATCH_EN: 0
; COMPUTE_PGM_RSRC2:USER_SGPR: 2
; COMPUTE_PGM_RSRC2:TRAP_HANDLER: 0
; COMPUTE_PGM_RSRC2:TGID_X_EN: 1
; COMPUTE_PGM_RSRC2:TGID_Y_EN: 0
; COMPUTE_PGM_RSRC2:TGID_Z_EN: 0
; COMPUTE_PGM_RSRC2:TIDIG_COMP_CNT: 0
; COMPUTE_PGM_RSRC3_GFX90A:ACCUM_OFFSET: 13
; COMPUTE_PGM_RSRC3_GFX90A:TG_SPLIT: 0
	.section	.text._ZN9rocsparseL19gebsrmvn_3xn_kernelILj128ELj8ELj64EfEEvi20rocsparse_direction_NS_24const_host_device_scalarIT2_EEPKiS6_PKS3_S8_S4_PS3_21rocsparse_index_base_b,"axG",@progbits,_ZN9rocsparseL19gebsrmvn_3xn_kernelILj128ELj8ELj64EfEEvi20rocsparse_direction_NS_24const_host_device_scalarIT2_EEPKiS6_PKS3_S8_S4_PS3_21rocsparse_index_base_b,comdat
	.globl	_ZN9rocsparseL19gebsrmvn_3xn_kernelILj128ELj8ELj64EfEEvi20rocsparse_direction_NS_24const_host_device_scalarIT2_EEPKiS6_PKS3_S8_S4_PS3_21rocsparse_index_base_b ; -- Begin function _ZN9rocsparseL19gebsrmvn_3xn_kernelILj128ELj8ELj64EfEEvi20rocsparse_direction_NS_24const_host_device_scalarIT2_EEPKiS6_PKS3_S8_S4_PS3_21rocsparse_index_base_b
	.p2align	8
	.type	_ZN9rocsparseL19gebsrmvn_3xn_kernelILj128ELj8ELj64EfEEvi20rocsparse_direction_NS_24const_host_device_scalarIT2_EEPKiS6_PKS3_S8_S4_PS3_21rocsparse_index_base_b,@function
_ZN9rocsparseL19gebsrmvn_3xn_kernelILj128ELj8ELj64EfEEvi20rocsparse_direction_NS_24const_host_device_scalarIT2_EEPKiS6_PKS3_S8_S4_PS3_21rocsparse_index_base_b: ; @_ZN9rocsparseL19gebsrmvn_3xn_kernelILj128ELj8ELj64EfEEvi20rocsparse_direction_NS_24const_host_device_scalarIT2_EEPKiS6_PKS3_S8_S4_PS3_21rocsparse_index_base_b
; %bb.0:
	s_load_dwordx2 s[16:17], s[0:1], 0x40
	s_load_dwordx2 s[14:15], s[0:1], 0x8
	;; [unrolled: 1-line block ×3, first 2 shown]
	s_waitcnt lgkmcnt(0)
	s_bitcmp1_b32 s17, 0
	s_cselect_b64 s[6:7], -1, 0
	s_xor_b64 s[4:5], s[6:7], -1
	s_and_b64 vcc, exec, s[6:7]
	s_cbranch_vccnz .LBB34_2
; %bb.1:
	s_load_dword s14, s[14:15], 0x0
.LBB34_2:
	s_andn2_b64 vcc, exec, s[4:5]
	s_cbranch_vccnz .LBB34_4
; %bb.3:
	s_load_dword s12, s[12:13], 0x0
.LBB34_4:
	s_waitcnt lgkmcnt(0)
	v_cmp_eq_f32_e64 s[4:5], s14, 0
	v_cmp_eq_f32_e64 s[6:7], s12, 1.0
	s_and_b64 s[4:5], s[4:5], s[6:7]
	s_and_b64 vcc, exec, s[4:5]
	s_cbranch_vccnz .LBB34_22
; %bb.5:
	s_load_dwordx2 s[18:19], s[0:1], 0x0
	v_lshrrev_b32_e32 v1, 6, v0
	v_lshl_or_b32 v2, s2, 1, v1
	s_waitcnt lgkmcnt(0)
	v_cmp_gt_i32_e32 vcc, s18, v2
	s_and_saveexec_b64 s[2:3], vcc
	s_cbranch_execz .LBB34_22
; %bb.6:
	s_load_dwordx8 s[4:11], s[0:1], 0x10
	v_ashrrev_i32_e32 v3, 31, v2
	s_cmp_lg_u32 s19, 0
	s_waitcnt lgkmcnt(0)
	v_lshl_add_u64 v[4:5], v[2:3], 2, s[4:5]
	global_load_dwordx2 v[4:5], v[4:5], off
	v_and_b32_e32 v3, 63, v0
	s_waitcnt vmcnt(0)
	v_subrev_u32_e32 v0, s16, v4
	v_subrev_u32_e32 v13, s16, v5
	v_add_u32_e32 v0, v0, v3
	v_cmp_lt_i32_e64 s[2:3], v0, v13
	s_cbranch_scc0 .LBB34_12
; %bb.7:
	v_mov_b32_e32 v5, 0
	v_mov_b32_e32 v4, v5
	;; [unrolled: 1-line block ×3, first 2 shown]
	s_and_saveexec_b64 s[4:5], s[2:3]
	s_cbranch_execz .LBB34_11
; %bb.8:
	v_mad_u64_u32 v[6:7], s[18:19], v0, 24, 23
	v_mov_b32_e32 v9, 0
	s_mov_b64 s[18:19], 0
	v_mov_b32_e32 v10, v0
	v_mov_b32_e32 v12, 0
	;; [unrolled: 1-line block ×4, first 2 shown]
.LBB34_9:                               ; =>This Inner Loop Header: Depth=1
	v_ashrrev_i32_e32 v11, 31, v10
	v_lshl_add_u64 v[14:15], v[10:11], 2, s[6:7]
	global_load_dword v1, v[14:15], off
	v_subrev_u32_e32 v8, 23, v6
	v_lshl_add_u64 v[24:25], v[8:9], 2, s[8:9]
	v_add_u32_e32 v8, -15, v6
	global_load_dwordx4 v[14:17], v[24:25], off offset:16
	global_load_dwordx4 v[18:21], v[24:25], off
	v_lshl_add_u64 v[24:25], v[8:9], 2, s[8:9]
	v_add_u32_e32 v8, -14, v6
	v_mov_b32_e32 v7, v9
	v_lshl_add_u64 v[26:27], v[8:9], 2, s[8:9]
	v_add_u32_e32 v8, -13, v6
	v_lshl_add_u64 v[30:31], v[6:7], 2, s[8:9]
	global_load_dword v7, v[24:25], off
	global_load_dword v32, v[26:27], off
	v_lshl_add_u64 v[24:25], v[8:9], 2, s[8:9]
	v_add_u32_e32 v8, -12, v6
	v_lshl_add_u64 v[26:27], v[8:9], 2, s[8:9]
	v_add_u32_e32 v8, -11, v6
	global_load_dword v33, v[24:25], off
	global_load_dword v11, v[26:27], off
	v_lshl_add_u64 v[24:25], v[8:9], 2, s[8:9]
	v_add_u32_e32 v8, -10, v6
	v_lshl_add_u64 v[26:27], v[8:9], 2, s[8:9]
	v_add_u32_e32 v8, -9, v6
	;; [unrolled: 6-line block ×4, first 2 shown]
	v_mov_b32_e32 v23, v9
	global_load_dword v37, v[24:25], off
	global_load_dword v47, v[26:27], off
	v_lshl_add_u64 v[24:25], v[8:9], 2, s[8:9]
	v_add_u32_e32 v8, -4, v6
	v_lshl_add_u64 v[26:27], v[8:9], 2, s[8:9]
	global_load_dword v38, v[24:25], off
	global_load_dword v39, v[26:27], off
	v_add_u32_e32 v8, -3, v6
	v_lshl_add_u64 v[40:41], v[8:9], 2, s[8:9]
	v_add_u32_e32 v8, -2, v6
	v_add_u32_e32 v10, 64, v10
	v_cmp_ge_i32_e32 vcc, v10, v13
	s_or_b64 s[18:19], vcc, s[18:19]
	s_waitcnt vmcnt(14)
	v_subrev_u32_e32 v1, s16, v1
	v_lshlrev_b32_e32 v22, 3, v1
	v_lshl_add_u64 v[42:43], v[22:23], 2, s[10:11]
	global_load_dwordx4 v[22:25], v[42:43], off
	global_load_dwordx4 v[26:29], v[42:43], off offset:16
	v_lshl_add_u64 v[42:43], v[8:9], 2, s[8:9]
	v_add_u32_e32 v8, -1, v6
	global_load_dword v1, v[40:41], off
	v_lshl_add_u64 v[40:41], v[8:9], 2, s[8:9]
	global_load_dword v44, v[42:43], off
	global_load_dword v45, v[40:41], off
	global_load_dword v48, v[30:31], off
	s_waitcnt vmcnt(18)
	v_mov_b32_e32 v30, v21
	v_mov_b32_e32 v31, v14
	v_add_u32_e32 v6, 0x600, v6
	s_waitcnt vmcnt(5)
	v_fmac_f32_e32 v12, v20, v22
	v_pk_fma_f32 v[4:5], v[18:19], v[22:23], v[4:5] op_sel_hi:[1,0,1]
	v_fmac_f32_e32 v12, v15, v23
	v_pk_fma_f32 v[4:5], v[30:31], v[22:23], v[4:5] op_sel:[0,1,0]
	v_mov_b32_e32 v8, v25
	v_fmac_f32_e32 v12, v7, v24
	v_pk_fma_f32 v[4:5], v[16:17], v[24:25], v[4:5] op_sel_hi:[1,0,1]
	v_fmac_f32_e32 v12, v11, v25
	v_pk_fma_f32 v[4:5], v[32:33], v[8:9], v[4:5] op_sel_hi:[1,0,1]
	s_waitcnt vmcnt(4)
	v_fmac_f32_e32 v12, v46, v26
	v_pk_fma_f32 v[4:5], v[34:35], v[26:27], v[4:5] op_sel_hi:[1,0,1]
	v_fmac_f32_e32 v12, v47, v27
	v_pk_fma_f32 v[4:5], v[36:37], v[26:27], v[4:5] op_sel:[0,1,0]
	v_mov_b32_e32 v14, v29
	v_pk_fma_f32 v[4:5], v[38:39], v[28:29], v[4:5] op_sel_hi:[1,0,1]
	s_waitcnt vmcnt(3)
	v_fmac_f32_e32 v12, v1, v28
	s_waitcnt vmcnt(1)
	v_pk_fma_f32 v[4:5], v[44:45], v[14:15], v[4:5] op_sel_hi:[1,0,1]
	s_waitcnt vmcnt(0)
	v_fmac_f32_e32 v12, v48, v29
	s_andn2_b64 exec, exec, s[18:19]
	s_cbranch_execnz .LBB34_9
; %bb.10:
	s_or_b64 exec, exec, s[18:19]
.LBB34_11:
	s_or_b64 exec, exec, s[4:5]
	s_cbranch_execz .LBB34_13
	s_branch .LBB34_18
.LBB34_12:
                                        ; implicit-def: $vgpr5
                                        ; implicit-def: $vgpr12
.LBB34_13:
	v_mov_b32_e32 v5, 0
	v_mov_b32_e32 v4, v5
	;; [unrolled: 1-line block ×3, first 2 shown]
	s_and_saveexec_b64 s[4:5], s[2:3]
	s_cbranch_execz .LBB34_17
; %bb.14:
	v_mad_u64_u32 v[6:7], s[2:3], v0, 24, 23
	v_mov_b32_e32 v9, 0
	s_mov_b64 s[2:3], 0
	v_mov_b32_e32 v12, 0
	v_mov_b32_e32 v4, v9
	;; [unrolled: 1-line block ×3, first 2 shown]
.LBB34_15:                              ; =>This Inner Loop Header: Depth=1
	v_ashrrev_i32_e32 v1, 31, v0
	v_lshl_add_u64 v[10:11], v[0:1], 2, s[6:7]
	global_load_dword v1, v[10:11], off
	v_subrev_u32_e32 v8, 23, v6
	v_add_u32_e32 v10, -15, v6
	v_add_u32_e32 v14, -7, v6
	v_mov_b32_e32 v11, v9
	v_mov_b32_e32 v15, v9
	v_lshl_add_u64 v[24:25], v[8:9], 2, s[8:9]
	v_add_u32_e32 v8, -14, v6
	v_mov_b32_e32 v7, v9
	v_lshl_add_u64 v[10:11], v[10:11], 2, s[8:9]
	v_lshl_add_u64 v[26:27], v[14:15], 2, s[8:9]
	global_load_dwordx4 v[14:17], v[24:25], off offset:16
	global_load_dwordx4 v[18:21], v[24:25], off
	v_lshl_add_u64 v[24:25], v[8:9], 2, s[8:9]
	v_add_u32_e32 v8, -6, v6
	v_lshl_add_u64 v[30:31], v[6:7], 2, s[8:9]
	global_load_dword v33, v[10:11], off
	global_load_dword v7, v[26:27], off
	v_lshl_add_u64 v[10:11], v[8:9], 2, s[8:9]
	v_add_u32_e32 v8, -13, v6
	global_load_dword v35, v[24:25], off
	global_load_dword v50, v[10:11], off
	v_lshl_add_u64 v[24:25], v[8:9], 2, s[8:9]
	v_add_u32_e32 v8, -5, v6
	v_lshl_add_u64 v[10:11], v[8:9], 2, s[8:9]
	v_add_u32_e32 v8, -12, v6
	global_load_dword v37, v[24:25], off
	global_load_dword v51, v[10:11], off
	v_lshl_add_u64 v[24:25], v[8:9], 2, s[8:9]
	v_add_u32_e32 v8, -4, v6
	;; [unrolled: 6-line block ×3, first 2 shown]
	v_lshl_add_u64 v[24:25], v[8:9], 2, s[8:9]
	v_add_u32_e32 v8, -10, v6
	v_mov_b32_e32 v23, v9
	v_lshl_add_u64 v[26:27], v[8:9], 2, s[8:9]
	v_add_u32_e32 v8, -2, v6
	global_load_dword v11, v[10:11], off
	v_add_u32_e32 v0, 64, v0
	global_load_dword v53, v[24:25], off
	v_lshl_add_u64 v[24:25], v[8:9], 2, s[8:9]
	global_load_dword v41, v[26:27], off
	global_load_dword v54, v[24:25], off
	v_add_u32_e32 v8, -9, v6
	v_lshl_add_u64 v[42:43], v[8:9], 2, s[8:9]
	v_add_u32_e32 v8, -1, v6
	v_cmp_ge_i32_e32 vcc, v0, v13
	s_or_b64 s[2:3], vcc, s[2:3]
	s_waitcnt vmcnt(14)
	v_subrev_u32_e32 v1, s16, v1
	v_lshlrev_b32_e32 v22, 3, v1
	v_lshl_add_u64 v[44:45], v[22:23], 2, s[10:11]
	global_load_dwordx4 v[22:25], v[44:45], off
	global_load_dwordx4 v[26:29], v[44:45], off offset:16
	v_lshl_add_u64 v[44:45], v[8:9], 2, s[8:9]
	v_add_u32_e32 v8, -8, v6
	global_load_dword v43, v[42:43], off
	v_lshl_add_u64 v[46:47], v[8:9], 2, s[8:9]
	global_load_dword v1, v[44:45], off
	global_load_dword v49, v[46:47], off
	;; [unrolled: 1-line block ×3, first 2 shown]
	v_add_u32_e32 v6, 0x600, v6
	s_waitcnt vmcnt(19)
	v_mov_b32_e32 v10, v14
	s_waitcnt vmcnt(18)
	v_mov_b32_e32 v32, v18
	v_mov_b32_e32 v34, v19
	v_mov_b32_e32 v36, v20
	v_mov_b32_e32 v38, v21
	v_mov_b32_e32 v40, v15
	v_mov_b32_e32 v42, v16
	v_mov_b32_e32 v48, v17
	s_waitcnt vmcnt(5)
	v_fmac_f32_e32 v12, v7, v22
	v_pk_fma_f32 v[4:5], v[32:33], v[22:23], v[4:5] op_sel_hi:[1,0,1]
	v_fmac_f32_e32 v12, v50, v23
	v_pk_fma_f32 v[4:5], v[34:35], v[22:23], v[4:5] op_sel:[0,1,0]
	v_mov_b32_e32 v8, v25
	v_fmac_f32_e32 v12, v51, v24
	v_pk_fma_f32 v[4:5], v[36:37], v[24:25], v[4:5] op_sel_hi:[1,0,1]
	v_fmac_f32_e32 v12, v52, v25
	v_pk_fma_f32 v[4:5], v[38:39], v[8:9], v[4:5] op_sel_hi:[1,0,1]
	s_waitcnt vmcnt(4)
	v_fmac_f32_e32 v12, v53, v26
	v_pk_fma_f32 v[4:5], v[10:11], v[26:27], v[4:5] op_sel_hi:[1,0,1]
	v_fmac_f32_e32 v12, v54, v27
	v_pk_fma_f32 v[4:5], v[40:41], v[26:27], v[4:5] op_sel:[0,1,0]
	v_mov_b32_e32 v14, v29
	s_waitcnt vmcnt(3)
	v_pk_fma_f32 v[4:5], v[42:43], v[28:29], v[4:5] op_sel_hi:[1,0,1]
	s_waitcnt vmcnt(2)
	v_fmac_f32_e32 v12, v1, v28
	s_waitcnt vmcnt(1)
	v_pk_fma_f32 v[4:5], v[48:49], v[14:15], v[4:5] op_sel_hi:[1,0,1]
	s_waitcnt vmcnt(0)
	v_fmac_f32_e32 v12, v55, v29
	s_andn2_b64 exec, exec, s[2:3]
	s_cbranch_execnz .LBB34_15
; %bb.16:
	s_or_b64 exec, exec, s[2:3]
.LBB34_17:
	s_or_b64 exec, exec, s[4:5]
.LBB34_18:
	v_mov_b32_dpp v0, v4 row_shr:1 row_mask:0xf bank_mask:0xf
	v_mov_b32_dpp v1, v5 row_shr:1 row_mask:0xf bank_mask:0xf
	v_mov_b32_dpp v6, v12 row_shr:1 row_mask:0xf bank_mask:0xf
	v_pk_add_f32 v[0:1], v[4:5], v[0:1]
	v_add_f32_e32 v6, v12, v6
	v_cmp_eq_u32_e32 vcc, 63, v3
	v_mov_b32_dpp v4, v0 row_shr:2 row_mask:0xf bank_mask:0xf
	v_mov_b32_dpp v5, v1 row_shr:2 row_mask:0xf bank_mask:0xf
	v_mov_b32_dpp v7, v6 row_shr:2 row_mask:0xf bank_mask:0xf
	v_pk_add_f32 v[0:1], v[0:1], v[4:5]
	v_add_f32_e32 v6, v6, v7
	s_nop 0
	v_mov_b32_dpp v4, v0 row_shr:4 row_mask:0xf bank_mask:0xe
	v_mov_b32_dpp v5, v1 row_shr:4 row_mask:0xf bank_mask:0xe
	v_mov_b32_dpp v7, v6 row_shr:4 row_mask:0xf bank_mask:0xe
	v_pk_add_f32 v[0:1], v[0:1], v[4:5]
	v_add_f32_e32 v6, v6, v7
	s_nop 0
	;; [unrolled: 6-line block ×3, first 2 shown]
	v_mov_b32_dpp v4, v0 row_bcast:15 row_mask:0xa bank_mask:0xf
	v_mov_b32_dpp v5, v1 row_bcast:15 row_mask:0xa bank_mask:0xf
	;; [unrolled: 1-line block ×3, first 2 shown]
	v_pk_add_f32 v[0:1], v[0:1], v[4:5]
	v_add_f32_e32 v6, v6, v7
	s_nop 0
	v_mov_b32_dpp v4, v0 row_bcast:31 row_mask:0xc bank_mask:0xf
	v_mov_b32_dpp v5, v1 row_bcast:31 row_mask:0xc bank_mask:0xf
	;; [unrolled: 1-line block ×3, first 2 shown]
	s_and_b64 exec, exec, vcc
	s_cbranch_execz .LBB34_22
; %bb.19:
	s_load_dwordx2 s[0:1], s[0:1], 0x38
	v_pk_add_f32 v[4:5], v[0:1], v[4:5]
	v_add_f32_e32 v0, v6, v7
	v_cmp_eq_f32_e64 s[2:3], s12, 0
	v_lshl_add_u32 v6, v2, 1, v2
	s_and_b64 vcc, exec, s[2:3]
	v_mul_f32_e32 v2, s14, v0
	v_ashrrev_i32_e32 v7, 31, v6
	s_cbranch_vccz .LBB34_23
; %bb.20:
	s_waitcnt lgkmcnt(0)
	v_lshl_add_u64 v[8:9], v[6:7], 2, s[0:1]
	v_pk_mul_f32 v[0:1], s[14:15], v[4:5] op_sel_hi:[0,1]
	global_store_dwordx3 v[8:9], v[0:2], off
	s_cbranch_execnz .LBB34_22
.LBB34_21:
	s_waitcnt lgkmcnt(0)
	v_lshl_add_u64 v[10:11], v[6:7], 2, s[0:1]
	global_load_dwordx3 v[6:8], v[10:11], off
	v_pk_mul_f32 v[0:1], s[14:15], v[4:5] op_sel_hi:[0,1]
	s_waitcnt vmcnt(0)
	v_pk_fma_f32 v[0:1], s[12:13], v[6:7], v[0:1] op_sel_hi:[0,1,1]
	v_fmac_f32_e32 v2, s12, v8
	global_store_dwordx3 v[10:11], v[0:2], off
.LBB34_22:
	s_endpgm
.LBB34_23:
	s_branch .LBB34_21
	.section	.rodata,"a",@progbits
	.p2align	6, 0x0
	.amdhsa_kernel _ZN9rocsparseL19gebsrmvn_3xn_kernelILj128ELj8ELj64EfEEvi20rocsparse_direction_NS_24const_host_device_scalarIT2_EEPKiS6_PKS3_S8_S4_PS3_21rocsparse_index_base_b
		.amdhsa_group_segment_fixed_size 0
		.amdhsa_private_segment_fixed_size 0
		.amdhsa_kernarg_size 72
		.amdhsa_user_sgpr_count 2
		.amdhsa_user_sgpr_dispatch_ptr 0
		.amdhsa_user_sgpr_queue_ptr 0
		.amdhsa_user_sgpr_kernarg_segment_ptr 1
		.amdhsa_user_sgpr_dispatch_id 0
		.amdhsa_user_sgpr_kernarg_preload_length 0
		.amdhsa_user_sgpr_kernarg_preload_offset 0
		.amdhsa_user_sgpr_private_segment_size 0
		.amdhsa_uses_dynamic_stack 0
		.amdhsa_enable_private_segment 0
		.amdhsa_system_sgpr_workgroup_id_x 1
		.amdhsa_system_sgpr_workgroup_id_y 0
		.amdhsa_system_sgpr_workgroup_id_z 0
		.amdhsa_system_sgpr_workgroup_info 0
		.amdhsa_system_vgpr_workitem_id 0
		.amdhsa_next_free_vgpr 56
		.amdhsa_next_free_sgpr 20
		.amdhsa_accum_offset 56
		.amdhsa_reserve_vcc 1
		.amdhsa_float_round_mode_32 0
		.amdhsa_float_round_mode_16_64 0
		.amdhsa_float_denorm_mode_32 3
		.amdhsa_float_denorm_mode_16_64 3
		.amdhsa_dx10_clamp 1
		.amdhsa_ieee_mode 1
		.amdhsa_fp16_overflow 0
		.amdhsa_tg_split 0
		.amdhsa_exception_fp_ieee_invalid_op 0
		.amdhsa_exception_fp_denorm_src 0
		.amdhsa_exception_fp_ieee_div_zero 0
		.amdhsa_exception_fp_ieee_overflow 0
		.amdhsa_exception_fp_ieee_underflow 0
		.amdhsa_exception_fp_ieee_inexact 0
		.amdhsa_exception_int_div_zero 0
	.end_amdhsa_kernel
	.section	.text._ZN9rocsparseL19gebsrmvn_3xn_kernelILj128ELj8ELj64EfEEvi20rocsparse_direction_NS_24const_host_device_scalarIT2_EEPKiS6_PKS3_S8_S4_PS3_21rocsparse_index_base_b,"axG",@progbits,_ZN9rocsparseL19gebsrmvn_3xn_kernelILj128ELj8ELj64EfEEvi20rocsparse_direction_NS_24const_host_device_scalarIT2_EEPKiS6_PKS3_S8_S4_PS3_21rocsparse_index_base_b,comdat
.Lfunc_end34:
	.size	_ZN9rocsparseL19gebsrmvn_3xn_kernelILj128ELj8ELj64EfEEvi20rocsparse_direction_NS_24const_host_device_scalarIT2_EEPKiS6_PKS3_S8_S4_PS3_21rocsparse_index_base_b, .Lfunc_end34-_ZN9rocsparseL19gebsrmvn_3xn_kernelILj128ELj8ELj64EfEEvi20rocsparse_direction_NS_24const_host_device_scalarIT2_EEPKiS6_PKS3_S8_S4_PS3_21rocsparse_index_base_b
                                        ; -- End function
	.section	.AMDGPU.csdata,"",@progbits
; Kernel info:
; codeLenInByte = 1892
; NumSgprs: 26
; NumVgprs: 56
; NumAgprs: 0
; TotalNumVgprs: 56
; ScratchSize: 0
; MemoryBound: 0
; FloatMode: 240
; IeeeMode: 1
; LDSByteSize: 0 bytes/workgroup (compile time only)
; SGPRBlocks: 3
; VGPRBlocks: 6
; NumSGPRsForWavesPerEU: 26
; NumVGPRsForWavesPerEU: 56
; AccumOffset: 56
; Occupancy: 8
; WaveLimiterHint : 1
; COMPUTE_PGM_RSRC2:SCRATCH_EN: 0
; COMPUTE_PGM_RSRC2:USER_SGPR: 2
; COMPUTE_PGM_RSRC2:TRAP_HANDLER: 0
; COMPUTE_PGM_RSRC2:TGID_X_EN: 1
; COMPUTE_PGM_RSRC2:TGID_Y_EN: 0
; COMPUTE_PGM_RSRC2:TGID_Z_EN: 0
; COMPUTE_PGM_RSRC2:TIDIG_COMP_CNT: 0
; COMPUTE_PGM_RSRC3_GFX90A:ACCUM_OFFSET: 13
; COMPUTE_PGM_RSRC3_GFX90A:TG_SPLIT: 0
	.section	.text._ZN9rocsparseL23gebsrmvn_general_kernelILj48ELj16EfEEvi20rocsparse_direction_NS_24const_host_device_scalarIT1_EEPKiS6_PKS3_iiS8_S4_PS3_21rocsparse_index_base_b,"axG",@progbits,_ZN9rocsparseL23gebsrmvn_general_kernelILj48ELj16EfEEvi20rocsparse_direction_NS_24const_host_device_scalarIT1_EEPKiS6_PKS3_iiS8_S4_PS3_21rocsparse_index_base_b,comdat
	.globl	_ZN9rocsparseL23gebsrmvn_general_kernelILj48ELj16EfEEvi20rocsparse_direction_NS_24const_host_device_scalarIT1_EEPKiS6_PKS3_iiS8_S4_PS3_21rocsparse_index_base_b ; -- Begin function _ZN9rocsparseL23gebsrmvn_general_kernelILj48ELj16EfEEvi20rocsparse_direction_NS_24const_host_device_scalarIT1_EEPKiS6_PKS3_iiS8_S4_PS3_21rocsparse_index_base_b
	.p2align	8
	.type	_ZN9rocsparseL23gebsrmvn_general_kernelILj48ELj16EfEEvi20rocsparse_direction_NS_24const_host_device_scalarIT1_EEPKiS6_PKS3_iiS8_S4_PS3_21rocsparse_index_base_b,@function
_ZN9rocsparseL23gebsrmvn_general_kernelILj48ELj16EfEEvi20rocsparse_direction_NS_24const_host_device_scalarIT1_EEPKiS6_PKS3_iiS8_S4_PS3_21rocsparse_index_base_b: ; @_ZN9rocsparseL23gebsrmvn_general_kernelILj48ELj16EfEEvi20rocsparse_direction_NS_24const_host_device_scalarIT1_EEPKiS6_PKS3_iiS8_S4_PS3_21rocsparse_index_base_b
; %bb.0:
	s_load_dwordx2 s[12:13], s[0:1], 0x48
	s_load_dwordx2 s[14:15], s[0:1], 0x8
	;; [unrolled: 1-line block ×3, first 2 shown]
	s_waitcnt lgkmcnt(0)
	s_bitcmp1_b32 s13, 0
	s_cselect_b64 s[6:7], -1, 0
	s_xor_b64 s[4:5], s[6:7], -1
	s_and_b64 vcc, exec, s[6:7]
	s_cbranch_vccnz .LBB35_2
; %bb.1:
	s_load_dword s14, s[14:15], 0x0
.LBB35_2:
	s_andn2_b64 vcc, exec, s[4:5]
	s_cbranch_vccnz .LBB35_4
; %bb.3:
	s_load_dword s16, s[16:17], 0x0
.LBB35_4:
	s_waitcnt lgkmcnt(0)
	v_cmp_eq_f32_e64 s[4:5], s14, 0
	v_cmp_eq_f32_e64 s[6:7], s16, 1.0
	s_and_b64 s[4:5], s[4:5], s[6:7]
	s_and_b64 vcc, exec, s[4:5]
	s_cbranch_vccnz .LBB35_24
; %bb.5:
	s_load_dwordx2 s[18:19], s[0:1], 0x28
	v_lshrrev_b32_e32 v2, 4, v0
	s_waitcnt lgkmcnt(0)
	v_cmp_gt_i32_e32 vcc, s18, v2
	s_and_saveexec_b64 s[4:5], vcc
	s_cbranch_execz .LBB35_24
; %bb.6:
	s_load_dwordx4 s[8:11], s[0:1], 0x10
	s_load_dword s17, s[0:1], 0x4
	s_ashr_i32 s3, s2, 31
	s_lshl_b64 s[4:5], s[2:3], 2
	v_and_b32_e32 v3, 15, v0
	s_waitcnt lgkmcnt(0)
	s_add_u32 s4, s8, s4
	s_addc_u32 s5, s9, s5
	s_load_dwordx2 s[6:7], s[4:5], 0x0
	s_load_dwordx2 s[8:9], s[0:1], 0x20
	;; [unrolled: 1-line block ×4, first 2 shown]
	v_cmp_gt_i32_e64 s[0:1], s19, v3
	s_waitcnt lgkmcnt(0)
	s_sub_i32 s13, s6, s12
	s_sub_i32 s15, s7, s12
	s_cmp_lt_i32 s6, s7
	s_cselect_b64 s[4:5], -1, 0
	s_cmp_lg_u32 s17, 0
	s_mul_i32 s17, s2, s18
	s_mul_i32 s2, s18, s13
	v_add_u32_e32 v0, s2, v2
	v_mul_lo_u32 v4, s19, v0
	v_cndmask_b32_e64 v0, 0, 1, s[4:5]
	s_cselect_b64 s[24:25], -1, 0
	v_cmp_eq_u32_e64 s[6:7], 15, v3
	v_cmp_eq_f32_e64 s[26:27], s16, 0
	s_mul_i32 s33, s19, 3
	s_mul_i32 s38, s19, s18
	s_mov_b64 s[2:3], 0
	v_cmp_ne_u32_e64 s[4:5], 1, v0
	s_branch .LBB35_8
.LBB35_7:                               ;   in Loop: Header=BB35_8 Depth=1
	s_or_b64 exec, exec, s[28:29]
	v_add_u32_e32 v2, 3, v2
	v_cmp_le_i32_e32 vcc, s18, v2
	s_or_b64 s[2:3], vcc, s[2:3]
	v_add_u32_e32 v4, s33, v4
	s_andn2_b64 exec, exec, s[2:3]
	s_cbranch_execz .LBB35_24
.LBB35_8:                               ; =>This Loop Header: Depth=1
                                        ;     Child Loop BB35_12 Depth 2
                                        ;       Child Loop BB35_15 Depth 3
	s_and_b64 vcc, exec, s[4:5]
	v_mov_b32_e32 v5, 0
	s_cbranch_vccnz .LBB35_19
; %bb.9:                                ;   in Loop: Header=BB35_8 Depth=1
	v_mov_b32_e32 v5, 0
	v_mov_b32_e32 v6, v4
	s_mov_b32 s28, s13
	s_branch .LBB35_12
.LBB35_10:                              ;   in Loop: Header=BB35_12 Depth=2
	s_or_b64 exec, exec, s[34:35]
.LBB35_11:                              ;   in Loop: Header=BB35_12 Depth=2
	s_or_b64 exec, exec, s[30:31]
	s_add_i32 s28, s28, 1
	s_cmp_ge_i32 s28, s15
	v_add_u32_e32 v6, s38, v6
	s_cbranch_scc1 .LBB35_19
.LBB35_12:                              ;   Parent Loop BB35_8 Depth=1
                                        ; =>  This Loop Header: Depth=2
                                        ;       Child Loop BB35_15 Depth 3
	s_and_saveexec_b64 s[30:31], s[0:1]
	s_cbranch_execz .LBB35_11
; %bb.13:                               ;   in Loop: Header=BB35_12 Depth=2
	s_ashr_i32 s29, s28, 31
	s_lshl_b64 s[34:35], s[28:29], 2
	s_add_u32 s34, s10, s34
	s_addc_u32 s35, s11, s35
	s_load_dword s36, s[34:35], 0x0
	s_mul_i32 s29, s28, s19
	s_mov_b64 s[34:35], 0
	v_mov_b32_e32 v7, v3
	s_waitcnt lgkmcnt(0)
	s_sub_i32 s39, s36, s12
	s_mul_i32 s39, s39, s19
	s_branch .LBB35_15
.LBB35_14:                              ;   in Loop: Header=BB35_15 Depth=3
	v_ashrrev_i32_e32 v1, 31, v0
	v_lshl_add_u64 v[0:1], v[0:1], 2, s[8:9]
	global_load_dword v8, v[0:1], off
	v_add_u32_e32 v0, s39, v7
	v_ashrrev_i32_e32 v1, 31, v0
	v_lshl_add_u64 v[0:1], v[0:1], 2, s[20:21]
	global_load_dword v0, v[0:1], off
	v_add_u32_e32 v7, 16, v7
	v_cmp_le_i32_e32 vcc, s19, v7
	s_or_b64 s[34:35], vcc, s[34:35]
	s_waitcnt vmcnt(0)
	v_fmac_f32_e32 v5, v8, v0
	s_andn2_b64 exec, exec, s[34:35]
	s_cbranch_execz .LBB35_10
.LBB35_15:                              ;   Parent Loop BB35_8 Depth=1
                                        ;     Parent Loop BB35_12 Depth=2
                                        ; =>    This Inner Loop Header: Depth=3
	s_and_b64 vcc, exec, s[24:25]
	s_cbranch_vccz .LBB35_17
; %bb.16:                               ;   in Loop: Header=BB35_15 Depth=3
	v_add_u32_e32 v0, s29, v7
	v_mad_u64_u32 v[0:1], s[36:37], v0, s18, v[2:3]
	s_cbranch_execnz .LBB35_14
	s_branch .LBB35_18
.LBB35_17:                              ;   in Loop: Header=BB35_15 Depth=3
                                        ; implicit-def: $vgpr0
.LBB35_18:                              ;   in Loop: Header=BB35_15 Depth=3
	v_add_u32_e32 v0, v6, v7
	s_branch .LBB35_14
.LBB35_19:                              ;   in Loop: Header=BB35_8 Depth=1
	s_nop 0
	v_mov_b32_dpp v0, v5 row_shr:1 row_mask:0xf bank_mask:0xf
	v_add_f32_e32 v0, v5, v0
	s_nop 1
	v_mov_b32_dpp v1, v0 row_shr:2 row_mask:0xf bank_mask:0xf
	v_add_f32_e32 v0, v0, v1
	;; [unrolled: 3-line block ×3, first 2 shown]
	s_nop 1
	v_mov_b32_dpp v1, v0 row_shr:8 row_mask:0xf bank_mask:0xc
	s_and_saveexec_b64 s[28:29], s[6:7]
	s_cbranch_execz .LBB35_7
; %bb.20:                               ;   in Loop: Header=BB35_8 Depth=1
	v_add_f32_e32 v0, v0, v1
	v_mul_f32_e32 v5, s14, v0
	v_add_u32_e32 v0, s17, v2
	s_and_b64 vcc, exec, s[26:27]
	v_ashrrev_i32_e32 v1, 31, v0
	s_cbranch_vccz .LBB35_22
; %bb.21:                               ;   in Loop: Header=BB35_8 Depth=1
	v_lshl_add_u64 v[6:7], v[0:1], 2, s[22:23]
	global_store_dword v[6:7], v5, off
	s_cbranch_execnz .LBB35_7
	s_branch .LBB35_23
.LBB35_22:                              ;   in Loop: Header=BB35_8 Depth=1
.LBB35_23:                              ;   in Loop: Header=BB35_8 Depth=1
	v_lshl_add_u64 v[0:1], v[0:1], 2, s[22:23]
	global_load_dword v6, v[0:1], off
	s_waitcnt vmcnt(0)
	v_fmac_f32_e32 v5, s16, v6
	global_store_dword v[0:1], v5, off
	s_branch .LBB35_7
.LBB35_24:
	s_endpgm
	.section	.rodata,"a",@progbits
	.p2align	6, 0x0
	.amdhsa_kernel _ZN9rocsparseL23gebsrmvn_general_kernelILj48ELj16EfEEvi20rocsparse_direction_NS_24const_host_device_scalarIT1_EEPKiS6_PKS3_iiS8_S4_PS3_21rocsparse_index_base_b
		.amdhsa_group_segment_fixed_size 0
		.amdhsa_private_segment_fixed_size 0
		.amdhsa_kernarg_size 80
		.amdhsa_user_sgpr_count 2
		.amdhsa_user_sgpr_dispatch_ptr 0
		.amdhsa_user_sgpr_queue_ptr 0
		.amdhsa_user_sgpr_kernarg_segment_ptr 1
		.amdhsa_user_sgpr_dispatch_id 0
		.amdhsa_user_sgpr_kernarg_preload_length 0
		.amdhsa_user_sgpr_kernarg_preload_offset 0
		.amdhsa_user_sgpr_private_segment_size 0
		.amdhsa_uses_dynamic_stack 0
		.amdhsa_enable_private_segment 0
		.amdhsa_system_sgpr_workgroup_id_x 1
		.amdhsa_system_sgpr_workgroup_id_y 0
		.amdhsa_system_sgpr_workgroup_id_z 0
		.amdhsa_system_sgpr_workgroup_info 0
		.amdhsa_system_vgpr_workitem_id 0
		.amdhsa_next_free_vgpr 9
		.amdhsa_next_free_sgpr 40
		.amdhsa_accum_offset 12
		.amdhsa_reserve_vcc 1
		.amdhsa_float_round_mode_32 0
		.amdhsa_float_round_mode_16_64 0
		.amdhsa_float_denorm_mode_32 3
		.amdhsa_float_denorm_mode_16_64 3
		.amdhsa_dx10_clamp 1
		.amdhsa_ieee_mode 1
		.amdhsa_fp16_overflow 0
		.amdhsa_tg_split 0
		.amdhsa_exception_fp_ieee_invalid_op 0
		.amdhsa_exception_fp_denorm_src 0
		.amdhsa_exception_fp_ieee_div_zero 0
		.amdhsa_exception_fp_ieee_overflow 0
		.amdhsa_exception_fp_ieee_underflow 0
		.amdhsa_exception_fp_ieee_inexact 0
		.amdhsa_exception_int_div_zero 0
	.end_amdhsa_kernel
	.section	.text._ZN9rocsparseL23gebsrmvn_general_kernelILj48ELj16EfEEvi20rocsparse_direction_NS_24const_host_device_scalarIT1_EEPKiS6_PKS3_iiS8_S4_PS3_21rocsparse_index_base_b,"axG",@progbits,_ZN9rocsparseL23gebsrmvn_general_kernelILj48ELj16EfEEvi20rocsparse_direction_NS_24const_host_device_scalarIT1_EEPKiS6_PKS3_iiS8_S4_PS3_21rocsparse_index_base_b,comdat
.Lfunc_end35:
	.size	_ZN9rocsparseL23gebsrmvn_general_kernelILj48ELj16EfEEvi20rocsparse_direction_NS_24const_host_device_scalarIT1_EEPKiS6_PKS3_iiS8_S4_PS3_21rocsparse_index_base_b, .Lfunc_end35-_ZN9rocsparseL23gebsrmvn_general_kernelILj48ELj16EfEEvi20rocsparse_direction_NS_24const_host_device_scalarIT1_EEPKiS6_PKS3_iiS8_S4_PS3_21rocsparse_index_base_b
                                        ; -- End function
	.section	.AMDGPU.csdata,"",@progbits
; Kernel info:
; codeLenInByte = 712
; NumSgprs: 46
; NumVgprs: 9
; NumAgprs: 0
; TotalNumVgprs: 9
; ScratchSize: 0
; MemoryBound: 0
; FloatMode: 240
; IeeeMode: 1
; LDSByteSize: 0 bytes/workgroup (compile time only)
; SGPRBlocks: 5
; VGPRBlocks: 1
; NumSGPRsForWavesPerEU: 46
; NumVGPRsForWavesPerEU: 9
; AccumOffset: 12
; Occupancy: 8
; WaveLimiterHint : 1
; COMPUTE_PGM_RSRC2:SCRATCH_EN: 0
; COMPUTE_PGM_RSRC2:USER_SGPR: 2
; COMPUTE_PGM_RSRC2:TRAP_HANDLER: 0
; COMPUTE_PGM_RSRC2:TGID_X_EN: 1
; COMPUTE_PGM_RSRC2:TGID_Y_EN: 0
; COMPUTE_PGM_RSRC2:TGID_Z_EN: 0
; COMPUTE_PGM_RSRC2:TIDIG_COMP_CNT: 0
; COMPUTE_PGM_RSRC3_GFX90A:ACCUM_OFFSET: 2
; COMPUTE_PGM_RSRC3_GFX90A:TG_SPLIT: 0
	.section	.text._ZN9rocsparseL23gebsrmvn_general_kernelILj96ELj32EfEEvi20rocsparse_direction_NS_24const_host_device_scalarIT1_EEPKiS6_PKS3_iiS8_S4_PS3_21rocsparse_index_base_b,"axG",@progbits,_ZN9rocsparseL23gebsrmvn_general_kernelILj96ELj32EfEEvi20rocsparse_direction_NS_24const_host_device_scalarIT1_EEPKiS6_PKS3_iiS8_S4_PS3_21rocsparse_index_base_b,comdat
	.globl	_ZN9rocsparseL23gebsrmvn_general_kernelILj96ELj32EfEEvi20rocsparse_direction_NS_24const_host_device_scalarIT1_EEPKiS6_PKS3_iiS8_S4_PS3_21rocsparse_index_base_b ; -- Begin function _ZN9rocsparseL23gebsrmvn_general_kernelILj96ELj32EfEEvi20rocsparse_direction_NS_24const_host_device_scalarIT1_EEPKiS6_PKS3_iiS8_S4_PS3_21rocsparse_index_base_b
	.p2align	8
	.type	_ZN9rocsparseL23gebsrmvn_general_kernelILj96ELj32EfEEvi20rocsparse_direction_NS_24const_host_device_scalarIT1_EEPKiS6_PKS3_iiS8_S4_PS3_21rocsparse_index_base_b,@function
_ZN9rocsparseL23gebsrmvn_general_kernelILj96ELj32EfEEvi20rocsparse_direction_NS_24const_host_device_scalarIT1_EEPKiS6_PKS3_iiS8_S4_PS3_21rocsparse_index_base_b: ; @_ZN9rocsparseL23gebsrmvn_general_kernelILj96ELj32EfEEvi20rocsparse_direction_NS_24const_host_device_scalarIT1_EEPKiS6_PKS3_iiS8_S4_PS3_21rocsparse_index_base_b
; %bb.0:
	s_load_dwordx2 s[12:13], s[0:1], 0x48
	s_load_dwordx2 s[14:15], s[0:1], 0x8
	;; [unrolled: 1-line block ×3, first 2 shown]
	s_waitcnt lgkmcnt(0)
	s_bitcmp1_b32 s13, 0
	s_cselect_b64 s[6:7], -1, 0
	s_xor_b64 s[4:5], s[6:7], -1
	s_and_b64 vcc, exec, s[6:7]
	s_cbranch_vccnz .LBB36_2
; %bb.1:
	s_load_dword s14, s[14:15], 0x0
.LBB36_2:
	s_andn2_b64 vcc, exec, s[4:5]
	s_cbranch_vccnz .LBB36_4
; %bb.3:
	s_load_dword s16, s[16:17], 0x0
.LBB36_4:
	s_waitcnt lgkmcnt(0)
	v_cmp_eq_f32_e64 s[4:5], s14, 0
	v_cmp_eq_f32_e64 s[6:7], s16, 1.0
	s_and_b64 s[4:5], s[4:5], s[6:7]
	s_and_b64 vcc, exec, s[4:5]
	s_cbranch_vccnz .LBB36_24
; %bb.5:
	s_load_dwordx2 s[18:19], s[0:1], 0x28
	v_lshrrev_b32_e32 v2, 5, v0
	s_waitcnt lgkmcnt(0)
	v_cmp_gt_i32_e32 vcc, s18, v2
	s_and_saveexec_b64 s[4:5], vcc
	s_cbranch_execz .LBB36_24
; %bb.6:
	s_load_dwordx4 s[8:11], s[0:1], 0x10
	s_load_dword s17, s[0:1], 0x4
	s_ashr_i32 s3, s2, 31
	s_lshl_b64 s[4:5], s[2:3], 2
	v_and_b32_e32 v3, 31, v0
	s_waitcnt lgkmcnt(0)
	s_add_u32 s4, s8, s4
	s_addc_u32 s5, s9, s5
	s_load_dwordx2 s[6:7], s[4:5], 0x0
	s_load_dwordx2 s[8:9], s[0:1], 0x20
	;; [unrolled: 1-line block ×4, first 2 shown]
	v_cmp_gt_i32_e64 s[0:1], s19, v3
	s_waitcnt lgkmcnt(0)
	s_sub_i32 s13, s6, s12
	s_sub_i32 s15, s7, s12
	s_cmp_lt_i32 s6, s7
	s_cselect_b64 s[4:5], -1, 0
	s_cmp_lg_u32 s17, 0
	s_mul_i32 s17, s2, s18
	s_mul_i32 s2, s18, s13
	v_add_u32_e32 v0, s2, v2
	v_mul_lo_u32 v4, s19, v0
	v_cndmask_b32_e64 v0, 0, 1, s[4:5]
	s_cselect_b64 s[24:25], -1, 0
	v_cmp_eq_u32_e64 s[6:7], 31, v3
	v_cmp_eq_f32_e64 s[26:27], s16, 0
	s_mul_i32 s33, s19, 3
	s_mul_i32 s38, s19, s18
	s_mov_b64 s[2:3], 0
	v_cmp_ne_u32_e64 s[4:5], 1, v0
	s_branch .LBB36_8
.LBB36_7:                               ;   in Loop: Header=BB36_8 Depth=1
	s_or_b64 exec, exec, s[28:29]
	v_add_u32_e32 v2, 3, v2
	v_cmp_le_i32_e32 vcc, s18, v2
	s_or_b64 s[2:3], vcc, s[2:3]
	v_add_u32_e32 v4, s33, v4
	s_andn2_b64 exec, exec, s[2:3]
	s_cbranch_execz .LBB36_24
.LBB36_8:                               ; =>This Loop Header: Depth=1
                                        ;     Child Loop BB36_12 Depth 2
                                        ;       Child Loop BB36_15 Depth 3
	s_and_b64 vcc, exec, s[4:5]
	v_mov_b32_e32 v5, 0
	s_cbranch_vccnz .LBB36_19
; %bb.9:                                ;   in Loop: Header=BB36_8 Depth=1
	v_mov_b32_e32 v5, 0
	v_mov_b32_e32 v6, v4
	s_mov_b32 s28, s13
	s_branch .LBB36_12
.LBB36_10:                              ;   in Loop: Header=BB36_12 Depth=2
	s_or_b64 exec, exec, s[34:35]
.LBB36_11:                              ;   in Loop: Header=BB36_12 Depth=2
	s_or_b64 exec, exec, s[30:31]
	s_add_i32 s28, s28, 1
	s_cmp_ge_i32 s28, s15
	v_add_u32_e32 v6, s38, v6
	s_cbranch_scc1 .LBB36_19
.LBB36_12:                              ;   Parent Loop BB36_8 Depth=1
                                        ; =>  This Loop Header: Depth=2
                                        ;       Child Loop BB36_15 Depth 3
	s_and_saveexec_b64 s[30:31], s[0:1]
	s_cbranch_execz .LBB36_11
; %bb.13:                               ;   in Loop: Header=BB36_12 Depth=2
	s_ashr_i32 s29, s28, 31
	s_lshl_b64 s[34:35], s[28:29], 2
	s_add_u32 s34, s10, s34
	s_addc_u32 s35, s11, s35
	s_load_dword s36, s[34:35], 0x0
	s_mul_i32 s29, s28, s19
	s_mov_b64 s[34:35], 0
	v_mov_b32_e32 v7, v3
	s_waitcnt lgkmcnt(0)
	s_sub_i32 s39, s36, s12
	s_mul_i32 s39, s39, s19
	s_branch .LBB36_15
.LBB36_14:                              ;   in Loop: Header=BB36_15 Depth=3
	v_ashrrev_i32_e32 v1, 31, v0
	v_lshl_add_u64 v[0:1], v[0:1], 2, s[8:9]
	global_load_dword v8, v[0:1], off
	v_add_u32_e32 v0, s39, v7
	v_ashrrev_i32_e32 v1, 31, v0
	v_lshl_add_u64 v[0:1], v[0:1], 2, s[20:21]
	global_load_dword v0, v[0:1], off
	v_add_u32_e32 v7, 32, v7
	v_cmp_le_i32_e32 vcc, s19, v7
	s_or_b64 s[34:35], vcc, s[34:35]
	s_waitcnt vmcnt(0)
	v_fmac_f32_e32 v5, v8, v0
	s_andn2_b64 exec, exec, s[34:35]
	s_cbranch_execz .LBB36_10
.LBB36_15:                              ;   Parent Loop BB36_8 Depth=1
                                        ;     Parent Loop BB36_12 Depth=2
                                        ; =>    This Inner Loop Header: Depth=3
	s_and_b64 vcc, exec, s[24:25]
	s_cbranch_vccz .LBB36_17
; %bb.16:                               ;   in Loop: Header=BB36_15 Depth=3
	v_add_u32_e32 v0, s29, v7
	v_mad_u64_u32 v[0:1], s[36:37], v0, s18, v[2:3]
	s_cbranch_execnz .LBB36_14
	s_branch .LBB36_18
.LBB36_17:                              ;   in Loop: Header=BB36_15 Depth=3
                                        ; implicit-def: $vgpr0
.LBB36_18:                              ;   in Loop: Header=BB36_15 Depth=3
	v_add_u32_e32 v0, v6, v7
	s_branch .LBB36_14
.LBB36_19:                              ;   in Loop: Header=BB36_8 Depth=1
	s_nop 0
	v_mov_b32_dpp v0, v5 row_shr:1 row_mask:0xf bank_mask:0xf
	v_add_f32_e32 v0, v5, v0
	s_nop 1
	v_mov_b32_dpp v1, v0 row_shr:2 row_mask:0xf bank_mask:0xf
	v_add_f32_e32 v0, v0, v1
	s_nop 1
	v_mov_b32_dpp v1, v0 row_shr:4 row_mask:0xf bank_mask:0xe
	v_add_f32_e32 v0, v0, v1
	s_nop 1
	v_mov_b32_dpp v1, v0 row_shr:8 row_mask:0xf bank_mask:0xc
	v_add_f32_e32 v0, v0, v1
	s_nop 1
	v_mov_b32_dpp v1, v0 row_bcast:15 row_mask:0xa bank_mask:0xf
	s_and_saveexec_b64 s[28:29], s[6:7]
	s_cbranch_execz .LBB36_7
; %bb.20:                               ;   in Loop: Header=BB36_8 Depth=1
	v_add_f32_e32 v0, v0, v1
	v_mul_f32_e32 v5, s14, v0
	v_add_u32_e32 v0, s17, v2
	s_and_b64 vcc, exec, s[26:27]
	v_ashrrev_i32_e32 v1, 31, v0
	s_cbranch_vccz .LBB36_22
; %bb.21:                               ;   in Loop: Header=BB36_8 Depth=1
	v_lshl_add_u64 v[6:7], v[0:1], 2, s[22:23]
	global_store_dword v[6:7], v5, off
	s_cbranch_execnz .LBB36_7
	s_branch .LBB36_23
.LBB36_22:                              ;   in Loop: Header=BB36_8 Depth=1
.LBB36_23:                              ;   in Loop: Header=BB36_8 Depth=1
	v_lshl_add_u64 v[0:1], v[0:1], 2, s[22:23]
	global_load_dword v6, v[0:1], off
	s_waitcnt vmcnt(0)
	v_fmac_f32_e32 v5, s16, v6
	global_store_dword v[0:1], v5, off
	s_branch .LBB36_7
.LBB36_24:
	s_endpgm
	.section	.rodata,"a",@progbits
	.p2align	6, 0x0
	.amdhsa_kernel _ZN9rocsparseL23gebsrmvn_general_kernelILj96ELj32EfEEvi20rocsparse_direction_NS_24const_host_device_scalarIT1_EEPKiS6_PKS3_iiS8_S4_PS3_21rocsparse_index_base_b
		.amdhsa_group_segment_fixed_size 0
		.amdhsa_private_segment_fixed_size 0
		.amdhsa_kernarg_size 80
		.amdhsa_user_sgpr_count 2
		.amdhsa_user_sgpr_dispatch_ptr 0
		.amdhsa_user_sgpr_queue_ptr 0
		.amdhsa_user_sgpr_kernarg_segment_ptr 1
		.amdhsa_user_sgpr_dispatch_id 0
		.amdhsa_user_sgpr_kernarg_preload_length 0
		.amdhsa_user_sgpr_kernarg_preload_offset 0
		.amdhsa_user_sgpr_private_segment_size 0
		.amdhsa_uses_dynamic_stack 0
		.amdhsa_enable_private_segment 0
		.amdhsa_system_sgpr_workgroup_id_x 1
		.amdhsa_system_sgpr_workgroup_id_y 0
		.amdhsa_system_sgpr_workgroup_id_z 0
		.amdhsa_system_sgpr_workgroup_info 0
		.amdhsa_system_vgpr_workitem_id 0
		.amdhsa_next_free_vgpr 9
		.amdhsa_next_free_sgpr 40
		.amdhsa_accum_offset 12
		.amdhsa_reserve_vcc 1
		.amdhsa_float_round_mode_32 0
		.amdhsa_float_round_mode_16_64 0
		.amdhsa_float_denorm_mode_32 3
		.amdhsa_float_denorm_mode_16_64 3
		.amdhsa_dx10_clamp 1
		.amdhsa_ieee_mode 1
		.amdhsa_fp16_overflow 0
		.amdhsa_tg_split 0
		.amdhsa_exception_fp_ieee_invalid_op 0
		.amdhsa_exception_fp_denorm_src 0
		.amdhsa_exception_fp_ieee_div_zero 0
		.amdhsa_exception_fp_ieee_overflow 0
		.amdhsa_exception_fp_ieee_underflow 0
		.amdhsa_exception_fp_ieee_inexact 0
		.amdhsa_exception_int_div_zero 0
	.end_amdhsa_kernel
	.section	.text._ZN9rocsparseL23gebsrmvn_general_kernelILj96ELj32EfEEvi20rocsparse_direction_NS_24const_host_device_scalarIT1_EEPKiS6_PKS3_iiS8_S4_PS3_21rocsparse_index_base_b,"axG",@progbits,_ZN9rocsparseL23gebsrmvn_general_kernelILj96ELj32EfEEvi20rocsparse_direction_NS_24const_host_device_scalarIT1_EEPKiS6_PKS3_iiS8_S4_PS3_21rocsparse_index_base_b,comdat
.Lfunc_end36:
	.size	_ZN9rocsparseL23gebsrmvn_general_kernelILj96ELj32EfEEvi20rocsparse_direction_NS_24const_host_device_scalarIT1_EEPKiS6_PKS3_iiS8_S4_PS3_21rocsparse_index_base_b, .Lfunc_end36-_ZN9rocsparseL23gebsrmvn_general_kernelILj96ELj32EfEEvi20rocsparse_direction_NS_24const_host_device_scalarIT1_EEPKiS6_PKS3_iiS8_S4_PS3_21rocsparse_index_base_b
                                        ; -- End function
	.section	.AMDGPU.csdata,"",@progbits
; Kernel info:
; codeLenInByte = 728
; NumSgprs: 46
; NumVgprs: 9
; NumAgprs: 0
; TotalNumVgprs: 9
; ScratchSize: 0
; MemoryBound: 0
; FloatMode: 240
; IeeeMode: 1
; LDSByteSize: 0 bytes/workgroup (compile time only)
; SGPRBlocks: 5
; VGPRBlocks: 1
; NumSGPRsForWavesPerEU: 46
; NumVGPRsForWavesPerEU: 9
; AccumOffset: 12
; Occupancy: 8
; WaveLimiterHint : 1
; COMPUTE_PGM_RSRC2:SCRATCH_EN: 0
; COMPUTE_PGM_RSRC2:USER_SGPR: 2
; COMPUTE_PGM_RSRC2:TRAP_HANDLER: 0
; COMPUTE_PGM_RSRC2:TGID_X_EN: 1
; COMPUTE_PGM_RSRC2:TGID_Y_EN: 0
; COMPUTE_PGM_RSRC2:TGID_Z_EN: 0
; COMPUTE_PGM_RSRC2:TIDIG_COMP_CNT: 0
; COMPUTE_PGM_RSRC3_GFX90A:ACCUM_OFFSET: 2
; COMPUTE_PGM_RSRC3_GFX90A:TG_SPLIT: 0
	.section	.text._ZN9rocsparseL19gebsrmvn_3xn_kernelILj128ELj1ELj4EdEEvi20rocsparse_direction_NS_24const_host_device_scalarIT2_EEPKiS6_PKS3_S8_S4_PS3_21rocsparse_index_base_b,"axG",@progbits,_ZN9rocsparseL19gebsrmvn_3xn_kernelILj128ELj1ELj4EdEEvi20rocsparse_direction_NS_24const_host_device_scalarIT2_EEPKiS6_PKS3_S8_S4_PS3_21rocsparse_index_base_b,comdat
	.globl	_ZN9rocsparseL19gebsrmvn_3xn_kernelILj128ELj1ELj4EdEEvi20rocsparse_direction_NS_24const_host_device_scalarIT2_EEPKiS6_PKS3_S8_S4_PS3_21rocsparse_index_base_b ; -- Begin function _ZN9rocsparseL19gebsrmvn_3xn_kernelILj128ELj1ELj4EdEEvi20rocsparse_direction_NS_24const_host_device_scalarIT2_EEPKiS6_PKS3_S8_S4_PS3_21rocsparse_index_base_b
	.p2align	8
	.type	_ZN9rocsparseL19gebsrmvn_3xn_kernelILj128ELj1ELj4EdEEvi20rocsparse_direction_NS_24const_host_device_scalarIT2_EEPKiS6_PKS3_S8_S4_PS3_21rocsparse_index_base_b,@function
_ZN9rocsparseL19gebsrmvn_3xn_kernelILj128ELj1ELj4EdEEvi20rocsparse_direction_NS_24const_host_device_scalarIT2_EEPKiS6_PKS3_S8_S4_PS3_21rocsparse_index_base_b: ; @_ZN9rocsparseL19gebsrmvn_3xn_kernelILj128ELj1ELj4EdEEvi20rocsparse_direction_NS_24const_host_device_scalarIT2_EEPKiS6_PKS3_S8_S4_PS3_21rocsparse_index_base_b
; %bb.0:
	s_load_dwordx2 s[12:13], s[0:1], 0x40
	s_load_dwordx2 s[8:9], s[0:1], 0x8
	;; [unrolled: 1-line block ×3, first 2 shown]
	s_waitcnt lgkmcnt(0)
	s_bitcmp1_b32 s13, 0
	s_cselect_b64 s[10:11], -1, 0
	s_xor_b64 s[6:7], s[10:11], -1
	s_and_b64 vcc, exec, s[10:11]
	v_mov_b64_e32 v[2:3], s[8:9]
	s_cbranch_vccnz .LBB37_2
; %bb.1:
	v_mov_b64_e32 v[2:3], s[8:9]
	flat_load_dwordx2 v[2:3], v[2:3]
.LBB37_2:
	s_andn2_b64 vcc, exec, s[6:7]
	v_mov_b64_e32 v[4:5], s[4:5]
	s_cbranch_vccnz .LBB37_4
; %bb.3:
	v_mov_b64_e32 v[4:5], s[4:5]
	flat_load_dwordx2 v[4:5], v[4:5]
.LBB37_4:
	s_waitcnt vmcnt(0) lgkmcnt(0)
	v_cmp_neq_f64_e32 vcc, 0, v[2:3]
	v_cmp_neq_f64_e64 s[4:5], 1.0, v[4:5]
	s_or_b64 s[4:5], vcc, s[4:5]
	s_and_saveexec_b64 s[6:7], s[4:5]
	s_cbranch_execz .LBB37_23
; %bb.5:
	s_load_dwordx2 s[14:15], s[0:1], 0x0
	v_lshrrev_b32_e32 v1, 2, v0
	v_lshl_or_b32 v6, s2, 5, v1
	s_waitcnt lgkmcnt(0)
	v_cmp_gt_i32_e32 vcc, s14, v6
	s_and_b64 exec, exec, vcc
	s_cbranch_execz .LBB37_23
; %bb.6:
	s_load_dwordx8 s[4:11], s[0:1], 0x10
	v_ashrrev_i32_e32 v7, 31, v6
	s_cmp_lg_u32 s15, 0
	s_waitcnt lgkmcnt(0)
	v_lshl_add_u64 v[8:9], v[6:7], 2, s[4:5]
	global_load_dwordx2 v[8:9], v[8:9], off
	v_and_b32_e32 v7, 3, v0
	s_waitcnt vmcnt(0)
	v_subrev_u32_e32 v0, s12, v8
	v_subrev_u32_e32 v18, s12, v9
	v_add_u32_e32 v10, v0, v7
	v_cmp_lt_i32_e64 s[2:3], v10, v18
	s_cbranch_scc0 .LBB37_12
; %bb.7:
	v_mov_b64_e32 v[0:1], 0
	s_mov_b64 s[4:5], 0
	v_mov_b64_e32 v[8:9], v[0:1]
	v_mov_b64_e32 v[12:13], v[0:1]
	s_and_saveexec_b64 s[14:15], s[2:3]
	s_cbranch_execz .LBB37_11
; %bb.8:
	v_mov_b64_e32 v[0:1], 0
	v_lshl_add_u32 v14, v10, 1, v10
	s_mov_b64 s[16:17], 0
	v_mov_b32_e32 v15, 0
	v_mov_b32_e32 v16, v10
	v_mov_b64_e32 v[8:9], v[0:1]
	v_mov_b64_e32 v[12:13], v[0:1]
.LBB37_9:                               ; =>This Inner Loop Header: Depth=1
	v_ashrrev_i32_e32 v17, 31, v16
	v_lshl_add_u64 v[20:21], v[16:17], 2, s[6:7]
	global_load_dword v11, v[20:21], off
	v_mov_b32_e32 v23, v15
	v_add_u32_e32 v24, 1, v14
	v_mov_b32_e32 v25, v15
	v_lshl_add_u64 v[20:21], v[14:15], 3, s[8:9]
	v_add_u32_e32 v26, 2, v14
	v_mov_b32_e32 v27, v15
	v_lshl_add_u64 v[24:25], v[24:25], 3, s[8:9]
	global_load_dwordx2 v[20:21], v[20:21], off
	v_lshl_add_u64 v[26:27], v[26:27], 3, s[8:9]
	global_load_dwordx2 v[28:29], v[24:25], off
	global_load_dwordx2 v[30:31], v[26:27], off
	v_add_u32_e32 v16, 4, v16
	v_cmp_ge_i32_e32 vcc, v16, v18
	v_add_u32_e32 v14, 12, v14
	s_or_b64 s[16:17], vcc, s[16:17]
	s_waitcnt vmcnt(3)
	v_subrev_u32_e32 v22, s12, v11
	v_lshl_add_u64 v[22:23], v[22:23], 3, s[10:11]
	global_load_dwordx2 v[22:23], v[22:23], off
	s_waitcnt vmcnt(0)
	v_fmac_f64_e32 v[0:1], v[20:21], v[22:23]
	v_fmac_f64_e32 v[12:13], v[28:29], v[22:23]
	;; [unrolled: 1-line block ×3, first 2 shown]
	s_andn2_b64 exec, exec, s[16:17]
	s_cbranch_execnz .LBB37_9
; %bb.10:
	s_or_b64 exec, exec, s[16:17]
.LBB37_11:
	s_or_b64 exec, exec, s[14:15]
	s_andn2_b64 vcc, exec, s[4:5]
	s_cbranch_vccz .LBB37_13
	s_branch .LBB37_18
.LBB37_12:
                                        ; implicit-def: $vgpr0_vgpr1
                                        ; implicit-def: $vgpr8_vgpr9
                                        ; implicit-def: $vgpr12_vgpr13
.LBB37_13:
	v_mov_b64_e32 v[0:1], 0
	v_mov_b64_e32 v[8:9], v[0:1]
	v_mov_b64_e32 v[12:13], v[0:1]
	s_and_saveexec_b64 s[4:5], s[2:3]
	s_cbranch_execz .LBB37_17
; %bb.14:
	v_mov_b64_e32 v[0:1], 0
	v_lshl_add_u32 v14, v10, 1, v10
	s_mov_b64 s[2:3], 0
	v_mov_b32_e32 v15, 0
	v_mov_b64_e32 v[8:9], v[0:1]
	v_mov_b64_e32 v[12:13], v[0:1]
.LBB37_15:                              ; =>This Inner Loop Header: Depth=1
	v_ashrrev_i32_e32 v11, 31, v10
	v_lshl_add_u64 v[16:17], v[10:11], 2, s[6:7]
	global_load_dword v11, v[16:17], off
	v_mov_b32_e32 v21, v15
	v_add_u32_e32 v22, 1, v14
	v_mov_b32_e32 v23, v15
	v_lshl_add_u64 v[16:17], v[14:15], 3, s[8:9]
	v_add_u32_e32 v24, 2, v14
	v_mov_b32_e32 v25, v15
	v_lshl_add_u64 v[22:23], v[22:23], 3, s[8:9]
	global_load_dwordx2 v[16:17], v[16:17], off
	v_lshl_add_u64 v[24:25], v[24:25], 3, s[8:9]
	global_load_dwordx2 v[26:27], v[22:23], off
	global_load_dwordx2 v[28:29], v[24:25], off
	v_add_u32_e32 v10, 4, v10
	v_cmp_ge_i32_e32 vcc, v10, v18
	v_add_u32_e32 v14, 12, v14
	s_or_b64 s[2:3], vcc, s[2:3]
	s_waitcnt vmcnt(3)
	v_subrev_u32_e32 v20, s12, v11
	v_lshl_add_u64 v[20:21], v[20:21], 3, s[10:11]
	global_load_dwordx2 v[20:21], v[20:21], off
	s_waitcnt vmcnt(0)
	v_fmac_f64_e32 v[0:1], v[16:17], v[20:21]
	v_fmac_f64_e32 v[12:13], v[26:27], v[20:21]
	;; [unrolled: 1-line block ×3, first 2 shown]
	s_andn2_b64 exec, exec, s[2:3]
	s_cbranch_execnz .LBB37_15
; %bb.16:
	s_or_b64 exec, exec, s[2:3]
.LBB37_17:
	s_or_b64 exec, exec, s[4:5]
.LBB37_18:
	v_mov_b32_dpp v10, v0 row_shr:1 row_mask:0xf bank_mask:0xf
	v_mov_b32_dpp v11, v1 row_shr:1 row_mask:0xf bank_mask:0xf
	;; [unrolled: 1-line block ×6, first 2 shown]
	v_add_f64 v[0:1], v[0:1], v[10:11]
	v_add_f64 v[12:13], v[12:13], v[14:15]
	;; [unrolled: 1-line block ×3, first 2 shown]
	v_mov_b32_dpp v10, v0 row_shr:2 row_mask:0xf bank_mask:0xf
	v_mov_b32_dpp v11, v1 row_shr:2 row_mask:0xf bank_mask:0xf
	;; [unrolled: 1-line block ×6, first 2 shown]
	v_cmp_eq_u32_e32 vcc, 3, v7
	s_and_b64 exec, exec, vcc
	s_cbranch_execz .LBB37_23
; %bb.19:
	s_load_dwordx2 s[0:1], s[0:1], 0x38
	v_add_f64 v[10:11], v[0:1], v[10:11]
	v_add_f64 v[8:9], v[12:13], v[14:15]
	;; [unrolled: 1-line block ×3, first 2 shown]
	v_cmp_eq_f64_e32 vcc, 0, v[4:5]
	s_and_saveexec_b64 s[2:3], vcc
	s_xor_b64 s[2:3], exec, s[2:3]
	s_cbranch_execz .LBB37_21
; %bb.20:
	v_lshl_add_u32 v6, v6, 1, v6
	v_ashrrev_i32_e32 v7, 31, v6
	v_mul_f64 v[4:5], v[2:3], v[10:11]
	s_waitcnt lgkmcnt(0)
	v_lshl_add_u64 v[10:11], v[6:7], 3, s[0:1]
	v_mul_f64 v[6:7], v[2:3], v[8:9]
	v_mul_f64 v[0:1], v[2:3], v[0:1]
	global_store_dwordx4 v[10:11], v[4:7], off
	global_store_dwordx2 v[10:11], v[0:1], off offset:16
                                        ; implicit-def: $vgpr6
                                        ; implicit-def: $vgpr2_vgpr3
                                        ; implicit-def: $vgpr10_vgpr11
                                        ; implicit-def: $vgpr4_vgpr5
                                        ; implicit-def: $vgpr8_vgpr9
                                        ; implicit-def: $vgpr0_vgpr1
.LBB37_21:
	s_andn2_saveexec_b64 s[2:3], s[2:3]
	s_cbranch_execz .LBB37_23
; %bb.22:
	v_lshl_add_u32 v6, v6, 1, v6
	v_ashrrev_i32_e32 v7, 31, v6
	s_waitcnt lgkmcnt(0)
	v_lshl_add_u64 v[16:17], v[6:7], 3, s[0:1]
	global_load_dwordx4 v[12:15], v[16:17], off
	global_load_dwordx2 v[18:19], v[16:17], off offset:16
	v_mul_f64 v[6:7], v[2:3], v[10:11]
	v_mul_f64 v[8:9], v[2:3], v[8:9]
	v_mul_f64 v[0:1], v[2:3], v[0:1]
	s_waitcnt vmcnt(1)
	v_fmac_f64_e32 v[6:7], v[4:5], v[12:13]
	v_fmac_f64_e32 v[8:9], v[4:5], v[14:15]
	s_waitcnt vmcnt(0)
	v_fmac_f64_e32 v[0:1], v[4:5], v[18:19]
	global_store_dwordx4 v[16:17], v[6:9], off
	global_store_dwordx2 v[16:17], v[0:1], off offset:16
.LBB37_23:
	s_endpgm
	.section	.rodata,"a",@progbits
	.p2align	6, 0x0
	.amdhsa_kernel _ZN9rocsparseL19gebsrmvn_3xn_kernelILj128ELj1ELj4EdEEvi20rocsparse_direction_NS_24const_host_device_scalarIT2_EEPKiS6_PKS3_S8_S4_PS3_21rocsparse_index_base_b
		.amdhsa_group_segment_fixed_size 0
		.amdhsa_private_segment_fixed_size 0
		.amdhsa_kernarg_size 72
		.amdhsa_user_sgpr_count 2
		.amdhsa_user_sgpr_dispatch_ptr 0
		.amdhsa_user_sgpr_queue_ptr 0
		.amdhsa_user_sgpr_kernarg_segment_ptr 1
		.amdhsa_user_sgpr_dispatch_id 0
		.amdhsa_user_sgpr_kernarg_preload_length 0
		.amdhsa_user_sgpr_kernarg_preload_offset 0
		.amdhsa_user_sgpr_private_segment_size 0
		.amdhsa_uses_dynamic_stack 0
		.amdhsa_enable_private_segment 0
		.amdhsa_system_sgpr_workgroup_id_x 1
		.amdhsa_system_sgpr_workgroup_id_y 0
		.amdhsa_system_sgpr_workgroup_id_z 0
		.amdhsa_system_sgpr_workgroup_info 0
		.amdhsa_system_vgpr_workitem_id 0
		.amdhsa_next_free_vgpr 32
		.amdhsa_next_free_sgpr 18
		.amdhsa_accum_offset 32
		.amdhsa_reserve_vcc 1
		.amdhsa_float_round_mode_32 0
		.amdhsa_float_round_mode_16_64 0
		.amdhsa_float_denorm_mode_32 3
		.amdhsa_float_denorm_mode_16_64 3
		.amdhsa_dx10_clamp 1
		.amdhsa_ieee_mode 1
		.amdhsa_fp16_overflow 0
		.amdhsa_tg_split 0
		.amdhsa_exception_fp_ieee_invalid_op 0
		.amdhsa_exception_fp_denorm_src 0
		.amdhsa_exception_fp_ieee_div_zero 0
		.amdhsa_exception_fp_ieee_overflow 0
		.amdhsa_exception_fp_ieee_underflow 0
		.amdhsa_exception_fp_ieee_inexact 0
		.amdhsa_exception_int_div_zero 0
	.end_amdhsa_kernel
	.section	.text._ZN9rocsparseL19gebsrmvn_3xn_kernelILj128ELj1ELj4EdEEvi20rocsparse_direction_NS_24const_host_device_scalarIT2_EEPKiS6_PKS3_S8_S4_PS3_21rocsparse_index_base_b,"axG",@progbits,_ZN9rocsparseL19gebsrmvn_3xn_kernelILj128ELj1ELj4EdEEvi20rocsparse_direction_NS_24const_host_device_scalarIT2_EEPKiS6_PKS3_S8_S4_PS3_21rocsparse_index_base_b,comdat
.Lfunc_end37:
	.size	_ZN9rocsparseL19gebsrmvn_3xn_kernelILj128ELj1ELj4EdEEvi20rocsparse_direction_NS_24const_host_device_scalarIT2_EEPKiS6_PKS3_S8_S4_PS3_21rocsparse_index_base_b, .Lfunc_end37-_ZN9rocsparseL19gebsrmvn_3xn_kernelILj128ELj1ELj4EdEEvi20rocsparse_direction_NS_24const_host_device_scalarIT2_EEPKiS6_PKS3_S8_S4_PS3_21rocsparse_index_base_b
                                        ; -- End function
	.section	.AMDGPU.csdata,"",@progbits
; Kernel info:
; codeLenInByte = 1012
; NumSgprs: 24
; NumVgprs: 32
; NumAgprs: 0
; TotalNumVgprs: 32
; ScratchSize: 0
; MemoryBound: 0
; FloatMode: 240
; IeeeMode: 1
; LDSByteSize: 0 bytes/workgroup (compile time only)
; SGPRBlocks: 2
; VGPRBlocks: 3
; NumSGPRsForWavesPerEU: 24
; NumVGPRsForWavesPerEU: 32
; AccumOffset: 32
; Occupancy: 8
; WaveLimiterHint : 1
; COMPUTE_PGM_RSRC2:SCRATCH_EN: 0
; COMPUTE_PGM_RSRC2:USER_SGPR: 2
; COMPUTE_PGM_RSRC2:TRAP_HANDLER: 0
; COMPUTE_PGM_RSRC2:TGID_X_EN: 1
; COMPUTE_PGM_RSRC2:TGID_Y_EN: 0
; COMPUTE_PGM_RSRC2:TGID_Z_EN: 0
; COMPUTE_PGM_RSRC2:TIDIG_COMP_CNT: 0
; COMPUTE_PGM_RSRC3_GFX90A:ACCUM_OFFSET: 7
; COMPUTE_PGM_RSRC3_GFX90A:TG_SPLIT: 0
	.section	.text._ZN9rocsparseL19gebsrmvn_3xn_kernelILj128ELj1ELj8EdEEvi20rocsparse_direction_NS_24const_host_device_scalarIT2_EEPKiS6_PKS3_S8_S4_PS3_21rocsparse_index_base_b,"axG",@progbits,_ZN9rocsparseL19gebsrmvn_3xn_kernelILj128ELj1ELj8EdEEvi20rocsparse_direction_NS_24const_host_device_scalarIT2_EEPKiS6_PKS3_S8_S4_PS3_21rocsparse_index_base_b,comdat
	.globl	_ZN9rocsparseL19gebsrmvn_3xn_kernelILj128ELj1ELj8EdEEvi20rocsparse_direction_NS_24const_host_device_scalarIT2_EEPKiS6_PKS3_S8_S4_PS3_21rocsparse_index_base_b ; -- Begin function _ZN9rocsparseL19gebsrmvn_3xn_kernelILj128ELj1ELj8EdEEvi20rocsparse_direction_NS_24const_host_device_scalarIT2_EEPKiS6_PKS3_S8_S4_PS3_21rocsparse_index_base_b
	.p2align	8
	.type	_ZN9rocsparseL19gebsrmvn_3xn_kernelILj128ELj1ELj8EdEEvi20rocsparse_direction_NS_24const_host_device_scalarIT2_EEPKiS6_PKS3_S8_S4_PS3_21rocsparse_index_base_b,@function
_ZN9rocsparseL19gebsrmvn_3xn_kernelILj128ELj1ELj8EdEEvi20rocsparse_direction_NS_24const_host_device_scalarIT2_EEPKiS6_PKS3_S8_S4_PS3_21rocsparse_index_base_b: ; @_ZN9rocsparseL19gebsrmvn_3xn_kernelILj128ELj1ELj8EdEEvi20rocsparse_direction_NS_24const_host_device_scalarIT2_EEPKiS6_PKS3_S8_S4_PS3_21rocsparse_index_base_b
; %bb.0:
	s_load_dwordx2 s[12:13], s[0:1], 0x40
	s_load_dwordx2 s[8:9], s[0:1], 0x8
	;; [unrolled: 1-line block ×3, first 2 shown]
	s_waitcnt lgkmcnt(0)
	s_bitcmp1_b32 s13, 0
	s_cselect_b64 s[10:11], -1, 0
	s_xor_b64 s[6:7], s[10:11], -1
	s_and_b64 vcc, exec, s[10:11]
	v_mov_b64_e32 v[2:3], s[8:9]
	s_cbranch_vccnz .LBB38_2
; %bb.1:
	v_mov_b64_e32 v[2:3], s[8:9]
	flat_load_dwordx2 v[2:3], v[2:3]
.LBB38_2:
	s_andn2_b64 vcc, exec, s[6:7]
	v_mov_b64_e32 v[4:5], s[4:5]
	s_cbranch_vccnz .LBB38_4
; %bb.3:
	v_mov_b64_e32 v[4:5], s[4:5]
	flat_load_dwordx2 v[4:5], v[4:5]
.LBB38_4:
	s_waitcnt vmcnt(0) lgkmcnt(0)
	v_cmp_neq_f64_e32 vcc, 0, v[2:3]
	v_cmp_neq_f64_e64 s[4:5], 1.0, v[4:5]
	s_or_b64 s[4:5], vcc, s[4:5]
	s_and_saveexec_b64 s[6:7], s[4:5]
	s_cbranch_execz .LBB38_23
; %bb.5:
	s_load_dwordx2 s[14:15], s[0:1], 0x0
	v_lshrrev_b32_e32 v1, 3, v0
	v_lshl_or_b32 v6, s2, 4, v1
	s_waitcnt lgkmcnt(0)
	v_cmp_gt_i32_e32 vcc, s14, v6
	s_and_b64 exec, exec, vcc
	s_cbranch_execz .LBB38_23
; %bb.6:
	s_load_dwordx8 s[4:11], s[0:1], 0x10
	v_ashrrev_i32_e32 v7, 31, v6
	s_cmp_lg_u32 s15, 0
	s_waitcnt lgkmcnt(0)
	v_lshl_add_u64 v[8:9], v[6:7], 2, s[4:5]
	global_load_dwordx2 v[8:9], v[8:9], off
	v_and_b32_e32 v7, 7, v0
	s_waitcnt vmcnt(0)
	v_subrev_u32_e32 v0, s12, v8
	v_subrev_u32_e32 v18, s12, v9
	v_add_u32_e32 v10, v0, v7
	v_cmp_lt_i32_e64 s[2:3], v10, v18
	s_cbranch_scc0 .LBB38_12
; %bb.7:
	v_mov_b64_e32 v[8:9], 0
	s_mov_b64 s[4:5], 0
	v_mov_b64_e32 v[0:1], v[8:9]
	v_mov_b64_e32 v[12:13], v[8:9]
	s_and_saveexec_b64 s[14:15], s[2:3]
	s_cbranch_execz .LBB38_11
; %bb.8:
	v_mov_b64_e32 v[8:9], 0
	v_lshl_add_u32 v14, v10, 1, v10
	s_mov_b64 s[16:17], 0
	v_mov_b32_e32 v15, 0
	v_mov_b32_e32 v16, v10
	v_mov_b64_e32 v[0:1], v[8:9]
	v_mov_b64_e32 v[12:13], v[8:9]
.LBB38_9:                               ; =>This Inner Loop Header: Depth=1
	v_ashrrev_i32_e32 v17, 31, v16
	v_lshl_add_u64 v[20:21], v[16:17], 2, s[6:7]
	global_load_dword v11, v[20:21], off
	v_mov_b32_e32 v23, v15
	v_add_u32_e32 v24, 1, v14
	v_mov_b32_e32 v25, v15
	v_lshl_add_u64 v[20:21], v[14:15], 3, s[8:9]
	v_add_u32_e32 v26, 2, v14
	v_mov_b32_e32 v27, v15
	v_lshl_add_u64 v[24:25], v[24:25], 3, s[8:9]
	global_load_dwordx2 v[20:21], v[20:21], off
	v_lshl_add_u64 v[26:27], v[26:27], 3, s[8:9]
	global_load_dwordx2 v[28:29], v[24:25], off
	global_load_dwordx2 v[30:31], v[26:27], off
	v_add_u32_e32 v16, 8, v16
	v_cmp_ge_i32_e32 vcc, v16, v18
	v_add_u32_e32 v14, 24, v14
	s_or_b64 s[16:17], vcc, s[16:17]
	s_waitcnt vmcnt(3)
	v_subrev_u32_e32 v22, s12, v11
	v_lshl_add_u64 v[22:23], v[22:23], 3, s[10:11]
	global_load_dwordx2 v[22:23], v[22:23], off
	s_waitcnt vmcnt(0)
	v_fmac_f64_e32 v[8:9], v[20:21], v[22:23]
	v_fmac_f64_e32 v[12:13], v[28:29], v[22:23]
	;; [unrolled: 1-line block ×3, first 2 shown]
	s_andn2_b64 exec, exec, s[16:17]
	s_cbranch_execnz .LBB38_9
; %bb.10:
	s_or_b64 exec, exec, s[16:17]
.LBB38_11:
	s_or_b64 exec, exec, s[14:15]
	s_andn2_b64 vcc, exec, s[4:5]
	s_cbranch_vccz .LBB38_13
	s_branch .LBB38_18
.LBB38_12:
                                        ; implicit-def: $vgpr8_vgpr9
                                        ; implicit-def: $vgpr0_vgpr1
                                        ; implicit-def: $vgpr12_vgpr13
.LBB38_13:
	v_mov_b64_e32 v[8:9], 0
	v_mov_b64_e32 v[0:1], v[8:9]
	;; [unrolled: 1-line block ×3, first 2 shown]
	s_and_saveexec_b64 s[4:5], s[2:3]
	s_cbranch_execz .LBB38_17
; %bb.14:
	v_mov_b64_e32 v[8:9], 0
	v_lshl_add_u32 v14, v10, 1, v10
	s_mov_b64 s[2:3], 0
	v_mov_b32_e32 v15, 0
	v_mov_b64_e32 v[0:1], v[8:9]
	v_mov_b64_e32 v[12:13], v[8:9]
.LBB38_15:                              ; =>This Inner Loop Header: Depth=1
	v_ashrrev_i32_e32 v11, 31, v10
	v_lshl_add_u64 v[16:17], v[10:11], 2, s[6:7]
	global_load_dword v11, v[16:17], off
	v_mov_b32_e32 v21, v15
	v_add_u32_e32 v22, 1, v14
	v_mov_b32_e32 v23, v15
	v_lshl_add_u64 v[16:17], v[14:15], 3, s[8:9]
	v_add_u32_e32 v24, 2, v14
	v_mov_b32_e32 v25, v15
	v_lshl_add_u64 v[22:23], v[22:23], 3, s[8:9]
	global_load_dwordx2 v[16:17], v[16:17], off
	v_lshl_add_u64 v[24:25], v[24:25], 3, s[8:9]
	global_load_dwordx2 v[26:27], v[22:23], off
	global_load_dwordx2 v[28:29], v[24:25], off
	v_add_u32_e32 v10, 8, v10
	v_cmp_ge_i32_e32 vcc, v10, v18
	v_add_u32_e32 v14, 24, v14
	s_or_b64 s[2:3], vcc, s[2:3]
	s_waitcnt vmcnt(3)
	v_subrev_u32_e32 v20, s12, v11
	v_lshl_add_u64 v[20:21], v[20:21], 3, s[10:11]
	global_load_dwordx2 v[20:21], v[20:21], off
	s_waitcnt vmcnt(0)
	v_fmac_f64_e32 v[8:9], v[16:17], v[20:21]
	v_fmac_f64_e32 v[12:13], v[26:27], v[20:21]
	;; [unrolled: 1-line block ×3, first 2 shown]
	s_andn2_b64 exec, exec, s[2:3]
	s_cbranch_execnz .LBB38_15
; %bb.16:
	s_or_b64 exec, exec, s[2:3]
.LBB38_17:
	s_or_b64 exec, exec, s[4:5]
.LBB38_18:
	v_mov_b32_dpp v10, v8 row_shr:1 row_mask:0xf bank_mask:0xf
	v_mov_b32_dpp v11, v9 row_shr:1 row_mask:0xf bank_mask:0xf
	;; [unrolled: 1-line block ×6, first 2 shown]
	v_add_f64 v[8:9], v[8:9], v[10:11]
	v_add_f64 v[12:13], v[12:13], v[14:15]
	;; [unrolled: 1-line block ×3, first 2 shown]
	v_mov_b32_dpp v10, v8 row_shr:2 row_mask:0xf bank_mask:0xf
	v_mov_b32_dpp v11, v9 row_shr:2 row_mask:0xf bank_mask:0xf
	;; [unrolled: 1-line block ×6, first 2 shown]
	v_add_f64 v[8:9], v[8:9], v[10:11]
	v_add_f64 v[12:13], v[12:13], v[14:15]
	;; [unrolled: 1-line block ×3, first 2 shown]
	v_mov_b32_dpp v10, v8 row_shr:4 row_mask:0xf bank_mask:0xe
	v_mov_b32_dpp v11, v9 row_shr:4 row_mask:0xf bank_mask:0xe
	v_mov_b32_dpp v14, v12 row_shr:4 row_mask:0xf bank_mask:0xe
	v_mov_b32_dpp v15, v13 row_shr:4 row_mask:0xf bank_mask:0xe
	v_mov_b32_dpp v16, v0 row_shr:4 row_mask:0xf bank_mask:0xe
	v_mov_b32_dpp v17, v1 row_shr:4 row_mask:0xf bank_mask:0xe
	v_cmp_eq_u32_e32 vcc, 7, v7
	s_and_b64 exec, exec, vcc
	s_cbranch_execz .LBB38_23
; %bb.19:
	s_load_dwordx2 s[0:1], s[0:1], 0x38
	v_add_f64 v[10:11], v[8:9], v[10:11]
	v_add_f64 v[8:9], v[12:13], v[14:15]
	;; [unrolled: 1-line block ×3, first 2 shown]
	v_cmp_eq_f64_e32 vcc, 0, v[4:5]
	s_and_saveexec_b64 s[2:3], vcc
	s_xor_b64 s[2:3], exec, s[2:3]
	s_cbranch_execz .LBB38_21
; %bb.20:
	v_lshl_add_u32 v6, v6, 1, v6
	v_ashrrev_i32_e32 v7, 31, v6
	v_mul_f64 v[4:5], v[2:3], v[10:11]
	s_waitcnt lgkmcnt(0)
	v_lshl_add_u64 v[10:11], v[6:7], 3, s[0:1]
	v_mul_f64 v[6:7], v[2:3], v[8:9]
	v_mul_f64 v[0:1], v[2:3], v[0:1]
	global_store_dwordx4 v[10:11], v[4:7], off
	global_store_dwordx2 v[10:11], v[0:1], off offset:16
                                        ; implicit-def: $vgpr6
                                        ; implicit-def: $vgpr2_vgpr3
                                        ; implicit-def: $vgpr10_vgpr11
                                        ; implicit-def: $vgpr4_vgpr5
                                        ; implicit-def: $vgpr8_vgpr9
                                        ; implicit-def: $vgpr0_vgpr1
.LBB38_21:
	s_andn2_saveexec_b64 s[2:3], s[2:3]
	s_cbranch_execz .LBB38_23
; %bb.22:
	v_lshl_add_u32 v6, v6, 1, v6
	v_ashrrev_i32_e32 v7, 31, v6
	s_waitcnt lgkmcnt(0)
	v_lshl_add_u64 v[16:17], v[6:7], 3, s[0:1]
	global_load_dwordx4 v[12:15], v[16:17], off
	global_load_dwordx2 v[18:19], v[16:17], off offset:16
	v_mul_f64 v[6:7], v[2:3], v[10:11]
	v_mul_f64 v[8:9], v[2:3], v[8:9]
	;; [unrolled: 1-line block ×3, first 2 shown]
	s_waitcnt vmcnt(1)
	v_fmac_f64_e32 v[6:7], v[4:5], v[12:13]
	v_fmac_f64_e32 v[8:9], v[4:5], v[14:15]
	s_waitcnt vmcnt(0)
	v_fmac_f64_e32 v[0:1], v[4:5], v[18:19]
	global_store_dwordx4 v[16:17], v[6:9], off
	global_store_dwordx2 v[16:17], v[0:1], off offset:16
.LBB38_23:
	s_endpgm
	.section	.rodata,"a",@progbits
	.p2align	6, 0x0
	.amdhsa_kernel _ZN9rocsparseL19gebsrmvn_3xn_kernelILj128ELj1ELj8EdEEvi20rocsparse_direction_NS_24const_host_device_scalarIT2_EEPKiS6_PKS3_S8_S4_PS3_21rocsparse_index_base_b
		.amdhsa_group_segment_fixed_size 0
		.amdhsa_private_segment_fixed_size 0
		.amdhsa_kernarg_size 72
		.amdhsa_user_sgpr_count 2
		.amdhsa_user_sgpr_dispatch_ptr 0
		.amdhsa_user_sgpr_queue_ptr 0
		.amdhsa_user_sgpr_kernarg_segment_ptr 1
		.amdhsa_user_sgpr_dispatch_id 0
		.amdhsa_user_sgpr_kernarg_preload_length 0
		.amdhsa_user_sgpr_kernarg_preload_offset 0
		.amdhsa_user_sgpr_private_segment_size 0
		.amdhsa_uses_dynamic_stack 0
		.amdhsa_enable_private_segment 0
		.amdhsa_system_sgpr_workgroup_id_x 1
		.amdhsa_system_sgpr_workgroup_id_y 0
		.amdhsa_system_sgpr_workgroup_id_z 0
		.amdhsa_system_sgpr_workgroup_info 0
		.amdhsa_system_vgpr_workitem_id 0
		.amdhsa_next_free_vgpr 32
		.amdhsa_next_free_sgpr 18
		.amdhsa_accum_offset 32
		.amdhsa_reserve_vcc 1
		.amdhsa_float_round_mode_32 0
		.amdhsa_float_round_mode_16_64 0
		.amdhsa_float_denorm_mode_32 3
		.amdhsa_float_denorm_mode_16_64 3
		.amdhsa_dx10_clamp 1
		.amdhsa_ieee_mode 1
		.amdhsa_fp16_overflow 0
		.amdhsa_tg_split 0
		.amdhsa_exception_fp_ieee_invalid_op 0
		.amdhsa_exception_fp_denorm_src 0
		.amdhsa_exception_fp_ieee_div_zero 0
		.amdhsa_exception_fp_ieee_overflow 0
		.amdhsa_exception_fp_ieee_underflow 0
		.amdhsa_exception_fp_ieee_inexact 0
		.amdhsa_exception_int_div_zero 0
	.end_amdhsa_kernel
	.section	.text._ZN9rocsparseL19gebsrmvn_3xn_kernelILj128ELj1ELj8EdEEvi20rocsparse_direction_NS_24const_host_device_scalarIT2_EEPKiS6_PKS3_S8_S4_PS3_21rocsparse_index_base_b,"axG",@progbits,_ZN9rocsparseL19gebsrmvn_3xn_kernelILj128ELj1ELj8EdEEvi20rocsparse_direction_NS_24const_host_device_scalarIT2_EEPKiS6_PKS3_S8_S4_PS3_21rocsparse_index_base_b,comdat
.Lfunc_end38:
	.size	_ZN9rocsparseL19gebsrmvn_3xn_kernelILj128ELj1ELj8EdEEvi20rocsparse_direction_NS_24const_host_device_scalarIT2_EEPKiS6_PKS3_S8_S4_PS3_21rocsparse_index_base_b, .Lfunc_end38-_ZN9rocsparseL19gebsrmvn_3xn_kernelILj128ELj1ELj8EdEEvi20rocsparse_direction_NS_24const_host_device_scalarIT2_EEPKiS6_PKS3_S8_S4_PS3_21rocsparse_index_base_b
                                        ; -- End function
	.section	.AMDGPU.csdata,"",@progbits
; Kernel info:
; codeLenInByte = 1084
; NumSgprs: 24
; NumVgprs: 32
; NumAgprs: 0
; TotalNumVgprs: 32
; ScratchSize: 0
; MemoryBound: 0
; FloatMode: 240
; IeeeMode: 1
; LDSByteSize: 0 bytes/workgroup (compile time only)
; SGPRBlocks: 2
; VGPRBlocks: 3
; NumSGPRsForWavesPerEU: 24
; NumVGPRsForWavesPerEU: 32
; AccumOffset: 32
; Occupancy: 8
; WaveLimiterHint : 1
; COMPUTE_PGM_RSRC2:SCRATCH_EN: 0
; COMPUTE_PGM_RSRC2:USER_SGPR: 2
; COMPUTE_PGM_RSRC2:TRAP_HANDLER: 0
; COMPUTE_PGM_RSRC2:TGID_X_EN: 1
; COMPUTE_PGM_RSRC2:TGID_Y_EN: 0
; COMPUTE_PGM_RSRC2:TGID_Z_EN: 0
; COMPUTE_PGM_RSRC2:TIDIG_COMP_CNT: 0
; COMPUTE_PGM_RSRC3_GFX90A:ACCUM_OFFSET: 7
; COMPUTE_PGM_RSRC3_GFX90A:TG_SPLIT: 0
	.section	.text._ZN9rocsparseL19gebsrmvn_3xn_kernelILj128ELj1ELj16EdEEvi20rocsparse_direction_NS_24const_host_device_scalarIT2_EEPKiS6_PKS3_S8_S4_PS3_21rocsparse_index_base_b,"axG",@progbits,_ZN9rocsparseL19gebsrmvn_3xn_kernelILj128ELj1ELj16EdEEvi20rocsparse_direction_NS_24const_host_device_scalarIT2_EEPKiS6_PKS3_S8_S4_PS3_21rocsparse_index_base_b,comdat
	.globl	_ZN9rocsparseL19gebsrmvn_3xn_kernelILj128ELj1ELj16EdEEvi20rocsparse_direction_NS_24const_host_device_scalarIT2_EEPKiS6_PKS3_S8_S4_PS3_21rocsparse_index_base_b ; -- Begin function _ZN9rocsparseL19gebsrmvn_3xn_kernelILj128ELj1ELj16EdEEvi20rocsparse_direction_NS_24const_host_device_scalarIT2_EEPKiS6_PKS3_S8_S4_PS3_21rocsparse_index_base_b
	.p2align	8
	.type	_ZN9rocsparseL19gebsrmvn_3xn_kernelILj128ELj1ELj16EdEEvi20rocsparse_direction_NS_24const_host_device_scalarIT2_EEPKiS6_PKS3_S8_S4_PS3_21rocsparse_index_base_b,@function
_ZN9rocsparseL19gebsrmvn_3xn_kernelILj128ELj1ELj16EdEEvi20rocsparse_direction_NS_24const_host_device_scalarIT2_EEPKiS6_PKS3_S8_S4_PS3_21rocsparse_index_base_b: ; @_ZN9rocsparseL19gebsrmvn_3xn_kernelILj128ELj1ELj16EdEEvi20rocsparse_direction_NS_24const_host_device_scalarIT2_EEPKiS6_PKS3_S8_S4_PS3_21rocsparse_index_base_b
; %bb.0:
	s_load_dwordx2 s[12:13], s[0:1], 0x40
	s_load_dwordx2 s[8:9], s[0:1], 0x8
	s_load_dwordx2 s[4:5], s[0:1], 0x30
	s_waitcnt lgkmcnt(0)
	s_bitcmp1_b32 s13, 0
	s_cselect_b64 s[10:11], -1, 0
	s_xor_b64 s[6:7], s[10:11], -1
	s_and_b64 vcc, exec, s[10:11]
	v_mov_b64_e32 v[2:3], s[8:9]
	s_cbranch_vccnz .LBB39_2
; %bb.1:
	v_mov_b64_e32 v[2:3], s[8:9]
	flat_load_dwordx2 v[2:3], v[2:3]
.LBB39_2:
	s_andn2_b64 vcc, exec, s[6:7]
	v_mov_b64_e32 v[4:5], s[4:5]
	s_cbranch_vccnz .LBB39_4
; %bb.3:
	v_mov_b64_e32 v[4:5], s[4:5]
	flat_load_dwordx2 v[4:5], v[4:5]
.LBB39_4:
	s_waitcnt vmcnt(0) lgkmcnt(0)
	v_cmp_neq_f64_e32 vcc, 0, v[2:3]
	v_cmp_neq_f64_e64 s[4:5], 1.0, v[4:5]
	s_or_b64 s[4:5], vcc, s[4:5]
	s_and_saveexec_b64 s[6:7], s[4:5]
	s_cbranch_execz .LBB39_23
; %bb.5:
	s_load_dwordx2 s[14:15], s[0:1], 0x0
	v_lshrrev_b32_e32 v1, 4, v0
	v_lshl_or_b32 v6, s2, 3, v1
	s_waitcnt lgkmcnt(0)
	v_cmp_gt_i32_e32 vcc, s14, v6
	s_and_b64 exec, exec, vcc
	s_cbranch_execz .LBB39_23
; %bb.6:
	s_load_dwordx8 s[4:11], s[0:1], 0x10
	v_ashrrev_i32_e32 v7, 31, v6
	s_cmp_lg_u32 s15, 0
	s_waitcnt lgkmcnt(0)
	v_lshl_add_u64 v[8:9], v[6:7], 2, s[4:5]
	global_load_dwordx2 v[8:9], v[8:9], off
	v_and_b32_e32 v7, 15, v0
	s_waitcnt vmcnt(0)
	v_subrev_u32_e32 v0, s12, v8
	v_subrev_u32_e32 v18, s12, v9
	v_add_u32_e32 v12, v0, v7
	v_cmp_lt_i32_e64 s[2:3], v12, v18
	s_cbranch_scc0 .LBB39_12
; %bb.7:
	v_mov_b64_e32 v[8:9], 0
	s_mov_b64 s[4:5], 0
	v_mov_b64_e32 v[0:1], v[8:9]
	v_mov_b64_e32 v[10:11], v[8:9]
	s_and_saveexec_b64 s[14:15], s[2:3]
	s_cbranch_execz .LBB39_11
; %bb.8:
	v_mov_b64_e32 v[8:9], 0
	v_lshl_add_u32 v14, v12, 1, v12
	s_mov_b64 s[16:17], 0
	v_mov_b32_e32 v15, 0
	v_mov_b32_e32 v16, v12
	v_mov_b64_e32 v[0:1], v[8:9]
	v_mov_b64_e32 v[10:11], v[8:9]
.LBB39_9:                               ; =>This Inner Loop Header: Depth=1
	v_ashrrev_i32_e32 v17, 31, v16
	v_lshl_add_u64 v[20:21], v[16:17], 2, s[6:7]
	global_load_dword v13, v[20:21], off
	v_mov_b32_e32 v23, v15
	v_add_u32_e32 v24, 1, v14
	v_mov_b32_e32 v25, v15
	v_lshl_add_u64 v[20:21], v[14:15], 3, s[8:9]
	v_add_u32_e32 v26, 2, v14
	v_mov_b32_e32 v27, v15
	v_lshl_add_u64 v[24:25], v[24:25], 3, s[8:9]
	global_load_dwordx2 v[20:21], v[20:21], off
	v_lshl_add_u64 v[26:27], v[26:27], 3, s[8:9]
	global_load_dwordx2 v[28:29], v[24:25], off
	global_load_dwordx2 v[30:31], v[26:27], off
	v_add_u32_e32 v16, 16, v16
	v_cmp_ge_i32_e32 vcc, v16, v18
	v_add_u32_e32 v14, 48, v14
	s_or_b64 s[16:17], vcc, s[16:17]
	s_waitcnt vmcnt(3)
	v_subrev_u32_e32 v22, s12, v13
	v_lshl_add_u64 v[22:23], v[22:23], 3, s[10:11]
	global_load_dwordx2 v[22:23], v[22:23], off
	s_waitcnt vmcnt(0)
	v_fmac_f64_e32 v[8:9], v[20:21], v[22:23]
	v_fmac_f64_e32 v[10:11], v[28:29], v[22:23]
	;; [unrolled: 1-line block ×3, first 2 shown]
	s_andn2_b64 exec, exec, s[16:17]
	s_cbranch_execnz .LBB39_9
; %bb.10:
	s_or_b64 exec, exec, s[16:17]
.LBB39_11:
	s_or_b64 exec, exec, s[14:15]
	s_andn2_b64 vcc, exec, s[4:5]
	s_cbranch_vccz .LBB39_13
	s_branch .LBB39_18
.LBB39_12:
                                        ; implicit-def: $vgpr8_vgpr9
                                        ; implicit-def: $vgpr0_vgpr1
                                        ; implicit-def: $vgpr10_vgpr11
.LBB39_13:
	v_mov_b64_e32 v[8:9], 0
	v_mov_b64_e32 v[0:1], v[8:9]
	;; [unrolled: 1-line block ×3, first 2 shown]
	s_and_saveexec_b64 s[4:5], s[2:3]
	s_cbranch_execz .LBB39_17
; %bb.14:
	v_mov_b64_e32 v[8:9], 0
	v_lshl_add_u32 v14, v12, 1, v12
	s_mov_b64 s[2:3], 0
	v_mov_b32_e32 v15, 0
	v_mov_b64_e32 v[0:1], v[8:9]
	v_mov_b64_e32 v[10:11], v[8:9]
.LBB39_15:                              ; =>This Inner Loop Header: Depth=1
	v_ashrrev_i32_e32 v13, 31, v12
	v_lshl_add_u64 v[16:17], v[12:13], 2, s[6:7]
	global_load_dword v13, v[16:17], off
	v_mov_b32_e32 v21, v15
	v_add_u32_e32 v22, 1, v14
	v_mov_b32_e32 v23, v15
	v_lshl_add_u64 v[16:17], v[14:15], 3, s[8:9]
	v_add_u32_e32 v24, 2, v14
	v_mov_b32_e32 v25, v15
	v_lshl_add_u64 v[22:23], v[22:23], 3, s[8:9]
	global_load_dwordx2 v[16:17], v[16:17], off
	v_lshl_add_u64 v[24:25], v[24:25], 3, s[8:9]
	global_load_dwordx2 v[26:27], v[22:23], off
	global_load_dwordx2 v[28:29], v[24:25], off
	v_add_u32_e32 v12, 16, v12
	v_cmp_ge_i32_e32 vcc, v12, v18
	v_add_u32_e32 v14, 48, v14
	s_or_b64 s[2:3], vcc, s[2:3]
	s_waitcnt vmcnt(3)
	v_subrev_u32_e32 v20, s12, v13
	v_lshl_add_u64 v[20:21], v[20:21], 3, s[10:11]
	global_load_dwordx2 v[20:21], v[20:21], off
	s_waitcnt vmcnt(0)
	v_fmac_f64_e32 v[8:9], v[16:17], v[20:21]
	v_fmac_f64_e32 v[10:11], v[26:27], v[20:21]
	;; [unrolled: 1-line block ×3, first 2 shown]
	s_andn2_b64 exec, exec, s[2:3]
	s_cbranch_execnz .LBB39_15
; %bb.16:
	s_or_b64 exec, exec, s[2:3]
.LBB39_17:
	s_or_b64 exec, exec, s[4:5]
.LBB39_18:
	v_mov_b32_dpp v14, v10 row_shr:1 row_mask:0xf bank_mask:0xf
	v_mov_b32_dpp v15, v11 row_shr:1 row_mask:0xf bank_mask:0xf
	v_add_f64 v[10:11], v[10:11], v[14:15]
	v_mov_b32_dpp v12, v8 row_shr:1 row_mask:0xf bank_mask:0xf
	v_mov_b32_dpp v13, v9 row_shr:1 row_mask:0xf bank_mask:0xf
	;; [unrolled: 1-line block ×4, first 2 shown]
	v_add_f64 v[10:11], v[10:11], v[14:15]
	v_add_f64 v[8:9], v[8:9], v[12:13]
	v_cmp_eq_u32_e32 vcc, 15, v7
	v_mov_b32_dpp v14, v10 row_shr:4 row_mask:0xf bank_mask:0xe
	v_mov_b32_dpp v15, v11 row_shr:4 row_mask:0xf bank_mask:0xe
	v_add_f64 v[14:15], v[10:11], v[14:15]
	v_mov_b32_dpp v10, v0 row_shr:1 row_mask:0xf bank_mask:0xf
	v_mov_b32_dpp v11, v1 row_shr:1 row_mask:0xf bank_mask:0xf
	v_add_f64 v[0:1], v[0:1], v[10:11]
	v_mov_b32_dpp v12, v8 row_shr:2 row_mask:0xf bank_mask:0xf
	v_mov_b32_dpp v13, v9 row_shr:2 row_mask:0xf bank_mask:0xf
	;; [unrolled: 1-line block ×4, first 2 shown]
	v_add_f64 v[8:9], v[8:9], v[12:13]
	v_add_f64 v[0:1], v[0:1], v[10:11]
	v_mov_b32_dpp v16, v14 row_shr:8 row_mask:0xf bank_mask:0xc
	v_mov_b32_dpp v12, v8 row_shr:4 row_mask:0xf bank_mask:0xe
	;; [unrolled: 1-line block ×5, first 2 shown]
	v_add_f64 v[8:9], v[8:9], v[12:13]
	v_add_f64 v[0:1], v[0:1], v[10:11]
	v_mov_b32_dpp v17, v15 row_shr:8 row_mask:0xf bank_mask:0xc
	v_mov_b32_dpp v12, v8 row_shr:8 row_mask:0xf bank_mask:0xc
	;; [unrolled: 1-line block ×5, first 2 shown]
	s_and_b64 exec, exec, vcc
	s_cbranch_execz .LBB39_23
; %bb.19:
	s_load_dwordx2 s[0:1], s[0:1], 0x38
	v_add_f64 v[10:11], v[8:9], v[12:13]
	v_add_f64 v[8:9], v[14:15], v[16:17]
	;; [unrolled: 1-line block ×3, first 2 shown]
	v_cmp_eq_f64_e32 vcc, 0, v[4:5]
	s_and_saveexec_b64 s[2:3], vcc
	s_xor_b64 s[2:3], exec, s[2:3]
	s_cbranch_execz .LBB39_21
; %bb.20:
	v_lshl_add_u32 v6, v6, 1, v6
	v_ashrrev_i32_e32 v7, 31, v6
	v_mul_f64 v[4:5], v[2:3], v[10:11]
	s_waitcnt lgkmcnt(0)
	v_lshl_add_u64 v[10:11], v[6:7], 3, s[0:1]
	v_mul_f64 v[6:7], v[2:3], v[8:9]
	v_mul_f64 v[0:1], v[2:3], v[0:1]
	global_store_dwordx4 v[10:11], v[4:7], off
	global_store_dwordx2 v[10:11], v[0:1], off offset:16
                                        ; implicit-def: $vgpr6
                                        ; implicit-def: $vgpr2_vgpr3
                                        ; implicit-def: $vgpr10_vgpr11
                                        ; implicit-def: $vgpr4_vgpr5
                                        ; implicit-def: $vgpr8_vgpr9
                                        ; implicit-def: $vgpr0_vgpr1
.LBB39_21:
	s_andn2_saveexec_b64 s[2:3], s[2:3]
	s_cbranch_execz .LBB39_23
; %bb.22:
	v_lshl_add_u32 v6, v6, 1, v6
	v_ashrrev_i32_e32 v7, 31, v6
	s_waitcnt lgkmcnt(0)
	v_lshl_add_u64 v[16:17], v[6:7], 3, s[0:1]
	global_load_dwordx4 v[12:15], v[16:17], off
	global_load_dwordx2 v[18:19], v[16:17], off offset:16
	v_mul_f64 v[6:7], v[2:3], v[10:11]
	v_mul_f64 v[8:9], v[2:3], v[8:9]
	;; [unrolled: 1-line block ×3, first 2 shown]
	s_waitcnt vmcnt(1)
	v_fmac_f64_e32 v[6:7], v[4:5], v[12:13]
	v_fmac_f64_e32 v[8:9], v[4:5], v[14:15]
	s_waitcnt vmcnt(0)
	v_fmac_f64_e32 v[0:1], v[4:5], v[18:19]
	global_store_dwordx4 v[16:17], v[6:9], off
	global_store_dwordx2 v[16:17], v[0:1], off offset:16
.LBB39_23:
	s_endpgm
	.section	.rodata,"a",@progbits
	.p2align	6, 0x0
	.amdhsa_kernel _ZN9rocsparseL19gebsrmvn_3xn_kernelILj128ELj1ELj16EdEEvi20rocsparse_direction_NS_24const_host_device_scalarIT2_EEPKiS6_PKS3_S8_S4_PS3_21rocsparse_index_base_b
		.amdhsa_group_segment_fixed_size 0
		.amdhsa_private_segment_fixed_size 0
		.amdhsa_kernarg_size 72
		.amdhsa_user_sgpr_count 2
		.amdhsa_user_sgpr_dispatch_ptr 0
		.amdhsa_user_sgpr_queue_ptr 0
		.amdhsa_user_sgpr_kernarg_segment_ptr 1
		.amdhsa_user_sgpr_dispatch_id 0
		.amdhsa_user_sgpr_kernarg_preload_length 0
		.amdhsa_user_sgpr_kernarg_preload_offset 0
		.amdhsa_user_sgpr_private_segment_size 0
		.amdhsa_uses_dynamic_stack 0
		.amdhsa_enable_private_segment 0
		.amdhsa_system_sgpr_workgroup_id_x 1
		.amdhsa_system_sgpr_workgroup_id_y 0
		.amdhsa_system_sgpr_workgroup_id_z 0
		.amdhsa_system_sgpr_workgroup_info 0
		.amdhsa_system_vgpr_workitem_id 0
		.amdhsa_next_free_vgpr 32
		.amdhsa_next_free_sgpr 18
		.amdhsa_accum_offset 32
		.amdhsa_reserve_vcc 1
		.amdhsa_float_round_mode_32 0
		.amdhsa_float_round_mode_16_64 0
		.amdhsa_float_denorm_mode_32 3
		.amdhsa_float_denorm_mode_16_64 3
		.amdhsa_dx10_clamp 1
		.amdhsa_ieee_mode 1
		.amdhsa_fp16_overflow 0
		.amdhsa_tg_split 0
		.amdhsa_exception_fp_ieee_invalid_op 0
		.amdhsa_exception_fp_denorm_src 0
		.amdhsa_exception_fp_ieee_div_zero 0
		.amdhsa_exception_fp_ieee_overflow 0
		.amdhsa_exception_fp_ieee_underflow 0
		.amdhsa_exception_fp_ieee_inexact 0
		.amdhsa_exception_int_div_zero 0
	.end_amdhsa_kernel
	.section	.text._ZN9rocsparseL19gebsrmvn_3xn_kernelILj128ELj1ELj16EdEEvi20rocsparse_direction_NS_24const_host_device_scalarIT2_EEPKiS6_PKS3_S8_S4_PS3_21rocsparse_index_base_b,"axG",@progbits,_ZN9rocsparseL19gebsrmvn_3xn_kernelILj128ELj1ELj16EdEEvi20rocsparse_direction_NS_24const_host_device_scalarIT2_EEPKiS6_PKS3_S8_S4_PS3_21rocsparse_index_base_b,comdat
.Lfunc_end39:
	.size	_ZN9rocsparseL19gebsrmvn_3xn_kernelILj128ELj1ELj16EdEEvi20rocsparse_direction_NS_24const_host_device_scalarIT2_EEPKiS6_PKS3_S8_S4_PS3_21rocsparse_index_base_b, .Lfunc_end39-_ZN9rocsparseL19gebsrmvn_3xn_kernelILj128ELj1ELj16EdEEvi20rocsparse_direction_NS_24const_host_device_scalarIT2_EEPKiS6_PKS3_S8_S4_PS3_21rocsparse_index_base_b
                                        ; -- End function
	.section	.AMDGPU.csdata,"",@progbits
; Kernel info:
; codeLenInByte = 1156
; NumSgprs: 24
; NumVgprs: 32
; NumAgprs: 0
; TotalNumVgprs: 32
; ScratchSize: 0
; MemoryBound: 0
; FloatMode: 240
; IeeeMode: 1
; LDSByteSize: 0 bytes/workgroup (compile time only)
; SGPRBlocks: 2
; VGPRBlocks: 3
; NumSGPRsForWavesPerEU: 24
; NumVGPRsForWavesPerEU: 32
; AccumOffset: 32
; Occupancy: 8
; WaveLimiterHint : 1
; COMPUTE_PGM_RSRC2:SCRATCH_EN: 0
; COMPUTE_PGM_RSRC2:USER_SGPR: 2
; COMPUTE_PGM_RSRC2:TRAP_HANDLER: 0
; COMPUTE_PGM_RSRC2:TGID_X_EN: 1
; COMPUTE_PGM_RSRC2:TGID_Y_EN: 0
; COMPUTE_PGM_RSRC2:TGID_Z_EN: 0
; COMPUTE_PGM_RSRC2:TIDIG_COMP_CNT: 0
; COMPUTE_PGM_RSRC3_GFX90A:ACCUM_OFFSET: 7
; COMPUTE_PGM_RSRC3_GFX90A:TG_SPLIT: 0
	.section	.text._ZN9rocsparseL19gebsrmvn_3xn_kernelILj128ELj1ELj32EdEEvi20rocsparse_direction_NS_24const_host_device_scalarIT2_EEPKiS6_PKS3_S8_S4_PS3_21rocsparse_index_base_b,"axG",@progbits,_ZN9rocsparseL19gebsrmvn_3xn_kernelILj128ELj1ELj32EdEEvi20rocsparse_direction_NS_24const_host_device_scalarIT2_EEPKiS6_PKS3_S8_S4_PS3_21rocsparse_index_base_b,comdat
	.globl	_ZN9rocsparseL19gebsrmvn_3xn_kernelILj128ELj1ELj32EdEEvi20rocsparse_direction_NS_24const_host_device_scalarIT2_EEPKiS6_PKS3_S8_S4_PS3_21rocsparse_index_base_b ; -- Begin function _ZN9rocsparseL19gebsrmvn_3xn_kernelILj128ELj1ELj32EdEEvi20rocsparse_direction_NS_24const_host_device_scalarIT2_EEPKiS6_PKS3_S8_S4_PS3_21rocsparse_index_base_b
	.p2align	8
	.type	_ZN9rocsparseL19gebsrmvn_3xn_kernelILj128ELj1ELj32EdEEvi20rocsparse_direction_NS_24const_host_device_scalarIT2_EEPKiS6_PKS3_S8_S4_PS3_21rocsparse_index_base_b,@function
_ZN9rocsparseL19gebsrmvn_3xn_kernelILj128ELj1ELj32EdEEvi20rocsparse_direction_NS_24const_host_device_scalarIT2_EEPKiS6_PKS3_S8_S4_PS3_21rocsparse_index_base_b: ; @_ZN9rocsparseL19gebsrmvn_3xn_kernelILj128ELj1ELj32EdEEvi20rocsparse_direction_NS_24const_host_device_scalarIT2_EEPKiS6_PKS3_S8_S4_PS3_21rocsparse_index_base_b
; %bb.0:
	s_load_dwordx2 s[12:13], s[0:1], 0x40
	s_load_dwordx2 s[8:9], s[0:1], 0x8
	;; [unrolled: 1-line block ×3, first 2 shown]
	s_waitcnt lgkmcnt(0)
	s_bitcmp1_b32 s13, 0
	s_cselect_b64 s[10:11], -1, 0
	s_xor_b64 s[6:7], s[10:11], -1
	s_and_b64 vcc, exec, s[10:11]
	v_mov_b64_e32 v[2:3], s[8:9]
	s_cbranch_vccnz .LBB40_2
; %bb.1:
	v_mov_b64_e32 v[2:3], s[8:9]
	flat_load_dwordx2 v[2:3], v[2:3]
.LBB40_2:
	s_andn2_b64 vcc, exec, s[6:7]
	v_mov_b64_e32 v[4:5], s[4:5]
	s_cbranch_vccnz .LBB40_4
; %bb.3:
	v_mov_b64_e32 v[4:5], s[4:5]
	flat_load_dwordx2 v[4:5], v[4:5]
.LBB40_4:
	s_waitcnt vmcnt(0) lgkmcnt(0)
	v_cmp_neq_f64_e32 vcc, 0, v[2:3]
	v_cmp_neq_f64_e64 s[4:5], 1.0, v[4:5]
	s_or_b64 s[4:5], vcc, s[4:5]
	s_and_saveexec_b64 s[6:7], s[4:5]
	s_cbranch_execz .LBB40_23
; %bb.5:
	s_load_dwordx2 s[14:15], s[0:1], 0x0
	v_lshrrev_b32_e32 v1, 5, v0
	v_lshl_or_b32 v6, s2, 2, v1
	s_waitcnt lgkmcnt(0)
	v_cmp_gt_i32_e32 vcc, s14, v6
	s_and_b64 exec, exec, vcc
	s_cbranch_execz .LBB40_23
; %bb.6:
	s_load_dwordx8 s[4:11], s[0:1], 0x10
	v_ashrrev_i32_e32 v7, 31, v6
	s_cmp_lg_u32 s15, 0
	s_waitcnt lgkmcnt(0)
	v_lshl_add_u64 v[8:9], v[6:7], 2, s[4:5]
	global_load_dwordx2 v[8:9], v[8:9], off
	v_and_b32_e32 v7, 31, v0
	s_waitcnt vmcnt(0)
	v_subrev_u32_e32 v0, s12, v8
	v_subrev_u32_e32 v18, s12, v9
	v_add_u32_e32 v12, v0, v7
	v_cmp_lt_i32_e64 s[2:3], v12, v18
	s_cbranch_scc0 .LBB40_12
; %bb.7:
	v_mov_b64_e32 v[8:9], 0
	s_mov_b64 s[4:5], 0
	v_mov_b64_e32 v[0:1], v[8:9]
	v_mov_b64_e32 v[10:11], v[8:9]
	s_and_saveexec_b64 s[14:15], s[2:3]
	s_cbranch_execz .LBB40_11
; %bb.8:
	v_mov_b64_e32 v[8:9], 0
	v_lshl_add_u32 v14, v12, 1, v12
	s_mov_b64 s[16:17], 0
	v_mov_b32_e32 v15, 0
	v_mov_b32_e32 v16, v12
	v_mov_b64_e32 v[0:1], v[8:9]
	v_mov_b64_e32 v[10:11], v[8:9]
.LBB40_9:                               ; =>This Inner Loop Header: Depth=1
	v_ashrrev_i32_e32 v17, 31, v16
	v_lshl_add_u64 v[20:21], v[16:17], 2, s[6:7]
	global_load_dword v13, v[20:21], off
	v_mov_b32_e32 v23, v15
	v_add_u32_e32 v24, 1, v14
	v_mov_b32_e32 v25, v15
	v_lshl_add_u64 v[20:21], v[14:15], 3, s[8:9]
	v_add_u32_e32 v26, 2, v14
	v_mov_b32_e32 v27, v15
	v_lshl_add_u64 v[24:25], v[24:25], 3, s[8:9]
	global_load_dwordx2 v[20:21], v[20:21], off
	v_lshl_add_u64 v[26:27], v[26:27], 3, s[8:9]
	global_load_dwordx2 v[28:29], v[24:25], off
	global_load_dwordx2 v[30:31], v[26:27], off
	v_add_u32_e32 v16, 32, v16
	v_cmp_ge_i32_e32 vcc, v16, v18
	v_add_u32_e32 v14, 0x60, v14
	s_or_b64 s[16:17], vcc, s[16:17]
	s_waitcnt vmcnt(3)
	v_subrev_u32_e32 v22, s12, v13
	v_lshl_add_u64 v[22:23], v[22:23], 3, s[10:11]
	global_load_dwordx2 v[22:23], v[22:23], off
	s_waitcnt vmcnt(0)
	v_fmac_f64_e32 v[8:9], v[20:21], v[22:23]
	v_fmac_f64_e32 v[10:11], v[28:29], v[22:23]
	;; [unrolled: 1-line block ×3, first 2 shown]
	s_andn2_b64 exec, exec, s[16:17]
	s_cbranch_execnz .LBB40_9
; %bb.10:
	s_or_b64 exec, exec, s[16:17]
.LBB40_11:
	s_or_b64 exec, exec, s[14:15]
	s_andn2_b64 vcc, exec, s[4:5]
	s_cbranch_vccz .LBB40_13
	s_branch .LBB40_18
.LBB40_12:
                                        ; implicit-def: $vgpr8_vgpr9
                                        ; implicit-def: $vgpr0_vgpr1
                                        ; implicit-def: $vgpr10_vgpr11
.LBB40_13:
	v_mov_b64_e32 v[8:9], 0
	v_mov_b64_e32 v[0:1], v[8:9]
	;; [unrolled: 1-line block ×3, first 2 shown]
	s_and_saveexec_b64 s[4:5], s[2:3]
	s_cbranch_execz .LBB40_17
; %bb.14:
	v_mov_b64_e32 v[8:9], 0
	v_lshl_add_u32 v14, v12, 1, v12
	s_mov_b64 s[2:3], 0
	v_mov_b32_e32 v15, 0
	v_mov_b64_e32 v[0:1], v[8:9]
	v_mov_b64_e32 v[10:11], v[8:9]
.LBB40_15:                              ; =>This Inner Loop Header: Depth=1
	v_ashrrev_i32_e32 v13, 31, v12
	v_lshl_add_u64 v[16:17], v[12:13], 2, s[6:7]
	global_load_dword v13, v[16:17], off
	v_mov_b32_e32 v21, v15
	v_add_u32_e32 v22, 1, v14
	v_mov_b32_e32 v23, v15
	v_lshl_add_u64 v[16:17], v[14:15], 3, s[8:9]
	v_add_u32_e32 v24, 2, v14
	v_mov_b32_e32 v25, v15
	v_lshl_add_u64 v[22:23], v[22:23], 3, s[8:9]
	global_load_dwordx2 v[16:17], v[16:17], off
	v_lshl_add_u64 v[24:25], v[24:25], 3, s[8:9]
	global_load_dwordx2 v[26:27], v[22:23], off
	global_load_dwordx2 v[28:29], v[24:25], off
	v_add_u32_e32 v12, 32, v12
	v_cmp_ge_i32_e32 vcc, v12, v18
	v_add_u32_e32 v14, 0x60, v14
	s_or_b64 s[2:3], vcc, s[2:3]
	s_waitcnt vmcnt(3)
	v_subrev_u32_e32 v20, s12, v13
	v_lshl_add_u64 v[20:21], v[20:21], 3, s[10:11]
	global_load_dwordx2 v[20:21], v[20:21], off
	s_waitcnt vmcnt(0)
	v_fmac_f64_e32 v[8:9], v[16:17], v[20:21]
	v_fmac_f64_e32 v[10:11], v[26:27], v[20:21]
	;; [unrolled: 1-line block ×3, first 2 shown]
	s_andn2_b64 exec, exec, s[2:3]
	s_cbranch_execnz .LBB40_15
; %bb.16:
	s_or_b64 exec, exec, s[2:3]
.LBB40_17:
	s_or_b64 exec, exec, s[4:5]
.LBB40_18:
	v_mov_b32_dpp v14, v10 row_shr:1 row_mask:0xf bank_mask:0xf
	v_mov_b32_dpp v15, v11 row_shr:1 row_mask:0xf bank_mask:0xf
	v_add_f64 v[10:11], v[10:11], v[14:15]
	v_mov_b32_dpp v12, v8 row_shr:1 row_mask:0xf bank_mask:0xf
	v_mov_b32_dpp v13, v9 row_shr:1 row_mask:0xf bank_mask:0xf
	v_mov_b32_dpp v14, v10 row_shr:2 row_mask:0xf bank_mask:0xf
	v_mov_b32_dpp v15, v11 row_shr:2 row_mask:0xf bank_mask:0xf
	v_add_f64 v[10:11], v[10:11], v[14:15]
	v_add_f64 v[8:9], v[8:9], v[12:13]
	v_cmp_eq_u32_e32 vcc, 31, v7
	v_mov_b32_dpp v14, v10 row_shr:4 row_mask:0xf bank_mask:0xe
	v_mov_b32_dpp v15, v11 row_shr:4 row_mask:0xf bank_mask:0xe
	v_add_f64 v[10:11], v[10:11], v[14:15]
	v_mov_b32_dpp v12, v8 row_shr:2 row_mask:0xf bank_mask:0xf
	v_mov_b32_dpp v13, v9 row_shr:2 row_mask:0xf bank_mask:0xf
	;; [unrolled: 1-line block ×4, first 2 shown]
	v_add_f64 v[14:15], v[10:11], v[14:15]
	v_mov_b32_dpp v10, v0 row_shr:1 row_mask:0xf bank_mask:0xf
	v_mov_b32_dpp v11, v1 row_shr:1 row_mask:0xf bank_mask:0xf
	v_add_f64 v[0:1], v[0:1], v[10:11]
	v_add_f64 v[8:9], v[8:9], v[12:13]
	v_mov_b32_dpp v16, v14 row_bcast:15 row_mask:0xa bank_mask:0xf
	v_mov_b32_dpp v10, v0 row_shr:2 row_mask:0xf bank_mask:0xf
	v_mov_b32_dpp v11, v1 row_shr:2 row_mask:0xf bank_mask:0xf
	v_add_f64 v[0:1], v[0:1], v[10:11]
	v_mov_b32_dpp v12, v8 row_shr:4 row_mask:0xf bank_mask:0xe
	v_mov_b32_dpp v13, v9 row_shr:4 row_mask:0xf bank_mask:0xe
	;; [unrolled: 1-line block ×4, first 2 shown]
	v_add_f64 v[8:9], v[8:9], v[12:13]
	v_add_f64 v[0:1], v[0:1], v[10:11]
	v_mov_b32_dpp v17, v15 row_bcast:15 row_mask:0xa bank_mask:0xf
	v_mov_b32_dpp v12, v8 row_shr:8 row_mask:0xf bank_mask:0xc
	v_mov_b32_dpp v13, v9 row_shr:8 row_mask:0xf bank_mask:0xc
	;; [unrolled: 1-line block ×4, first 2 shown]
	v_add_f64 v[8:9], v[8:9], v[12:13]
	v_add_f64 v[0:1], v[0:1], v[10:11]
	s_nop 0
	v_mov_b32_dpp v12, v8 row_bcast:15 row_mask:0xa bank_mask:0xf
	v_mov_b32_dpp v13, v9 row_bcast:15 row_mask:0xa bank_mask:0xf
	;; [unrolled: 1-line block ×4, first 2 shown]
	s_and_b64 exec, exec, vcc
	s_cbranch_execz .LBB40_23
; %bb.19:
	s_load_dwordx2 s[0:1], s[0:1], 0x38
	v_add_f64 v[10:11], v[8:9], v[12:13]
	v_add_f64 v[8:9], v[14:15], v[16:17]
	;; [unrolled: 1-line block ×3, first 2 shown]
	v_cmp_eq_f64_e32 vcc, 0, v[4:5]
	s_and_saveexec_b64 s[2:3], vcc
	s_xor_b64 s[2:3], exec, s[2:3]
	s_cbranch_execz .LBB40_21
; %bb.20:
	v_lshl_add_u32 v6, v6, 1, v6
	v_ashrrev_i32_e32 v7, 31, v6
	v_mul_f64 v[4:5], v[2:3], v[10:11]
	s_waitcnt lgkmcnt(0)
	v_lshl_add_u64 v[10:11], v[6:7], 3, s[0:1]
	v_mul_f64 v[6:7], v[2:3], v[8:9]
	v_mul_f64 v[0:1], v[2:3], v[0:1]
	global_store_dwordx4 v[10:11], v[4:7], off
	global_store_dwordx2 v[10:11], v[0:1], off offset:16
                                        ; implicit-def: $vgpr6
                                        ; implicit-def: $vgpr2_vgpr3
                                        ; implicit-def: $vgpr10_vgpr11
                                        ; implicit-def: $vgpr4_vgpr5
                                        ; implicit-def: $vgpr8_vgpr9
                                        ; implicit-def: $vgpr0_vgpr1
.LBB40_21:
	s_andn2_saveexec_b64 s[2:3], s[2:3]
	s_cbranch_execz .LBB40_23
; %bb.22:
	v_lshl_add_u32 v6, v6, 1, v6
	v_ashrrev_i32_e32 v7, 31, v6
	s_waitcnt lgkmcnt(0)
	v_lshl_add_u64 v[16:17], v[6:7], 3, s[0:1]
	global_load_dwordx4 v[12:15], v[16:17], off
	global_load_dwordx2 v[18:19], v[16:17], off offset:16
	v_mul_f64 v[6:7], v[2:3], v[10:11]
	v_mul_f64 v[8:9], v[2:3], v[8:9]
	;; [unrolled: 1-line block ×3, first 2 shown]
	s_waitcnt vmcnt(1)
	v_fmac_f64_e32 v[6:7], v[4:5], v[12:13]
	v_fmac_f64_e32 v[8:9], v[4:5], v[14:15]
	s_waitcnt vmcnt(0)
	v_fmac_f64_e32 v[0:1], v[4:5], v[18:19]
	global_store_dwordx4 v[16:17], v[6:9], off
	global_store_dwordx2 v[16:17], v[0:1], off offset:16
.LBB40_23:
	s_endpgm
	.section	.rodata,"a",@progbits
	.p2align	6, 0x0
	.amdhsa_kernel _ZN9rocsparseL19gebsrmvn_3xn_kernelILj128ELj1ELj32EdEEvi20rocsparse_direction_NS_24const_host_device_scalarIT2_EEPKiS6_PKS3_S8_S4_PS3_21rocsparse_index_base_b
		.amdhsa_group_segment_fixed_size 0
		.amdhsa_private_segment_fixed_size 0
		.amdhsa_kernarg_size 72
		.amdhsa_user_sgpr_count 2
		.amdhsa_user_sgpr_dispatch_ptr 0
		.amdhsa_user_sgpr_queue_ptr 0
		.amdhsa_user_sgpr_kernarg_segment_ptr 1
		.amdhsa_user_sgpr_dispatch_id 0
		.amdhsa_user_sgpr_kernarg_preload_length 0
		.amdhsa_user_sgpr_kernarg_preload_offset 0
		.amdhsa_user_sgpr_private_segment_size 0
		.amdhsa_uses_dynamic_stack 0
		.amdhsa_enable_private_segment 0
		.amdhsa_system_sgpr_workgroup_id_x 1
		.amdhsa_system_sgpr_workgroup_id_y 0
		.amdhsa_system_sgpr_workgroup_id_z 0
		.amdhsa_system_sgpr_workgroup_info 0
		.amdhsa_system_vgpr_workitem_id 0
		.amdhsa_next_free_vgpr 32
		.amdhsa_next_free_sgpr 18
		.amdhsa_accum_offset 32
		.amdhsa_reserve_vcc 1
		.amdhsa_float_round_mode_32 0
		.amdhsa_float_round_mode_16_64 0
		.amdhsa_float_denorm_mode_32 3
		.amdhsa_float_denorm_mode_16_64 3
		.amdhsa_dx10_clamp 1
		.amdhsa_ieee_mode 1
		.amdhsa_fp16_overflow 0
		.amdhsa_tg_split 0
		.amdhsa_exception_fp_ieee_invalid_op 0
		.amdhsa_exception_fp_denorm_src 0
		.amdhsa_exception_fp_ieee_div_zero 0
		.amdhsa_exception_fp_ieee_overflow 0
		.amdhsa_exception_fp_ieee_underflow 0
		.amdhsa_exception_fp_ieee_inexact 0
		.amdhsa_exception_int_div_zero 0
	.end_amdhsa_kernel
	.section	.text._ZN9rocsparseL19gebsrmvn_3xn_kernelILj128ELj1ELj32EdEEvi20rocsparse_direction_NS_24const_host_device_scalarIT2_EEPKiS6_PKS3_S8_S4_PS3_21rocsparse_index_base_b,"axG",@progbits,_ZN9rocsparseL19gebsrmvn_3xn_kernelILj128ELj1ELj32EdEEvi20rocsparse_direction_NS_24const_host_device_scalarIT2_EEPKiS6_PKS3_S8_S4_PS3_21rocsparse_index_base_b,comdat
.Lfunc_end40:
	.size	_ZN9rocsparseL19gebsrmvn_3xn_kernelILj128ELj1ELj32EdEEvi20rocsparse_direction_NS_24const_host_device_scalarIT2_EEPKiS6_PKS3_S8_S4_PS3_21rocsparse_index_base_b, .Lfunc_end40-_ZN9rocsparseL19gebsrmvn_3xn_kernelILj128ELj1ELj32EdEEvi20rocsparse_direction_NS_24const_host_device_scalarIT2_EEPKiS6_PKS3_S8_S4_PS3_21rocsparse_index_base_b
                                        ; -- End function
	.section	.AMDGPU.csdata,"",@progbits
; Kernel info:
; codeLenInByte = 1240
; NumSgprs: 24
; NumVgprs: 32
; NumAgprs: 0
; TotalNumVgprs: 32
; ScratchSize: 0
; MemoryBound: 0
; FloatMode: 240
; IeeeMode: 1
; LDSByteSize: 0 bytes/workgroup (compile time only)
; SGPRBlocks: 2
; VGPRBlocks: 3
; NumSGPRsForWavesPerEU: 24
; NumVGPRsForWavesPerEU: 32
; AccumOffset: 32
; Occupancy: 8
; WaveLimiterHint : 1
; COMPUTE_PGM_RSRC2:SCRATCH_EN: 0
; COMPUTE_PGM_RSRC2:USER_SGPR: 2
; COMPUTE_PGM_RSRC2:TRAP_HANDLER: 0
; COMPUTE_PGM_RSRC2:TGID_X_EN: 1
; COMPUTE_PGM_RSRC2:TGID_Y_EN: 0
; COMPUTE_PGM_RSRC2:TGID_Z_EN: 0
; COMPUTE_PGM_RSRC2:TIDIG_COMP_CNT: 0
; COMPUTE_PGM_RSRC3_GFX90A:ACCUM_OFFSET: 7
; COMPUTE_PGM_RSRC3_GFX90A:TG_SPLIT: 0
	.section	.text._ZN9rocsparseL19gebsrmvn_3xn_kernelILj128ELj1ELj64EdEEvi20rocsparse_direction_NS_24const_host_device_scalarIT2_EEPKiS6_PKS3_S8_S4_PS3_21rocsparse_index_base_b,"axG",@progbits,_ZN9rocsparseL19gebsrmvn_3xn_kernelILj128ELj1ELj64EdEEvi20rocsparse_direction_NS_24const_host_device_scalarIT2_EEPKiS6_PKS3_S8_S4_PS3_21rocsparse_index_base_b,comdat
	.globl	_ZN9rocsparseL19gebsrmvn_3xn_kernelILj128ELj1ELj64EdEEvi20rocsparse_direction_NS_24const_host_device_scalarIT2_EEPKiS6_PKS3_S8_S4_PS3_21rocsparse_index_base_b ; -- Begin function _ZN9rocsparseL19gebsrmvn_3xn_kernelILj128ELj1ELj64EdEEvi20rocsparse_direction_NS_24const_host_device_scalarIT2_EEPKiS6_PKS3_S8_S4_PS3_21rocsparse_index_base_b
	.p2align	8
	.type	_ZN9rocsparseL19gebsrmvn_3xn_kernelILj128ELj1ELj64EdEEvi20rocsparse_direction_NS_24const_host_device_scalarIT2_EEPKiS6_PKS3_S8_S4_PS3_21rocsparse_index_base_b,@function
_ZN9rocsparseL19gebsrmvn_3xn_kernelILj128ELj1ELj64EdEEvi20rocsparse_direction_NS_24const_host_device_scalarIT2_EEPKiS6_PKS3_S8_S4_PS3_21rocsparse_index_base_b: ; @_ZN9rocsparseL19gebsrmvn_3xn_kernelILj128ELj1ELj64EdEEvi20rocsparse_direction_NS_24const_host_device_scalarIT2_EEPKiS6_PKS3_S8_S4_PS3_21rocsparse_index_base_b
; %bb.0:
	s_load_dwordx2 s[12:13], s[0:1], 0x40
	s_load_dwordx2 s[8:9], s[0:1], 0x8
	s_load_dwordx2 s[4:5], s[0:1], 0x30
	s_waitcnt lgkmcnt(0)
	s_bitcmp1_b32 s13, 0
	s_cselect_b64 s[10:11], -1, 0
	s_xor_b64 s[6:7], s[10:11], -1
	s_and_b64 vcc, exec, s[10:11]
	v_mov_b64_e32 v[2:3], s[8:9]
	s_cbranch_vccnz .LBB41_2
; %bb.1:
	v_mov_b64_e32 v[2:3], s[8:9]
	flat_load_dwordx2 v[2:3], v[2:3]
.LBB41_2:
	s_andn2_b64 vcc, exec, s[6:7]
	v_mov_b64_e32 v[4:5], s[4:5]
	s_cbranch_vccnz .LBB41_4
; %bb.3:
	v_mov_b64_e32 v[4:5], s[4:5]
	flat_load_dwordx2 v[4:5], v[4:5]
.LBB41_4:
	s_waitcnt vmcnt(0) lgkmcnt(0)
	v_cmp_neq_f64_e32 vcc, 0, v[2:3]
	v_cmp_neq_f64_e64 s[4:5], 1.0, v[4:5]
	s_or_b64 s[4:5], vcc, s[4:5]
	s_and_saveexec_b64 s[6:7], s[4:5]
	s_cbranch_execz .LBB41_23
; %bb.5:
	s_load_dwordx2 s[14:15], s[0:1], 0x0
	v_lshrrev_b32_e32 v1, 6, v0
	v_lshl_or_b32 v6, s2, 1, v1
	s_waitcnt lgkmcnt(0)
	v_cmp_gt_i32_e32 vcc, s14, v6
	s_and_b64 exec, exec, vcc
	s_cbranch_execz .LBB41_23
; %bb.6:
	s_load_dwordx8 s[4:11], s[0:1], 0x10
	v_ashrrev_i32_e32 v7, 31, v6
	s_cmp_lg_u32 s15, 0
	s_waitcnt lgkmcnt(0)
	v_lshl_add_u64 v[8:9], v[6:7], 2, s[4:5]
	global_load_dwordx2 v[8:9], v[8:9], off
	v_and_b32_e32 v7, 63, v0
	s_waitcnt vmcnt(0)
	v_subrev_u32_e32 v0, s12, v8
	v_subrev_u32_e32 v18, s12, v9
	v_add_u32_e32 v12, v0, v7
	v_cmp_lt_i32_e64 s[2:3], v12, v18
	s_cbranch_scc0 .LBB41_12
; %bb.7:
	v_mov_b64_e32 v[10:11], 0
	s_mov_b64 s[4:5], 0
	v_mov_b64_e32 v[0:1], v[10:11]
	v_mov_b64_e32 v[8:9], v[10:11]
	s_and_saveexec_b64 s[14:15], s[2:3]
	s_cbranch_execz .LBB41_11
; %bb.8:
	v_mov_b64_e32 v[10:11], 0
	v_lshl_add_u32 v14, v12, 1, v12
	s_mov_b64 s[16:17], 0
	v_mov_b32_e32 v15, 0
	v_mov_b32_e32 v16, v12
	v_mov_b64_e32 v[0:1], v[10:11]
	v_mov_b64_e32 v[8:9], v[10:11]
.LBB41_9:                               ; =>This Inner Loop Header: Depth=1
	v_ashrrev_i32_e32 v17, 31, v16
	v_lshl_add_u64 v[20:21], v[16:17], 2, s[6:7]
	global_load_dword v13, v[20:21], off
	v_mov_b32_e32 v23, v15
	v_add_u32_e32 v24, 1, v14
	v_mov_b32_e32 v25, v15
	v_lshl_add_u64 v[20:21], v[14:15], 3, s[8:9]
	v_add_u32_e32 v26, 2, v14
	v_mov_b32_e32 v27, v15
	v_lshl_add_u64 v[24:25], v[24:25], 3, s[8:9]
	global_load_dwordx2 v[20:21], v[20:21], off
	v_lshl_add_u64 v[26:27], v[26:27], 3, s[8:9]
	global_load_dwordx2 v[28:29], v[24:25], off
	global_load_dwordx2 v[30:31], v[26:27], off
	v_add_u32_e32 v16, 64, v16
	v_cmp_ge_i32_e32 vcc, v16, v18
	v_add_u32_e32 v14, 0xc0, v14
	s_or_b64 s[16:17], vcc, s[16:17]
	s_waitcnt vmcnt(3)
	v_subrev_u32_e32 v22, s12, v13
	v_lshl_add_u64 v[22:23], v[22:23], 3, s[10:11]
	global_load_dwordx2 v[22:23], v[22:23], off
	s_waitcnt vmcnt(0)
	v_fmac_f64_e32 v[10:11], v[20:21], v[22:23]
	v_fmac_f64_e32 v[8:9], v[28:29], v[22:23]
	;; [unrolled: 1-line block ×3, first 2 shown]
	s_andn2_b64 exec, exec, s[16:17]
	s_cbranch_execnz .LBB41_9
; %bb.10:
	s_or_b64 exec, exec, s[16:17]
.LBB41_11:
	s_or_b64 exec, exec, s[14:15]
	s_andn2_b64 vcc, exec, s[4:5]
	s_cbranch_vccz .LBB41_13
	s_branch .LBB41_18
.LBB41_12:
                                        ; implicit-def: $vgpr10_vgpr11
                                        ; implicit-def: $vgpr0_vgpr1
                                        ; implicit-def: $vgpr8_vgpr9
.LBB41_13:
	v_mov_b64_e32 v[10:11], 0
	v_mov_b64_e32 v[0:1], v[10:11]
	;; [unrolled: 1-line block ×3, first 2 shown]
	s_and_saveexec_b64 s[4:5], s[2:3]
	s_cbranch_execz .LBB41_17
; %bb.14:
	v_mov_b64_e32 v[10:11], 0
	v_lshl_add_u32 v14, v12, 1, v12
	s_mov_b64 s[2:3], 0
	v_mov_b32_e32 v15, 0
	v_mov_b64_e32 v[0:1], v[10:11]
	v_mov_b64_e32 v[8:9], v[10:11]
.LBB41_15:                              ; =>This Inner Loop Header: Depth=1
	v_ashrrev_i32_e32 v13, 31, v12
	v_lshl_add_u64 v[16:17], v[12:13], 2, s[6:7]
	global_load_dword v13, v[16:17], off
	v_mov_b32_e32 v21, v15
	v_add_u32_e32 v22, 1, v14
	v_mov_b32_e32 v23, v15
	v_lshl_add_u64 v[16:17], v[14:15], 3, s[8:9]
	v_add_u32_e32 v24, 2, v14
	v_mov_b32_e32 v25, v15
	v_lshl_add_u64 v[22:23], v[22:23], 3, s[8:9]
	global_load_dwordx2 v[16:17], v[16:17], off
	v_lshl_add_u64 v[24:25], v[24:25], 3, s[8:9]
	global_load_dwordx2 v[26:27], v[22:23], off
	global_load_dwordx2 v[28:29], v[24:25], off
	v_add_u32_e32 v12, 64, v12
	v_cmp_ge_i32_e32 vcc, v12, v18
	v_add_u32_e32 v14, 0xc0, v14
	s_or_b64 s[2:3], vcc, s[2:3]
	s_waitcnt vmcnt(3)
	v_subrev_u32_e32 v20, s12, v13
	v_lshl_add_u64 v[20:21], v[20:21], 3, s[10:11]
	global_load_dwordx2 v[20:21], v[20:21], off
	s_waitcnt vmcnt(0)
	v_fmac_f64_e32 v[10:11], v[16:17], v[20:21]
	v_fmac_f64_e32 v[8:9], v[26:27], v[20:21]
	;; [unrolled: 1-line block ×3, first 2 shown]
	s_andn2_b64 exec, exec, s[2:3]
	s_cbranch_execnz .LBB41_15
; %bb.16:
	s_or_b64 exec, exec, s[2:3]
.LBB41_17:
	s_or_b64 exec, exec, s[4:5]
.LBB41_18:
	v_mov_b32_dpp v12, v10 row_shr:1 row_mask:0xf bank_mask:0xf
	v_mov_b32_dpp v13, v11 row_shr:1 row_mask:0xf bank_mask:0xf
	v_mov_b32_dpp v14, v8 row_shr:1 row_mask:0xf bank_mask:0xf
	v_mov_b32_dpp v15, v9 row_shr:1 row_mask:0xf bank_mask:0xf
	v_mov_b32_dpp v16, v0 row_shr:1 row_mask:0xf bank_mask:0xf
	v_mov_b32_dpp v17, v1 row_shr:1 row_mask:0xf bank_mask:0xf
	v_add_f64 v[10:11], v[10:11], v[12:13]
	v_add_f64 v[8:9], v[8:9], v[14:15]
	v_add_f64 v[0:1], v[0:1], v[16:17]
	v_mov_b32_dpp v12, v10 row_shr:2 row_mask:0xf bank_mask:0xf
	v_mov_b32_dpp v13, v11 row_shr:2 row_mask:0xf bank_mask:0xf
	v_mov_b32_dpp v14, v8 row_shr:2 row_mask:0xf bank_mask:0xf
	v_mov_b32_dpp v15, v9 row_shr:2 row_mask:0xf bank_mask:0xf
	v_mov_b32_dpp v16, v0 row_shr:2 row_mask:0xf bank_mask:0xf
	v_mov_b32_dpp v17, v1 row_shr:2 row_mask:0xf bank_mask:0xf
	v_add_f64 v[10:11], v[10:11], v[12:13]
	v_add_f64 v[8:9], v[8:9], v[14:15]
	v_add_f64 v[0:1], v[0:1], v[16:17]
	;; [unrolled: 9-line block ×4, first 2 shown]
	v_mov_b32_dpp v12, v10 row_bcast:15 row_mask:0xa bank_mask:0xf
	v_mov_b32_dpp v13, v11 row_bcast:15 row_mask:0xa bank_mask:0xf
	;; [unrolled: 1-line block ×6, first 2 shown]
	v_add_f64 v[10:11], v[10:11], v[12:13]
	v_add_f64 v[8:9], v[8:9], v[14:15]
	;; [unrolled: 1-line block ×3, first 2 shown]
	v_mov_b32_dpp v12, v10 row_bcast:31 row_mask:0xc bank_mask:0xf
	v_mov_b32_dpp v13, v11 row_bcast:31 row_mask:0xc bank_mask:0xf
	v_mov_b32_dpp v14, v8 row_bcast:31 row_mask:0xc bank_mask:0xf
	v_mov_b32_dpp v15, v9 row_bcast:31 row_mask:0xc bank_mask:0xf
	v_mov_b32_dpp v16, v0 row_bcast:31 row_mask:0xc bank_mask:0xf
	v_mov_b32_dpp v17, v1 row_bcast:31 row_mask:0xc bank_mask:0xf
	v_cmp_eq_u32_e32 vcc, 63, v7
	s_and_b64 exec, exec, vcc
	s_cbranch_execz .LBB41_23
; %bb.19:
	s_load_dwordx2 s[0:1], s[0:1], 0x38
	v_add_f64 v[10:11], v[10:11], v[12:13]
	v_add_f64 v[8:9], v[8:9], v[14:15]
	;; [unrolled: 1-line block ×3, first 2 shown]
	v_cmp_eq_f64_e32 vcc, 0, v[4:5]
	s_and_saveexec_b64 s[2:3], vcc
	s_xor_b64 s[2:3], exec, s[2:3]
	s_cbranch_execz .LBB41_21
; %bb.20:
	v_lshl_add_u32 v6, v6, 1, v6
	v_ashrrev_i32_e32 v7, 31, v6
	v_mul_f64 v[4:5], v[2:3], v[10:11]
	s_waitcnt lgkmcnt(0)
	v_lshl_add_u64 v[10:11], v[6:7], 3, s[0:1]
	v_mul_f64 v[6:7], v[2:3], v[8:9]
	v_mul_f64 v[0:1], v[2:3], v[0:1]
	global_store_dwordx4 v[10:11], v[4:7], off
	global_store_dwordx2 v[10:11], v[0:1], off offset:16
                                        ; implicit-def: $vgpr6
                                        ; implicit-def: $vgpr2_vgpr3
                                        ; implicit-def: $vgpr10_vgpr11
                                        ; implicit-def: $vgpr4_vgpr5
                                        ; implicit-def: $vgpr8_vgpr9
                                        ; implicit-def: $vgpr0_vgpr1
.LBB41_21:
	s_andn2_saveexec_b64 s[2:3], s[2:3]
	s_cbranch_execz .LBB41_23
; %bb.22:
	v_lshl_add_u32 v6, v6, 1, v6
	v_ashrrev_i32_e32 v7, 31, v6
	s_waitcnt lgkmcnt(0)
	v_lshl_add_u64 v[16:17], v[6:7], 3, s[0:1]
	global_load_dwordx4 v[12:15], v[16:17], off
	global_load_dwordx2 v[18:19], v[16:17], off offset:16
	v_mul_f64 v[6:7], v[2:3], v[10:11]
	v_mul_f64 v[8:9], v[2:3], v[8:9]
	;; [unrolled: 1-line block ×3, first 2 shown]
	s_waitcnt vmcnt(1)
	v_fmac_f64_e32 v[6:7], v[4:5], v[12:13]
	v_fmac_f64_e32 v[8:9], v[4:5], v[14:15]
	s_waitcnt vmcnt(0)
	v_fmac_f64_e32 v[0:1], v[4:5], v[18:19]
	global_store_dwordx4 v[16:17], v[6:9], off
	global_store_dwordx2 v[16:17], v[0:1], off offset:16
.LBB41_23:
	s_endpgm
	.section	.rodata,"a",@progbits
	.p2align	6, 0x0
	.amdhsa_kernel _ZN9rocsparseL19gebsrmvn_3xn_kernelILj128ELj1ELj64EdEEvi20rocsparse_direction_NS_24const_host_device_scalarIT2_EEPKiS6_PKS3_S8_S4_PS3_21rocsparse_index_base_b
		.amdhsa_group_segment_fixed_size 0
		.amdhsa_private_segment_fixed_size 0
		.amdhsa_kernarg_size 72
		.amdhsa_user_sgpr_count 2
		.amdhsa_user_sgpr_dispatch_ptr 0
		.amdhsa_user_sgpr_queue_ptr 0
		.amdhsa_user_sgpr_kernarg_segment_ptr 1
		.amdhsa_user_sgpr_dispatch_id 0
		.amdhsa_user_sgpr_kernarg_preload_length 0
		.amdhsa_user_sgpr_kernarg_preload_offset 0
		.amdhsa_user_sgpr_private_segment_size 0
		.amdhsa_uses_dynamic_stack 0
		.amdhsa_enable_private_segment 0
		.amdhsa_system_sgpr_workgroup_id_x 1
		.amdhsa_system_sgpr_workgroup_id_y 0
		.amdhsa_system_sgpr_workgroup_id_z 0
		.amdhsa_system_sgpr_workgroup_info 0
		.amdhsa_system_vgpr_workitem_id 0
		.amdhsa_next_free_vgpr 32
		.amdhsa_next_free_sgpr 18
		.amdhsa_accum_offset 32
		.amdhsa_reserve_vcc 1
		.amdhsa_float_round_mode_32 0
		.amdhsa_float_round_mode_16_64 0
		.amdhsa_float_denorm_mode_32 3
		.amdhsa_float_denorm_mode_16_64 3
		.amdhsa_dx10_clamp 1
		.amdhsa_ieee_mode 1
		.amdhsa_fp16_overflow 0
		.amdhsa_tg_split 0
		.amdhsa_exception_fp_ieee_invalid_op 0
		.amdhsa_exception_fp_denorm_src 0
		.amdhsa_exception_fp_ieee_div_zero 0
		.amdhsa_exception_fp_ieee_overflow 0
		.amdhsa_exception_fp_ieee_underflow 0
		.amdhsa_exception_fp_ieee_inexact 0
		.amdhsa_exception_int_div_zero 0
	.end_amdhsa_kernel
	.section	.text._ZN9rocsparseL19gebsrmvn_3xn_kernelILj128ELj1ELj64EdEEvi20rocsparse_direction_NS_24const_host_device_scalarIT2_EEPKiS6_PKS3_S8_S4_PS3_21rocsparse_index_base_b,"axG",@progbits,_ZN9rocsparseL19gebsrmvn_3xn_kernelILj128ELj1ELj64EdEEvi20rocsparse_direction_NS_24const_host_device_scalarIT2_EEPKiS6_PKS3_S8_S4_PS3_21rocsparse_index_base_b,comdat
.Lfunc_end41:
	.size	_ZN9rocsparseL19gebsrmvn_3xn_kernelILj128ELj1ELj64EdEEvi20rocsparse_direction_NS_24const_host_device_scalarIT2_EEPKiS6_PKS3_S8_S4_PS3_21rocsparse_index_base_b, .Lfunc_end41-_ZN9rocsparseL19gebsrmvn_3xn_kernelILj128ELj1ELj64EdEEvi20rocsparse_direction_NS_24const_host_device_scalarIT2_EEPKiS6_PKS3_S8_S4_PS3_21rocsparse_index_base_b
                                        ; -- End function
	.section	.AMDGPU.csdata,"",@progbits
; Kernel info:
; codeLenInByte = 1308
; NumSgprs: 24
; NumVgprs: 32
; NumAgprs: 0
; TotalNumVgprs: 32
; ScratchSize: 0
; MemoryBound: 0
; FloatMode: 240
; IeeeMode: 1
; LDSByteSize: 0 bytes/workgroup (compile time only)
; SGPRBlocks: 2
; VGPRBlocks: 3
; NumSGPRsForWavesPerEU: 24
; NumVGPRsForWavesPerEU: 32
; AccumOffset: 32
; Occupancy: 8
; WaveLimiterHint : 1
; COMPUTE_PGM_RSRC2:SCRATCH_EN: 0
; COMPUTE_PGM_RSRC2:USER_SGPR: 2
; COMPUTE_PGM_RSRC2:TRAP_HANDLER: 0
; COMPUTE_PGM_RSRC2:TGID_X_EN: 1
; COMPUTE_PGM_RSRC2:TGID_Y_EN: 0
; COMPUTE_PGM_RSRC2:TGID_Z_EN: 0
; COMPUTE_PGM_RSRC2:TIDIG_COMP_CNT: 0
; COMPUTE_PGM_RSRC3_GFX90A:ACCUM_OFFSET: 7
; COMPUTE_PGM_RSRC3_GFX90A:TG_SPLIT: 0
	.section	.text._ZN9rocsparseL19gebsrmvn_3xn_kernelILj128ELj2ELj4EdEEvi20rocsparse_direction_NS_24const_host_device_scalarIT2_EEPKiS6_PKS3_S8_S4_PS3_21rocsparse_index_base_b,"axG",@progbits,_ZN9rocsparseL19gebsrmvn_3xn_kernelILj128ELj2ELj4EdEEvi20rocsparse_direction_NS_24const_host_device_scalarIT2_EEPKiS6_PKS3_S8_S4_PS3_21rocsparse_index_base_b,comdat
	.globl	_ZN9rocsparseL19gebsrmvn_3xn_kernelILj128ELj2ELj4EdEEvi20rocsparse_direction_NS_24const_host_device_scalarIT2_EEPKiS6_PKS3_S8_S4_PS3_21rocsparse_index_base_b ; -- Begin function _ZN9rocsparseL19gebsrmvn_3xn_kernelILj128ELj2ELj4EdEEvi20rocsparse_direction_NS_24const_host_device_scalarIT2_EEPKiS6_PKS3_S8_S4_PS3_21rocsparse_index_base_b
	.p2align	8
	.type	_ZN9rocsparseL19gebsrmvn_3xn_kernelILj128ELj2ELj4EdEEvi20rocsparse_direction_NS_24const_host_device_scalarIT2_EEPKiS6_PKS3_S8_S4_PS3_21rocsparse_index_base_b,@function
_ZN9rocsparseL19gebsrmvn_3xn_kernelILj128ELj2ELj4EdEEvi20rocsparse_direction_NS_24const_host_device_scalarIT2_EEPKiS6_PKS3_S8_S4_PS3_21rocsparse_index_base_b: ; @_ZN9rocsparseL19gebsrmvn_3xn_kernelILj128ELj2ELj4EdEEvi20rocsparse_direction_NS_24const_host_device_scalarIT2_EEPKiS6_PKS3_S8_S4_PS3_21rocsparse_index_base_b
; %bb.0:
	s_load_dwordx2 s[12:13], s[0:1], 0x40
	s_load_dwordx2 s[8:9], s[0:1], 0x8
	;; [unrolled: 1-line block ×3, first 2 shown]
	s_waitcnt lgkmcnt(0)
	s_bitcmp1_b32 s13, 0
	s_cselect_b64 s[10:11], -1, 0
	s_xor_b64 s[6:7], s[10:11], -1
	s_and_b64 vcc, exec, s[10:11]
	v_mov_b64_e32 v[2:3], s[8:9]
	s_cbranch_vccnz .LBB42_2
; %bb.1:
	v_mov_b64_e32 v[2:3], s[8:9]
	flat_load_dwordx2 v[2:3], v[2:3]
.LBB42_2:
	s_andn2_b64 vcc, exec, s[6:7]
	v_mov_b64_e32 v[4:5], s[4:5]
	s_cbranch_vccnz .LBB42_4
; %bb.3:
	v_mov_b64_e32 v[4:5], s[4:5]
	flat_load_dwordx2 v[4:5], v[4:5]
.LBB42_4:
	s_waitcnt vmcnt(0) lgkmcnt(0)
	v_cmp_neq_f64_e32 vcc, 0, v[2:3]
	v_cmp_neq_f64_e64 s[4:5], 1.0, v[4:5]
	s_or_b64 s[4:5], vcc, s[4:5]
	s_and_saveexec_b64 s[6:7], s[4:5]
	s_cbranch_execz .LBB42_23
; %bb.5:
	s_load_dwordx2 s[14:15], s[0:1], 0x0
	v_lshrrev_b32_e32 v1, 2, v0
	v_lshl_or_b32 v6, s2, 5, v1
	s_waitcnt lgkmcnt(0)
	v_cmp_gt_i32_e32 vcc, s14, v6
	s_and_b64 exec, exec, vcc
	s_cbranch_execz .LBB42_23
; %bb.6:
	s_load_dwordx8 s[4:11], s[0:1], 0x10
	v_ashrrev_i32_e32 v7, 31, v6
	s_cmp_lg_u32 s15, 0
	s_waitcnt lgkmcnt(0)
	v_lshl_add_u64 v[8:9], v[6:7], 2, s[4:5]
	global_load_dwordx2 v[8:9], v[8:9], off
	v_and_b32_e32 v7, 3, v0
	s_waitcnt vmcnt(0)
	v_subrev_u32_e32 v0, s12, v8
	v_subrev_u32_e32 v20, s12, v9
	v_add_u32_e32 v10, v0, v7
	v_cmp_lt_i32_e64 s[2:3], v10, v20
	s_cbranch_scc0 .LBB42_12
; %bb.7:
	v_mov_b64_e32 v[0:1], 0
	s_mov_b64 s[4:5], 0
	v_mov_b64_e32 v[8:9], v[0:1]
	v_mov_b64_e32 v[12:13], v[0:1]
	s_and_saveexec_b64 s[14:15], s[2:3]
	s_cbranch_execz .LBB42_11
; %bb.8:
	v_mad_u64_u32 v[14:15], s[16:17], v10, 6, 5
	v_mov_b64_e32 v[0:1], 0
	s_mov_b64 s[16:17], 0
	v_mov_b32_e32 v17, 0
	v_mov_b32_e32 v18, v10
	v_mov_b64_e32 v[8:9], v[0:1]
	v_mov_b64_e32 v[12:13], v[0:1]
.LBB42_9:                               ; =>This Inner Loop Header: Depth=1
	v_ashrrev_i32_e32 v19, 31, v18
	v_lshl_add_u64 v[22:23], v[18:19], 2, s[6:7]
	global_load_dword v11, v[22:23], off
	v_add_u32_e32 v16, -5, v14
	v_lshl_add_u64 v[22:23], v[16:17], 3, s[8:9]
	v_add_u32_e32 v16, -3, v14
	v_lshl_add_u64 v[28:29], v[16:17], 3, s[8:9]
	v_add_u32_e32 v16, -2, v14
	v_mov_b32_e32 v27, v17
	v_lshl_add_u64 v[32:33], v[16:17], 3, s[8:9]
	v_add_u32_e32 v16, -1, v14
	v_mov_b32_e32 v15, v17
	global_load_dwordx4 v[22:25], v[22:23], off
	v_lshl_add_u64 v[30:31], v[14:15], 3, s[8:9]
	global_load_dwordx2 v[34:35], v[28:29], off
	v_lshl_add_u64 v[28:29], v[16:17], 3, s[8:9]
	global_load_dwordx2 v[36:37], v[32:33], off
	global_load_dwordx2 v[38:39], v[28:29], off
	v_add_u32_e32 v18, 4, v18
	v_cmp_ge_i32_e32 vcc, v18, v20
	v_add_u32_e32 v14, 24, v14
	s_or_b64 s[16:17], vcc, s[16:17]
	s_waitcnt vmcnt(4)
	v_subrev_u32_e32 v11, s12, v11
	v_lshlrev_b32_e32 v26, 1, v11
	v_lshl_add_u64 v[32:33], v[26:27], 3, s[10:11]
	global_load_dwordx4 v[26:29], v[32:33], off
	global_load_dwordx2 v[40:41], v[30:31], off
	s_waitcnt vmcnt(1)
	v_fmac_f64_e32 v[0:1], v[22:23], v[26:27]
	v_fmac_f64_e32 v[12:13], v[24:25], v[26:27]
	;; [unrolled: 1-line block ×5, first 2 shown]
	s_waitcnt vmcnt(0)
	v_fmac_f64_e32 v[8:9], v[40:41], v[28:29]
	s_andn2_b64 exec, exec, s[16:17]
	s_cbranch_execnz .LBB42_9
; %bb.10:
	s_or_b64 exec, exec, s[16:17]
.LBB42_11:
	s_or_b64 exec, exec, s[14:15]
	s_andn2_b64 vcc, exec, s[4:5]
	s_cbranch_vccz .LBB42_13
	s_branch .LBB42_18
.LBB42_12:
                                        ; implicit-def: $vgpr0_vgpr1
                                        ; implicit-def: $vgpr8_vgpr9
                                        ; implicit-def: $vgpr12_vgpr13
.LBB42_13:
	v_mov_b64_e32 v[0:1], 0
	v_mov_b64_e32 v[8:9], v[0:1]
	v_mov_b64_e32 v[12:13], v[0:1]
	s_and_saveexec_b64 s[4:5], s[2:3]
	s_cbranch_execz .LBB42_17
; %bb.14:
	v_mad_u64_u32 v[14:15], s[2:3], v10, 6, 5
	v_mov_b64_e32 v[0:1], 0
	s_mov_b64 s[2:3], 0
	v_mov_b32_e32 v17, 0
	v_mov_b64_e32 v[8:9], v[0:1]
	v_mov_b64_e32 v[12:13], v[0:1]
.LBB42_15:                              ; =>This Inner Loop Header: Depth=1
	v_ashrrev_i32_e32 v11, 31, v10
	v_lshl_add_u64 v[18:19], v[10:11], 2, s[6:7]
	global_load_dword v11, v[18:19], off
	v_add_u32_e32 v16, -5, v14
	v_add_u32_e32 v18, -3, v14
	v_mov_b32_e32 v19, v17
	v_add_u32_e32 v22, -1, v14
	v_mov_b32_e32 v27, v17
	v_mov_b32_e32 v23, v17
	v_lshl_add_u64 v[24:25], v[16:17], 3, s[8:9]
	v_lshl_add_u64 v[18:19], v[18:19], 3, s[8:9]
	v_add_u32_e32 v16, -2, v14
	v_mov_b32_e32 v15, v17
	v_lshl_add_u64 v[28:29], v[22:23], 3, s[8:9]
	global_load_dwordx4 v[22:25], v[24:25], off
	v_lshl_add_u64 v[32:33], v[16:17], 3, s[8:9]
	global_load_dwordx2 v[34:35], v[18:19], off
	global_load_dwordx2 v[36:37], v[28:29], off
	;; [unrolled: 1-line block ×3, first 2 shown]
	v_lshl_add_u64 v[30:31], v[14:15], 3, s[8:9]
	v_add_u32_e32 v10, 4, v10
	v_cmp_ge_i32_e32 vcc, v10, v20
	v_add_u32_e32 v14, 24, v14
	s_or_b64 s[2:3], vcc, s[2:3]
	s_waitcnt vmcnt(4)
	v_subrev_u32_e32 v11, s12, v11
	v_lshlrev_b32_e32 v26, 1, v11
	v_lshl_add_u64 v[18:19], v[26:27], 3, s[10:11]
	global_load_dwordx4 v[26:29], v[18:19], off
	global_load_dwordx2 v[32:33], v[30:31], off
	s_waitcnt vmcnt(1)
	v_fmac_f64_e32 v[0:1], v[22:23], v[26:27]
	v_fmac_f64_e32 v[12:13], v[34:35], v[26:27]
	;; [unrolled: 1-line block ×5, first 2 shown]
	s_waitcnt vmcnt(0)
	v_fmac_f64_e32 v[8:9], v[32:33], v[28:29]
	s_andn2_b64 exec, exec, s[2:3]
	s_cbranch_execnz .LBB42_15
; %bb.16:
	s_or_b64 exec, exec, s[2:3]
.LBB42_17:
	s_or_b64 exec, exec, s[4:5]
.LBB42_18:
	v_mov_b32_dpp v10, v0 row_shr:1 row_mask:0xf bank_mask:0xf
	v_mov_b32_dpp v11, v1 row_shr:1 row_mask:0xf bank_mask:0xf
	;; [unrolled: 1-line block ×6, first 2 shown]
	v_add_f64 v[0:1], v[0:1], v[10:11]
	v_add_f64 v[12:13], v[12:13], v[14:15]
	;; [unrolled: 1-line block ×3, first 2 shown]
	v_mov_b32_dpp v10, v0 row_shr:2 row_mask:0xf bank_mask:0xf
	v_mov_b32_dpp v11, v1 row_shr:2 row_mask:0xf bank_mask:0xf
	;; [unrolled: 1-line block ×6, first 2 shown]
	v_cmp_eq_u32_e32 vcc, 3, v7
	s_and_b64 exec, exec, vcc
	s_cbranch_execz .LBB42_23
; %bb.19:
	s_load_dwordx2 s[0:1], s[0:1], 0x38
	v_add_f64 v[10:11], v[0:1], v[10:11]
	v_add_f64 v[8:9], v[12:13], v[14:15]
	;; [unrolled: 1-line block ×3, first 2 shown]
	v_cmp_eq_f64_e32 vcc, 0, v[4:5]
	s_and_saveexec_b64 s[2:3], vcc
	s_xor_b64 s[2:3], exec, s[2:3]
	s_cbranch_execz .LBB42_21
; %bb.20:
	v_lshl_add_u32 v6, v6, 1, v6
	v_ashrrev_i32_e32 v7, 31, v6
	v_mul_f64 v[4:5], v[2:3], v[10:11]
	s_waitcnt lgkmcnt(0)
	v_lshl_add_u64 v[10:11], v[6:7], 3, s[0:1]
	v_mul_f64 v[6:7], v[2:3], v[8:9]
	v_mul_f64 v[0:1], v[2:3], v[0:1]
	global_store_dwordx4 v[10:11], v[4:7], off
	global_store_dwordx2 v[10:11], v[0:1], off offset:16
                                        ; implicit-def: $vgpr6
                                        ; implicit-def: $vgpr2_vgpr3
                                        ; implicit-def: $vgpr10_vgpr11
                                        ; implicit-def: $vgpr4_vgpr5
                                        ; implicit-def: $vgpr8_vgpr9
                                        ; implicit-def: $vgpr0_vgpr1
.LBB42_21:
	s_andn2_saveexec_b64 s[2:3], s[2:3]
	s_cbranch_execz .LBB42_23
; %bb.22:
	v_lshl_add_u32 v6, v6, 1, v6
	v_ashrrev_i32_e32 v7, 31, v6
	s_waitcnt lgkmcnt(0)
	v_lshl_add_u64 v[16:17], v[6:7], 3, s[0:1]
	global_load_dwordx4 v[12:15], v[16:17], off
	global_load_dwordx2 v[18:19], v[16:17], off offset:16
	v_mul_f64 v[6:7], v[2:3], v[10:11]
	v_mul_f64 v[8:9], v[2:3], v[8:9]
	;; [unrolled: 1-line block ×3, first 2 shown]
	s_waitcnt vmcnt(1)
	v_fmac_f64_e32 v[6:7], v[4:5], v[12:13]
	v_fmac_f64_e32 v[8:9], v[4:5], v[14:15]
	s_waitcnt vmcnt(0)
	v_fmac_f64_e32 v[0:1], v[4:5], v[18:19]
	global_store_dwordx4 v[16:17], v[6:9], off
	global_store_dwordx2 v[16:17], v[0:1], off offset:16
.LBB42_23:
	s_endpgm
	.section	.rodata,"a",@progbits
	.p2align	6, 0x0
	.amdhsa_kernel _ZN9rocsparseL19gebsrmvn_3xn_kernelILj128ELj2ELj4EdEEvi20rocsparse_direction_NS_24const_host_device_scalarIT2_EEPKiS6_PKS3_S8_S4_PS3_21rocsparse_index_base_b
		.amdhsa_group_segment_fixed_size 0
		.amdhsa_private_segment_fixed_size 0
		.amdhsa_kernarg_size 72
		.amdhsa_user_sgpr_count 2
		.amdhsa_user_sgpr_dispatch_ptr 0
		.amdhsa_user_sgpr_queue_ptr 0
		.amdhsa_user_sgpr_kernarg_segment_ptr 1
		.amdhsa_user_sgpr_dispatch_id 0
		.amdhsa_user_sgpr_kernarg_preload_length 0
		.amdhsa_user_sgpr_kernarg_preload_offset 0
		.amdhsa_user_sgpr_private_segment_size 0
		.amdhsa_uses_dynamic_stack 0
		.amdhsa_enable_private_segment 0
		.amdhsa_system_sgpr_workgroup_id_x 1
		.amdhsa_system_sgpr_workgroup_id_y 0
		.amdhsa_system_sgpr_workgroup_id_z 0
		.amdhsa_system_sgpr_workgroup_info 0
		.amdhsa_system_vgpr_workitem_id 0
		.amdhsa_next_free_vgpr 42
		.amdhsa_next_free_sgpr 18
		.amdhsa_accum_offset 44
		.amdhsa_reserve_vcc 1
		.amdhsa_float_round_mode_32 0
		.amdhsa_float_round_mode_16_64 0
		.amdhsa_float_denorm_mode_32 3
		.amdhsa_float_denorm_mode_16_64 3
		.amdhsa_dx10_clamp 1
		.amdhsa_ieee_mode 1
		.amdhsa_fp16_overflow 0
		.amdhsa_tg_split 0
		.amdhsa_exception_fp_ieee_invalid_op 0
		.amdhsa_exception_fp_denorm_src 0
		.amdhsa_exception_fp_ieee_div_zero 0
		.amdhsa_exception_fp_ieee_overflow 0
		.amdhsa_exception_fp_ieee_underflow 0
		.amdhsa_exception_fp_ieee_inexact 0
		.amdhsa_exception_int_div_zero 0
	.end_amdhsa_kernel
	.section	.text._ZN9rocsparseL19gebsrmvn_3xn_kernelILj128ELj2ELj4EdEEvi20rocsparse_direction_NS_24const_host_device_scalarIT2_EEPKiS6_PKS3_S8_S4_PS3_21rocsparse_index_base_b,"axG",@progbits,_ZN9rocsparseL19gebsrmvn_3xn_kernelILj128ELj2ELj4EdEEvi20rocsparse_direction_NS_24const_host_device_scalarIT2_EEPKiS6_PKS3_S8_S4_PS3_21rocsparse_index_base_b,comdat
.Lfunc_end42:
	.size	_ZN9rocsparseL19gebsrmvn_3xn_kernelILj128ELj2ELj4EdEEvi20rocsparse_direction_NS_24const_host_device_scalarIT2_EEPKiS6_PKS3_S8_S4_PS3_21rocsparse_index_base_b, .Lfunc_end42-_ZN9rocsparseL19gebsrmvn_3xn_kernelILj128ELj2ELj4EdEEvi20rocsparse_direction_NS_24const_host_device_scalarIT2_EEPKiS6_PKS3_S8_S4_PS3_21rocsparse_index_base_b
                                        ; -- End function
	.section	.AMDGPU.csdata,"",@progbits
; Kernel info:
; codeLenInByte = 1132
; NumSgprs: 24
; NumVgprs: 42
; NumAgprs: 0
; TotalNumVgprs: 42
; ScratchSize: 0
; MemoryBound: 0
; FloatMode: 240
; IeeeMode: 1
; LDSByteSize: 0 bytes/workgroup (compile time only)
; SGPRBlocks: 2
; VGPRBlocks: 5
; NumSGPRsForWavesPerEU: 24
; NumVGPRsForWavesPerEU: 42
; AccumOffset: 44
; Occupancy: 8
; WaveLimiterHint : 1
; COMPUTE_PGM_RSRC2:SCRATCH_EN: 0
; COMPUTE_PGM_RSRC2:USER_SGPR: 2
; COMPUTE_PGM_RSRC2:TRAP_HANDLER: 0
; COMPUTE_PGM_RSRC2:TGID_X_EN: 1
; COMPUTE_PGM_RSRC2:TGID_Y_EN: 0
; COMPUTE_PGM_RSRC2:TGID_Z_EN: 0
; COMPUTE_PGM_RSRC2:TIDIG_COMP_CNT: 0
; COMPUTE_PGM_RSRC3_GFX90A:ACCUM_OFFSET: 10
; COMPUTE_PGM_RSRC3_GFX90A:TG_SPLIT: 0
	.section	.text._ZN9rocsparseL19gebsrmvn_3xn_kernelILj128ELj2ELj8EdEEvi20rocsparse_direction_NS_24const_host_device_scalarIT2_EEPKiS6_PKS3_S8_S4_PS3_21rocsparse_index_base_b,"axG",@progbits,_ZN9rocsparseL19gebsrmvn_3xn_kernelILj128ELj2ELj8EdEEvi20rocsparse_direction_NS_24const_host_device_scalarIT2_EEPKiS6_PKS3_S8_S4_PS3_21rocsparse_index_base_b,comdat
	.globl	_ZN9rocsparseL19gebsrmvn_3xn_kernelILj128ELj2ELj8EdEEvi20rocsparse_direction_NS_24const_host_device_scalarIT2_EEPKiS6_PKS3_S8_S4_PS3_21rocsparse_index_base_b ; -- Begin function _ZN9rocsparseL19gebsrmvn_3xn_kernelILj128ELj2ELj8EdEEvi20rocsparse_direction_NS_24const_host_device_scalarIT2_EEPKiS6_PKS3_S8_S4_PS3_21rocsparse_index_base_b
	.p2align	8
	.type	_ZN9rocsparseL19gebsrmvn_3xn_kernelILj128ELj2ELj8EdEEvi20rocsparse_direction_NS_24const_host_device_scalarIT2_EEPKiS6_PKS3_S8_S4_PS3_21rocsparse_index_base_b,@function
_ZN9rocsparseL19gebsrmvn_3xn_kernelILj128ELj2ELj8EdEEvi20rocsparse_direction_NS_24const_host_device_scalarIT2_EEPKiS6_PKS3_S8_S4_PS3_21rocsparse_index_base_b: ; @_ZN9rocsparseL19gebsrmvn_3xn_kernelILj128ELj2ELj8EdEEvi20rocsparse_direction_NS_24const_host_device_scalarIT2_EEPKiS6_PKS3_S8_S4_PS3_21rocsparse_index_base_b
; %bb.0:
	s_load_dwordx2 s[12:13], s[0:1], 0x40
	s_load_dwordx2 s[8:9], s[0:1], 0x8
	;; [unrolled: 1-line block ×3, first 2 shown]
	s_waitcnt lgkmcnt(0)
	s_bitcmp1_b32 s13, 0
	s_cselect_b64 s[10:11], -1, 0
	s_xor_b64 s[6:7], s[10:11], -1
	s_and_b64 vcc, exec, s[10:11]
	v_mov_b64_e32 v[2:3], s[8:9]
	s_cbranch_vccnz .LBB43_2
; %bb.1:
	v_mov_b64_e32 v[2:3], s[8:9]
	flat_load_dwordx2 v[2:3], v[2:3]
.LBB43_2:
	s_andn2_b64 vcc, exec, s[6:7]
	v_mov_b64_e32 v[4:5], s[4:5]
	s_cbranch_vccnz .LBB43_4
; %bb.3:
	v_mov_b64_e32 v[4:5], s[4:5]
	flat_load_dwordx2 v[4:5], v[4:5]
.LBB43_4:
	s_waitcnt vmcnt(0) lgkmcnt(0)
	v_cmp_neq_f64_e32 vcc, 0, v[2:3]
	v_cmp_neq_f64_e64 s[4:5], 1.0, v[4:5]
	s_or_b64 s[4:5], vcc, s[4:5]
	s_and_saveexec_b64 s[6:7], s[4:5]
	s_cbranch_execz .LBB43_23
; %bb.5:
	s_load_dwordx2 s[14:15], s[0:1], 0x0
	v_lshrrev_b32_e32 v1, 3, v0
	v_lshl_or_b32 v6, s2, 4, v1
	s_waitcnt lgkmcnt(0)
	v_cmp_gt_i32_e32 vcc, s14, v6
	s_and_b64 exec, exec, vcc
	s_cbranch_execz .LBB43_23
; %bb.6:
	s_load_dwordx8 s[4:11], s[0:1], 0x10
	v_ashrrev_i32_e32 v7, 31, v6
	s_cmp_lg_u32 s15, 0
	s_waitcnt lgkmcnt(0)
	v_lshl_add_u64 v[8:9], v[6:7], 2, s[4:5]
	global_load_dwordx2 v[8:9], v[8:9], off
	v_and_b32_e32 v7, 7, v0
	s_waitcnt vmcnt(0)
	v_subrev_u32_e32 v0, s12, v8
	v_subrev_u32_e32 v20, s12, v9
	v_add_u32_e32 v10, v0, v7
	v_cmp_lt_i32_e64 s[2:3], v10, v20
	s_cbranch_scc0 .LBB43_12
; %bb.7:
	v_mov_b64_e32 v[8:9], 0
	s_mov_b64 s[4:5], 0
	v_mov_b64_e32 v[0:1], v[8:9]
	v_mov_b64_e32 v[12:13], v[8:9]
	s_and_saveexec_b64 s[14:15], s[2:3]
	s_cbranch_execz .LBB43_11
; %bb.8:
	v_mad_u64_u32 v[14:15], s[16:17], v10, 6, 5
	v_mov_b64_e32 v[8:9], 0
	s_mov_b64 s[16:17], 0
	v_mov_b32_e32 v17, 0
	v_mov_b32_e32 v18, v10
	v_mov_b64_e32 v[0:1], v[8:9]
	v_mov_b64_e32 v[12:13], v[8:9]
.LBB43_9:                               ; =>This Inner Loop Header: Depth=1
	v_ashrrev_i32_e32 v19, 31, v18
	v_lshl_add_u64 v[22:23], v[18:19], 2, s[6:7]
	global_load_dword v11, v[22:23], off
	v_add_u32_e32 v16, -5, v14
	v_lshl_add_u64 v[22:23], v[16:17], 3, s[8:9]
	v_add_u32_e32 v16, -3, v14
	v_lshl_add_u64 v[28:29], v[16:17], 3, s[8:9]
	v_add_u32_e32 v16, -2, v14
	v_mov_b32_e32 v27, v17
	v_lshl_add_u64 v[32:33], v[16:17], 3, s[8:9]
	v_add_u32_e32 v16, -1, v14
	v_mov_b32_e32 v15, v17
	global_load_dwordx4 v[22:25], v[22:23], off
	v_lshl_add_u64 v[30:31], v[14:15], 3, s[8:9]
	global_load_dwordx2 v[34:35], v[28:29], off
	v_lshl_add_u64 v[28:29], v[16:17], 3, s[8:9]
	global_load_dwordx2 v[36:37], v[32:33], off
	global_load_dwordx2 v[38:39], v[28:29], off
	v_add_u32_e32 v18, 8, v18
	v_cmp_ge_i32_e32 vcc, v18, v20
	v_add_u32_e32 v14, 48, v14
	s_or_b64 s[16:17], vcc, s[16:17]
	s_waitcnt vmcnt(4)
	v_subrev_u32_e32 v11, s12, v11
	v_lshlrev_b32_e32 v26, 1, v11
	v_lshl_add_u64 v[32:33], v[26:27], 3, s[10:11]
	global_load_dwordx4 v[26:29], v[32:33], off
	global_load_dwordx2 v[40:41], v[30:31], off
	s_waitcnt vmcnt(1)
	v_fmac_f64_e32 v[8:9], v[22:23], v[26:27]
	v_fmac_f64_e32 v[12:13], v[24:25], v[26:27]
	;; [unrolled: 1-line block ×5, first 2 shown]
	s_waitcnt vmcnt(0)
	v_fmac_f64_e32 v[0:1], v[40:41], v[28:29]
	s_andn2_b64 exec, exec, s[16:17]
	s_cbranch_execnz .LBB43_9
; %bb.10:
	s_or_b64 exec, exec, s[16:17]
.LBB43_11:
	s_or_b64 exec, exec, s[14:15]
	s_andn2_b64 vcc, exec, s[4:5]
	s_cbranch_vccz .LBB43_13
	s_branch .LBB43_18
.LBB43_12:
                                        ; implicit-def: $vgpr8_vgpr9
                                        ; implicit-def: $vgpr0_vgpr1
                                        ; implicit-def: $vgpr12_vgpr13
.LBB43_13:
	v_mov_b64_e32 v[8:9], 0
	v_mov_b64_e32 v[0:1], v[8:9]
	;; [unrolled: 1-line block ×3, first 2 shown]
	s_and_saveexec_b64 s[4:5], s[2:3]
	s_cbranch_execz .LBB43_17
; %bb.14:
	v_mad_u64_u32 v[14:15], s[2:3], v10, 6, 5
	v_mov_b64_e32 v[8:9], 0
	s_mov_b64 s[2:3], 0
	v_mov_b32_e32 v17, 0
	v_mov_b64_e32 v[0:1], v[8:9]
	v_mov_b64_e32 v[12:13], v[8:9]
.LBB43_15:                              ; =>This Inner Loop Header: Depth=1
	v_ashrrev_i32_e32 v11, 31, v10
	v_lshl_add_u64 v[18:19], v[10:11], 2, s[6:7]
	global_load_dword v11, v[18:19], off
	v_add_u32_e32 v16, -5, v14
	v_add_u32_e32 v18, -3, v14
	v_mov_b32_e32 v19, v17
	v_add_u32_e32 v22, -1, v14
	v_mov_b32_e32 v27, v17
	v_mov_b32_e32 v23, v17
	v_lshl_add_u64 v[24:25], v[16:17], 3, s[8:9]
	v_lshl_add_u64 v[18:19], v[18:19], 3, s[8:9]
	v_add_u32_e32 v16, -2, v14
	v_mov_b32_e32 v15, v17
	v_lshl_add_u64 v[28:29], v[22:23], 3, s[8:9]
	global_load_dwordx4 v[22:25], v[24:25], off
	v_lshl_add_u64 v[32:33], v[16:17], 3, s[8:9]
	global_load_dwordx2 v[34:35], v[18:19], off
	global_load_dwordx2 v[36:37], v[28:29], off
	;; [unrolled: 1-line block ×3, first 2 shown]
	v_lshl_add_u64 v[30:31], v[14:15], 3, s[8:9]
	v_add_u32_e32 v10, 8, v10
	v_cmp_ge_i32_e32 vcc, v10, v20
	v_add_u32_e32 v14, 48, v14
	s_or_b64 s[2:3], vcc, s[2:3]
	s_waitcnt vmcnt(4)
	v_subrev_u32_e32 v11, s12, v11
	v_lshlrev_b32_e32 v26, 1, v11
	v_lshl_add_u64 v[18:19], v[26:27], 3, s[10:11]
	global_load_dwordx4 v[26:29], v[18:19], off
	global_load_dwordx2 v[32:33], v[30:31], off
	s_waitcnt vmcnt(1)
	v_fmac_f64_e32 v[8:9], v[22:23], v[26:27]
	v_fmac_f64_e32 v[12:13], v[34:35], v[26:27]
	v_fmac_f64_e32 v[0:1], v[36:37], v[26:27]
	v_fmac_f64_e32 v[8:9], v[24:25], v[28:29]
	v_fmac_f64_e32 v[12:13], v[38:39], v[28:29]
	s_waitcnt vmcnt(0)
	v_fmac_f64_e32 v[0:1], v[32:33], v[28:29]
	s_andn2_b64 exec, exec, s[2:3]
	s_cbranch_execnz .LBB43_15
; %bb.16:
	s_or_b64 exec, exec, s[2:3]
.LBB43_17:
	s_or_b64 exec, exec, s[4:5]
.LBB43_18:
	v_mov_b32_dpp v10, v8 row_shr:1 row_mask:0xf bank_mask:0xf
	v_mov_b32_dpp v11, v9 row_shr:1 row_mask:0xf bank_mask:0xf
	;; [unrolled: 1-line block ×6, first 2 shown]
	v_add_f64 v[8:9], v[8:9], v[10:11]
	v_add_f64 v[12:13], v[12:13], v[14:15]
	;; [unrolled: 1-line block ×3, first 2 shown]
	v_mov_b32_dpp v10, v8 row_shr:2 row_mask:0xf bank_mask:0xf
	v_mov_b32_dpp v11, v9 row_shr:2 row_mask:0xf bank_mask:0xf
	;; [unrolled: 1-line block ×6, first 2 shown]
	v_add_f64 v[8:9], v[8:9], v[10:11]
	v_add_f64 v[12:13], v[12:13], v[14:15]
	;; [unrolled: 1-line block ×3, first 2 shown]
	v_mov_b32_dpp v10, v8 row_shr:4 row_mask:0xf bank_mask:0xe
	v_mov_b32_dpp v11, v9 row_shr:4 row_mask:0xf bank_mask:0xe
	;; [unrolled: 1-line block ×6, first 2 shown]
	v_cmp_eq_u32_e32 vcc, 7, v7
	s_and_b64 exec, exec, vcc
	s_cbranch_execz .LBB43_23
; %bb.19:
	s_load_dwordx2 s[0:1], s[0:1], 0x38
	v_add_f64 v[10:11], v[8:9], v[10:11]
	v_add_f64 v[8:9], v[12:13], v[14:15]
	;; [unrolled: 1-line block ×3, first 2 shown]
	v_cmp_eq_f64_e32 vcc, 0, v[4:5]
	s_and_saveexec_b64 s[2:3], vcc
	s_xor_b64 s[2:3], exec, s[2:3]
	s_cbranch_execz .LBB43_21
; %bb.20:
	v_lshl_add_u32 v6, v6, 1, v6
	v_ashrrev_i32_e32 v7, 31, v6
	v_mul_f64 v[4:5], v[2:3], v[10:11]
	s_waitcnt lgkmcnt(0)
	v_lshl_add_u64 v[10:11], v[6:7], 3, s[0:1]
	v_mul_f64 v[6:7], v[2:3], v[8:9]
	v_mul_f64 v[0:1], v[2:3], v[0:1]
	global_store_dwordx4 v[10:11], v[4:7], off
	global_store_dwordx2 v[10:11], v[0:1], off offset:16
                                        ; implicit-def: $vgpr6
                                        ; implicit-def: $vgpr2_vgpr3
                                        ; implicit-def: $vgpr10_vgpr11
                                        ; implicit-def: $vgpr4_vgpr5
                                        ; implicit-def: $vgpr8_vgpr9
                                        ; implicit-def: $vgpr0_vgpr1
.LBB43_21:
	s_andn2_saveexec_b64 s[2:3], s[2:3]
	s_cbranch_execz .LBB43_23
; %bb.22:
	v_lshl_add_u32 v6, v6, 1, v6
	v_ashrrev_i32_e32 v7, 31, v6
	s_waitcnt lgkmcnt(0)
	v_lshl_add_u64 v[16:17], v[6:7], 3, s[0:1]
	global_load_dwordx4 v[12:15], v[16:17], off
	global_load_dwordx2 v[18:19], v[16:17], off offset:16
	v_mul_f64 v[6:7], v[2:3], v[10:11]
	v_mul_f64 v[8:9], v[2:3], v[8:9]
	;; [unrolled: 1-line block ×3, first 2 shown]
	s_waitcnt vmcnt(1)
	v_fmac_f64_e32 v[6:7], v[4:5], v[12:13]
	v_fmac_f64_e32 v[8:9], v[4:5], v[14:15]
	s_waitcnt vmcnt(0)
	v_fmac_f64_e32 v[0:1], v[4:5], v[18:19]
	global_store_dwordx4 v[16:17], v[6:9], off
	global_store_dwordx2 v[16:17], v[0:1], off offset:16
.LBB43_23:
	s_endpgm
	.section	.rodata,"a",@progbits
	.p2align	6, 0x0
	.amdhsa_kernel _ZN9rocsparseL19gebsrmvn_3xn_kernelILj128ELj2ELj8EdEEvi20rocsparse_direction_NS_24const_host_device_scalarIT2_EEPKiS6_PKS3_S8_S4_PS3_21rocsparse_index_base_b
		.amdhsa_group_segment_fixed_size 0
		.amdhsa_private_segment_fixed_size 0
		.amdhsa_kernarg_size 72
		.amdhsa_user_sgpr_count 2
		.amdhsa_user_sgpr_dispatch_ptr 0
		.amdhsa_user_sgpr_queue_ptr 0
		.amdhsa_user_sgpr_kernarg_segment_ptr 1
		.amdhsa_user_sgpr_dispatch_id 0
		.amdhsa_user_sgpr_kernarg_preload_length 0
		.amdhsa_user_sgpr_kernarg_preload_offset 0
		.amdhsa_user_sgpr_private_segment_size 0
		.amdhsa_uses_dynamic_stack 0
		.amdhsa_enable_private_segment 0
		.amdhsa_system_sgpr_workgroup_id_x 1
		.amdhsa_system_sgpr_workgroup_id_y 0
		.amdhsa_system_sgpr_workgroup_id_z 0
		.amdhsa_system_sgpr_workgroup_info 0
		.amdhsa_system_vgpr_workitem_id 0
		.amdhsa_next_free_vgpr 42
		.amdhsa_next_free_sgpr 18
		.amdhsa_accum_offset 44
		.amdhsa_reserve_vcc 1
		.amdhsa_float_round_mode_32 0
		.amdhsa_float_round_mode_16_64 0
		.amdhsa_float_denorm_mode_32 3
		.amdhsa_float_denorm_mode_16_64 3
		.amdhsa_dx10_clamp 1
		.amdhsa_ieee_mode 1
		.amdhsa_fp16_overflow 0
		.amdhsa_tg_split 0
		.amdhsa_exception_fp_ieee_invalid_op 0
		.amdhsa_exception_fp_denorm_src 0
		.amdhsa_exception_fp_ieee_div_zero 0
		.amdhsa_exception_fp_ieee_overflow 0
		.amdhsa_exception_fp_ieee_underflow 0
		.amdhsa_exception_fp_ieee_inexact 0
		.amdhsa_exception_int_div_zero 0
	.end_amdhsa_kernel
	.section	.text._ZN9rocsparseL19gebsrmvn_3xn_kernelILj128ELj2ELj8EdEEvi20rocsparse_direction_NS_24const_host_device_scalarIT2_EEPKiS6_PKS3_S8_S4_PS3_21rocsparse_index_base_b,"axG",@progbits,_ZN9rocsparseL19gebsrmvn_3xn_kernelILj128ELj2ELj8EdEEvi20rocsparse_direction_NS_24const_host_device_scalarIT2_EEPKiS6_PKS3_S8_S4_PS3_21rocsparse_index_base_b,comdat
.Lfunc_end43:
	.size	_ZN9rocsparseL19gebsrmvn_3xn_kernelILj128ELj2ELj8EdEEvi20rocsparse_direction_NS_24const_host_device_scalarIT2_EEPKiS6_PKS3_S8_S4_PS3_21rocsparse_index_base_b, .Lfunc_end43-_ZN9rocsparseL19gebsrmvn_3xn_kernelILj128ELj2ELj8EdEEvi20rocsparse_direction_NS_24const_host_device_scalarIT2_EEPKiS6_PKS3_S8_S4_PS3_21rocsparse_index_base_b
                                        ; -- End function
	.section	.AMDGPU.csdata,"",@progbits
; Kernel info:
; codeLenInByte = 1204
; NumSgprs: 24
; NumVgprs: 42
; NumAgprs: 0
; TotalNumVgprs: 42
; ScratchSize: 0
; MemoryBound: 0
; FloatMode: 240
; IeeeMode: 1
; LDSByteSize: 0 bytes/workgroup (compile time only)
; SGPRBlocks: 2
; VGPRBlocks: 5
; NumSGPRsForWavesPerEU: 24
; NumVGPRsForWavesPerEU: 42
; AccumOffset: 44
; Occupancy: 8
; WaveLimiterHint : 1
; COMPUTE_PGM_RSRC2:SCRATCH_EN: 0
; COMPUTE_PGM_RSRC2:USER_SGPR: 2
; COMPUTE_PGM_RSRC2:TRAP_HANDLER: 0
; COMPUTE_PGM_RSRC2:TGID_X_EN: 1
; COMPUTE_PGM_RSRC2:TGID_Y_EN: 0
; COMPUTE_PGM_RSRC2:TGID_Z_EN: 0
; COMPUTE_PGM_RSRC2:TIDIG_COMP_CNT: 0
; COMPUTE_PGM_RSRC3_GFX90A:ACCUM_OFFSET: 10
; COMPUTE_PGM_RSRC3_GFX90A:TG_SPLIT: 0
	.section	.text._ZN9rocsparseL19gebsrmvn_3xn_kernelILj128ELj2ELj16EdEEvi20rocsparse_direction_NS_24const_host_device_scalarIT2_EEPKiS6_PKS3_S8_S4_PS3_21rocsparse_index_base_b,"axG",@progbits,_ZN9rocsparseL19gebsrmvn_3xn_kernelILj128ELj2ELj16EdEEvi20rocsparse_direction_NS_24const_host_device_scalarIT2_EEPKiS6_PKS3_S8_S4_PS3_21rocsparse_index_base_b,comdat
	.globl	_ZN9rocsparseL19gebsrmvn_3xn_kernelILj128ELj2ELj16EdEEvi20rocsparse_direction_NS_24const_host_device_scalarIT2_EEPKiS6_PKS3_S8_S4_PS3_21rocsparse_index_base_b ; -- Begin function _ZN9rocsparseL19gebsrmvn_3xn_kernelILj128ELj2ELj16EdEEvi20rocsparse_direction_NS_24const_host_device_scalarIT2_EEPKiS6_PKS3_S8_S4_PS3_21rocsparse_index_base_b
	.p2align	8
	.type	_ZN9rocsparseL19gebsrmvn_3xn_kernelILj128ELj2ELj16EdEEvi20rocsparse_direction_NS_24const_host_device_scalarIT2_EEPKiS6_PKS3_S8_S4_PS3_21rocsparse_index_base_b,@function
_ZN9rocsparseL19gebsrmvn_3xn_kernelILj128ELj2ELj16EdEEvi20rocsparse_direction_NS_24const_host_device_scalarIT2_EEPKiS6_PKS3_S8_S4_PS3_21rocsparse_index_base_b: ; @_ZN9rocsparseL19gebsrmvn_3xn_kernelILj128ELj2ELj16EdEEvi20rocsparse_direction_NS_24const_host_device_scalarIT2_EEPKiS6_PKS3_S8_S4_PS3_21rocsparse_index_base_b
; %bb.0:
	s_load_dwordx2 s[12:13], s[0:1], 0x40
	s_load_dwordx2 s[8:9], s[0:1], 0x8
	s_load_dwordx2 s[4:5], s[0:1], 0x30
	s_waitcnt lgkmcnt(0)
	s_bitcmp1_b32 s13, 0
	s_cselect_b64 s[10:11], -1, 0
	s_xor_b64 s[6:7], s[10:11], -1
	s_and_b64 vcc, exec, s[10:11]
	v_mov_b64_e32 v[2:3], s[8:9]
	s_cbranch_vccnz .LBB44_2
; %bb.1:
	v_mov_b64_e32 v[2:3], s[8:9]
	flat_load_dwordx2 v[2:3], v[2:3]
.LBB44_2:
	s_andn2_b64 vcc, exec, s[6:7]
	v_mov_b64_e32 v[4:5], s[4:5]
	s_cbranch_vccnz .LBB44_4
; %bb.3:
	v_mov_b64_e32 v[4:5], s[4:5]
	flat_load_dwordx2 v[4:5], v[4:5]
.LBB44_4:
	s_waitcnt vmcnt(0) lgkmcnt(0)
	v_cmp_neq_f64_e32 vcc, 0, v[2:3]
	v_cmp_neq_f64_e64 s[4:5], 1.0, v[4:5]
	s_or_b64 s[4:5], vcc, s[4:5]
	s_and_saveexec_b64 s[6:7], s[4:5]
	s_cbranch_execz .LBB44_23
; %bb.5:
	s_load_dwordx2 s[14:15], s[0:1], 0x0
	v_lshrrev_b32_e32 v1, 4, v0
	v_lshl_or_b32 v6, s2, 3, v1
	s_waitcnt lgkmcnt(0)
	v_cmp_gt_i32_e32 vcc, s14, v6
	s_and_b64 exec, exec, vcc
	s_cbranch_execz .LBB44_23
; %bb.6:
	s_load_dwordx8 s[4:11], s[0:1], 0x10
	v_ashrrev_i32_e32 v7, 31, v6
	s_cmp_lg_u32 s15, 0
	s_waitcnt lgkmcnt(0)
	v_lshl_add_u64 v[8:9], v[6:7], 2, s[4:5]
	global_load_dwordx2 v[8:9], v[8:9], off
	v_and_b32_e32 v7, 15, v0
	s_waitcnt vmcnt(0)
	v_subrev_u32_e32 v0, s12, v8
	v_subrev_u32_e32 v20, s12, v9
	v_add_u32_e32 v12, v0, v7
	v_cmp_lt_i32_e64 s[2:3], v12, v20
	s_cbranch_scc0 .LBB44_12
; %bb.7:
	v_mov_b64_e32 v[8:9], 0
	s_mov_b64 s[4:5], 0
	v_mov_b64_e32 v[0:1], v[8:9]
	v_mov_b64_e32 v[10:11], v[8:9]
	s_and_saveexec_b64 s[14:15], s[2:3]
	s_cbranch_execz .LBB44_11
; %bb.8:
	v_mad_u64_u32 v[14:15], s[16:17], v12, 6, 5
	v_mov_b64_e32 v[8:9], 0
	s_mov_b64 s[16:17], 0
	v_mov_b32_e32 v17, 0
	v_mov_b32_e32 v18, v12
	v_mov_b64_e32 v[0:1], v[8:9]
	v_mov_b64_e32 v[10:11], v[8:9]
.LBB44_9:                               ; =>This Inner Loop Header: Depth=1
	v_ashrrev_i32_e32 v19, 31, v18
	v_lshl_add_u64 v[22:23], v[18:19], 2, s[6:7]
	global_load_dword v13, v[22:23], off
	v_add_u32_e32 v16, -5, v14
	v_lshl_add_u64 v[22:23], v[16:17], 3, s[8:9]
	v_add_u32_e32 v16, -3, v14
	v_lshl_add_u64 v[28:29], v[16:17], 3, s[8:9]
	v_add_u32_e32 v16, -2, v14
	v_mov_b32_e32 v27, v17
	v_lshl_add_u64 v[32:33], v[16:17], 3, s[8:9]
	v_add_u32_e32 v16, -1, v14
	v_mov_b32_e32 v15, v17
	global_load_dwordx4 v[22:25], v[22:23], off
	v_lshl_add_u64 v[30:31], v[14:15], 3, s[8:9]
	global_load_dwordx2 v[34:35], v[28:29], off
	v_lshl_add_u64 v[28:29], v[16:17], 3, s[8:9]
	global_load_dwordx2 v[36:37], v[32:33], off
	global_load_dwordx2 v[38:39], v[28:29], off
	v_add_u32_e32 v18, 16, v18
	v_cmp_ge_i32_e32 vcc, v18, v20
	v_add_u32_e32 v14, 0x60, v14
	s_or_b64 s[16:17], vcc, s[16:17]
	s_waitcnt vmcnt(4)
	v_subrev_u32_e32 v13, s12, v13
	v_lshlrev_b32_e32 v26, 1, v13
	v_lshl_add_u64 v[32:33], v[26:27], 3, s[10:11]
	global_load_dwordx4 v[26:29], v[32:33], off
	global_load_dwordx2 v[40:41], v[30:31], off
	s_waitcnt vmcnt(1)
	v_fmac_f64_e32 v[8:9], v[22:23], v[26:27]
	v_fmac_f64_e32 v[10:11], v[24:25], v[26:27]
	;; [unrolled: 1-line block ×5, first 2 shown]
	s_waitcnt vmcnt(0)
	v_fmac_f64_e32 v[0:1], v[40:41], v[28:29]
	s_andn2_b64 exec, exec, s[16:17]
	s_cbranch_execnz .LBB44_9
; %bb.10:
	s_or_b64 exec, exec, s[16:17]
.LBB44_11:
	s_or_b64 exec, exec, s[14:15]
	s_andn2_b64 vcc, exec, s[4:5]
	s_cbranch_vccz .LBB44_13
	s_branch .LBB44_18
.LBB44_12:
                                        ; implicit-def: $vgpr8_vgpr9
                                        ; implicit-def: $vgpr0_vgpr1
                                        ; implicit-def: $vgpr10_vgpr11
.LBB44_13:
	v_mov_b64_e32 v[8:9], 0
	v_mov_b64_e32 v[0:1], v[8:9]
	;; [unrolled: 1-line block ×3, first 2 shown]
	s_and_saveexec_b64 s[4:5], s[2:3]
	s_cbranch_execz .LBB44_17
; %bb.14:
	v_mad_u64_u32 v[14:15], s[2:3], v12, 6, 5
	v_mov_b64_e32 v[8:9], 0
	s_mov_b64 s[2:3], 0
	v_mov_b32_e32 v17, 0
	v_mov_b64_e32 v[0:1], v[8:9]
	v_mov_b64_e32 v[10:11], v[8:9]
.LBB44_15:                              ; =>This Inner Loop Header: Depth=1
	v_ashrrev_i32_e32 v13, 31, v12
	v_lshl_add_u64 v[18:19], v[12:13], 2, s[6:7]
	global_load_dword v13, v[18:19], off
	v_add_u32_e32 v16, -5, v14
	v_add_u32_e32 v18, -3, v14
	v_mov_b32_e32 v19, v17
	v_add_u32_e32 v22, -1, v14
	v_mov_b32_e32 v27, v17
	v_mov_b32_e32 v23, v17
	v_lshl_add_u64 v[24:25], v[16:17], 3, s[8:9]
	v_lshl_add_u64 v[18:19], v[18:19], 3, s[8:9]
	v_add_u32_e32 v16, -2, v14
	v_mov_b32_e32 v15, v17
	v_lshl_add_u64 v[28:29], v[22:23], 3, s[8:9]
	global_load_dwordx4 v[22:25], v[24:25], off
	v_lshl_add_u64 v[32:33], v[16:17], 3, s[8:9]
	global_load_dwordx2 v[34:35], v[18:19], off
	global_load_dwordx2 v[36:37], v[28:29], off
	;; [unrolled: 1-line block ×3, first 2 shown]
	v_lshl_add_u64 v[30:31], v[14:15], 3, s[8:9]
	v_add_u32_e32 v12, 16, v12
	v_cmp_ge_i32_e32 vcc, v12, v20
	v_add_u32_e32 v14, 0x60, v14
	s_or_b64 s[2:3], vcc, s[2:3]
	s_waitcnt vmcnt(4)
	v_subrev_u32_e32 v13, s12, v13
	v_lshlrev_b32_e32 v26, 1, v13
	v_lshl_add_u64 v[18:19], v[26:27], 3, s[10:11]
	global_load_dwordx4 v[26:29], v[18:19], off
	global_load_dwordx2 v[32:33], v[30:31], off
	s_waitcnt vmcnt(1)
	v_fmac_f64_e32 v[8:9], v[22:23], v[26:27]
	v_fmac_f64_e32 v[10:11], v[34:35], v[26:27]
	;; [unrolled: 1-line block ×5, first 2 shown]
	s_waitcnt vmcnt(0)
	v_fmac_f64_e32 v[0:1], v[32:33], v[28:29]
	s_andn2_b64 exec, exec, s[2:3]
	s_cbranch_execnz .LBB44_15
; %bb.16:
	s_or_b64 exec, exec, s[2:3]
.LBB44_17:
	s_or_b64 exec, exec, s[4:5]
.LBB44_18:
	v_mov_b32_dpp v14, v10 row_shr:1 row_mask:0xf bank_mask:0xf
	v_mov_b32_dpp v15, v11 row_shr:1 row_mask:0xf bank_mask:0xf
	v_add_f64 v[10:11], v[10:11], v[14:15]
	v_mov_b32_dpp v12, v8 row_shr:1 row_mask:0xf bank_mask:0xf
	v_mov_b32_dpp v13, v9 row_shr:1 row_mask:0xf bank_mask:0xf
	v_mov_b32_dpp v14, v10 row_shr:2 row_mask:0xf bank_mask:0xf
	v_mov_b32_dpp v15, v11 row_shr:2 row_mask:0xf bank_mask:0xf
	v_add_f64 v[10:11], v[10:11], v[14:15]
	v_add_f64 v[8:9], v[8:9], v[12:13]
	v_cmp_eq_u32_e32 vcc, 15, v7
	v_mov_b32_dpp v14, v10 row_shr:4 row_mask:0xf bank_mask:0xe
	v_mov_b32_dpp v15, v11 row_shr:4 row_mask:0xf bank_mask:0xe
	v_add_f64 v[14:15], v[10:11], v[14:15]
	v_mov_b32_dpp v10, v0 row_shr:1 row_mask:0xf bank_mask:0xf
	v_mov_b32_dpp v11, v1 row_shr:1 row_mask:0xf bank_mask:0xf
	v_add_f64 v[0:1], v[0:1], v[10:11]
	v_mov_b32_dpp v12, v8 row_shr:2 row_mask:0xf bank_mask:0xf
	v_mov_b32_dpp v13, v9 row_shr:2 row_mask:0xf bank_mask:0xf
	;; [unrolled: 1-line block ×4, first 2 shown]
	v_add_f64 v[8:9], v[8:9], v[12:13]
	v_add_f64 v[0:1], v[0:1], v[10:11]
	v_mov_b32_dpp v16, v14 row_shr:8 row_mask:0xf bank_mask:0xc
	v_mov_b32_dpp v12, v8 row_shr:4 row_mask:0xf bank_mask:0xe
	;; [unrolled: 1-line block ×5, first 2 shown]
	v_add_f64 v[8:9], v[8:9], v[12:13]
	v_add_f64 v[0:1], v[0:1], v[10:11]
	v_mov_b32_dpp v17, v15 row_shr:8 row_mask:0xf bank_mask:0xc
	v_mov_b32_dpp v12, v8 row_shr:8 row_mask:0xf bank_mask:0xc
	;; [unrolled: 1-line block ×5, first 2 shown]
	s_and_b64 exec, exec, vcc
	s_cbranch_execz .LBB44_23
; %bb.19:
	s_load_dwordx2 s[0:1], s[0:1], 0x38
	v_add_f64 v[10:11], v[8:9], v[12:13]
	v_add_f64 v[8:9], v[14:15], v[16:17]
	;; [unrolled: 1-line block ×3, first 2 shown]
	v_cmp_eq_f64_e32 vcc, 0, v[4:5]
	s_and_saveexec_b64 s[2:3], vcc
	s_xor_b64 s[2:3], exec, s[2:3]
	s_cbranch_execz .LBB44_21
; %bb.20:
	v_lshl_add_u32 v6, v6, 1, v6
	v_ashrrev_i32_e32 v7, 31, v6
	v_mul_f64 v[4:5], v[2:3], v[10:11]
	s_waitcnt lgkmcnt(0)
	v_lshl_add_u64 v[10:11], v[6:7], 3, s[0:1]
	v_mul_f64 v[6:7], v[2:3], v[8:9]
	v_mul_f64 v[0:1], v[2:3], v[0:1]
	global_store_dwordx4 v[10:11], v[4:7], off
	global_store_dwordx2 v[10:11], v[0:1], off offset:16
                                        ; implicit-def: $vgpr6
                                        ; implicit-def: $vgpr2_vgpr3
                                        ; implicit-def: $vgpr10_vgpr11
                                        ; implicit-def: $vgpr4_vgpr5
                                        ; implicit-def: $vgpr8_vgpr9
                                        ; implicit-def: $vgpr0_vgpr1
.LBB44_21:
	s_andn2_saveexec_b64 s[2:3], s[2:3]
	s_cbranch_execz .LBB44_23
; %bb.22:
	v_lshl_add_u32 v6, v6, 1, v6
	v_ashrrev_i32_e32 v7, 31, v6
	s_waitcnt lgkmcnt(0)
	v_lshl_add_u64 v[16:17], v[6:7], 3, s[0:1]
	global_load_dwordx4 v[12:15], v[16:17], off
	global_load_dwordx2 v[18:19], v[16:17], off offset:16
	v_mul_f64 v[6:7], v[2:3], v[10:11]
	v_mul_f64 v[8:9], v[2:3], v[8:9]
	;; [unrolled: 1-line block ×3, first 2 shown]
	s_waitcnt vmcnt(1)
	v_fmac_f64_e32 v[6:7], v[4:5], v[12:13]
	v_fmac_f64_e32 v[8:9], v[4:5], v[14:15]
	s_waitcnt vmcnt(0)
	v_fmac_f64_e32 v[0:1], v[4:5], v[18:19]
	global_store_dwordx4 v[16:17], v[6:9], off
	global_store_dwordx2 v[16:17], v[0:1], off offset:16
.LBB44_23:
	s_endpgm
	.section	.rodata,"a",@progbits
	.p2align	6, 0x0
	.amdhsa_kernel _ZN9rocsparseL19gebsrmvn_3xn_kernelILj128ELj2ELj16EdEEvi20rocsparse_direction_NS_24const_host_device_scalarIT2_EEPKiS6_PKS3_S8_S4_PS3_21rocsparse_index_base_b
		.amdhsa_group_segment_fixed_size 0
		.amdhsa_private_segment_fixed_size 0
		.amdhsa_kernarg_size 72
		.amdhsa_user_sgpr_count 2
		.amdhsa_user_sgpr_dispatch_ptr 0
		.amdhsa_user_sgpr_queue_ptr 0
		.amdhsa_user_sgpr_kernarg_segment_ptr 1
		.amdhsa_user_sgpr_dispatch_id 0
		.amdhsa_user_sgpr_kernarg_preload_length 0
		.amdhsa_user_sgpr_kernarg_preload_offset 0
		.amdhsa_user_sgpr_private_segment_size 0
		.amdhsa_uses_dynamic_stack 0
		.amdhsa_enable_private_segment 0
		.amdhsa_system_sgpr_workgroup_id_x 1
		.amdhsa_system_sgpr_workgroup_id_y 0
		.amdhsa_system_sgpr_workgroup_id_z 0
		.amdhsa_system_sgpr_workgroup_info 0
		.amdhsa_system_vgpr_workitem_id 0
		.amdhsa_next_free_vgpr 42
		.amdhsa_next_free_sgpr 18
		.amdhsa_accum_offset 44
		.amdhsa_reserve_vcc 1
		.amdhsa_float_round_mode_32 0
		.amdhsa_float_round_mode_16_64 0
		.amdhsa_float_denorm_mode_32 3
		.amdhsa_float_denorm_mode_16_64 3
		.amdhsa_dx10_clamp 1
		.amdhsa_ieee_mode 1
		.amdhsa_fp16_overflow 0
		.amdhsa_tg_split 0
		.amdhsa_exception_fp_ieee_invalid_op 0
		.amdhsa_exception_fp_denorm_src 0
		.amdhsa_exception_fp_ieee_div_zero 0
		.amdhsa_exception_fp_ieee_overflow 0
		.amdhsa_exception_fp_ieee_underflow 0
		.amdhsa_exception_fp_ieee_inexact 0
		.amdhsa_exception_int_div_zero 0
	.end_amdhsa_kernel
	.section	.text._ZN9rocsparseL19gebsrmvn_3xn_kernelILj128ELj2ELj16EdEEvi20rocsparse_direction_NS_24const_host_device_scalarIT2_EEPKiS6_PKS3_S8_S4_PS3_21rocsparse_index_base_b,"axG",@progbits,_ZN9rocsparseL19gebsrmvn_3xn_kernelILj128ELj2ELj16EdEEvi20rocsparse_direction_NS_24const_host_device_scalarIT2_EEPKiS6_PKS3_S8_S4_PS3_21rocsparse_index_base_b,comdat
.Lfunc_end44:
	.size	_ZN9rocsparseL19gebsrmvn_3xn_kernelILj128ELj2ELj16EdEEvi20rocsparse_direction_NS_24const_host_device_scalarIT2_EEPKiS6_PKS3_S8_S4_PS3_21rocsparse_index_base_b, .Lfunc_end44-_ZN9rocsparseL19gebsrmvn_3xn_kernelILj128ELj2ELj16EdEEvi20rocsparse_direction_NS_24const_host_device_scalarIT2_EEPKiS6_PKS3_S8_S4_PS3_21rocsparse_index_base_b
                                        ; -- End function
	.section	.AMDGPU.csdata,"",@progbits
; Kernel info:
; codeLenInByte = 1284
; NumSgprs: 24
; NumVgprs: 42
; NumAgprs: 0
; TotalNumVgprs: 42
; ScratchSize: 0
; MemoryBound: 0
; FloatMode: 240
; IeeeMode: 1
; LDSByteSize: 0 bytes/workgroup (compile time only)
; SGPRBlocks: 2
; VGPRBlocks: 5
; NumSGPRsForWavesPerEU: 24
; NumVGPRsForWavesPerEU: 42
; AccumOffset: 44
; Occupancy: 8
; WaveLimiterHint : 1
; COMPUTE_PGM_RSRC2:SCRATCH_EN: 0
; COMPUTE_PGM_RSRC2:USER_SGPR: 2
; COMPUTE_PGM_RSRC2:TRAP_HANDLER: 0
; COMPUTE_PGM_RSRC2:TGID_X_EN: 1
; COMPUTE_PGM_RSRC2:TGID_Y_EN: 0
; COMPUTE_PGM_RSRC2:TGID_Z_EN: 0
; COMPUTE_PGM_RSRC2:TIDIG_COMP_CNT: 0
; COMPUTE_PGM_RSRC3_GFX90A:ACCUM_OFFSET: 10
; COMPUTE_PGM_RSRC3_GFX90A:TG_SPLIT: 0
	.section	.text._ZN9rocsparseL19gebsrmvn_3xn_kernelILj128ELj2ELj32EdEEvi20rocsparse_direction_NS_24const_host_device_scalarIT2_EEPKiS6_PKS3_S8_S4_PS3_21rocsparse_index_base_b,"axG",@progbits,_ZN9rocsparseL19gebsrmvn_3xn_kernelILj128ELj2ELj32EdEEvi20rocsparse_direction_NS_24const_host_device_scalarIT2_EEPKiS6_PKS3_S8_S4_PS3_21rocsparse_index_base_b,comdat
	.globl	_ZN9rocsparseL19gebsrmvn_3xn_kernelILj128ELj2ELj32EdEEvi20rocsparse_direction_NS_24const_host_device_scalarIT2_EEPKiS6_PKS3_S8_S4_PS3_21rocsparse_index_base_b ; -- Begin function _ZN9rocsparseL19gebsrmvn_3xn_kernelILj128ELj2ELj32EdEEvi20rocsparse_direction_NS_24const_host_device_scalarIT2_EEPKiS6_PKS3_S8_S4_PS3_21rocsparse_index_base_b
	.p2align	8
	.type	_ZN9rocsparseL19gebsrmvn_3xn_kernelILj128ELj2ELj32EdEEvi20rocsparse_direction_NS_24const_host_device_scalarIT2_EEPKiS6_PKS3_S8_S4_PS3_21rocsparse_index_base_b,@function
_ZN9rocsparseL19gebsrmvn_3xn_kernelILj128ELj2ELj32EdEEvi20rocsparse_direction_NS_24const_host_device_scalarIT2_EEPKiS6_PKS3_S8_S4_PS3_21rocsparse_index_base_b: ; @_ZN9rocsparseL19gebsrmvn_3xn_kernelILj128ELj2ELj32EdEEvi20rocsparse_direction_NS_24const_host_device_scalarIT2_EEPKiS6_PKS3_S8_S4_PS3_21rocsparse_index_base_b
; %bb.0:
	s_load_dwordx2 s[12:13], s[0:1], 0x40
	s_load_dwordx2 s[8:9], s[0:1], 0x8
	;; [unrolled: 1-line block ×3, first 2 shown]
	s_waitcnt lgkmcnt(0)
	s_bitcmp1_b32 s13, 0
	s_cselect_b64 s[10:11], -1, 0
	s_xor_b64 s[6:7], s[10:11], -1
	s_and_b64 vcc, exec, s[10:11]
	v_mov_b64_e32 v[2:3], s[8:9]
	s_cbranch_vccnz .LBB45_2
; %bb.1:
	v_mov_b64_e32 v[2:3], s[8:9]
	flat_load_dwordx2 v[2:3], v[2:3]
.LBB45_2:
	s_andn2_b64 vcc, exec, s[6:7]
	v_mov_b64_e32 v[4:5], s[4:5]
	s_cbranch_vccnz .LBB45_4
; %bb.3:
	v_mov_b64_e32 v[4:5], s[4:5]
	flat_load_dwordx2 v[4:5], v[4:5]
.LBB45_4:
	s_waitcnt vmcnt(0) lgkmcnt(0)
	v_cmp_neq_f64_e32 vcc, 0, v[2:3]
	v_cmp_neq_f64_e64 s[4:5], 1.0, v[4:5]
	s_or_b64 s[4:5], vcc, s[4:5]
	s_and_saveexec_b64 s[6:7], s[4:5]
	s_cbranch_execz .LBB45_23
; %bb.5:
	s_load_dwordx2 s[14:15], s[0:1], 0x0
	v_lshrrev_b32_e32 v1, 5, v0
	v_lshl_or_b32 v6, s2, 2, v1
	s_waitcnt lgkmcnt(0)
	v_cmp_gt_i32_e32 vcc, s14, v6
	s_and_b64 exec, exec, vcc
	s_cbranch_execz .LBB45_23
; %bb.6:
	s_load_dwordx8 s[4:11], s[0:1], 0x10
	v_ashrrev_i32_e32 v7, 31, v6
	s_cmp_lg_u32 s15, 0
	s_waitcnt lgkmcnt(0)
	v_lshl_add_u64 v[8:9], v[6:7], 2, s[4:5]
	global_load_dwordx2 v[8:9], v[8:9], off
	v_and_b32_e32 v7, 31, v0
	s_waitcnt vmcnt(0)
	v_subrev_u32_e32 v0, s12, v8
	v_subrev_u32_e32 v20, s12, v9
	v_add_u32_e32 v12, v0, v7
	v_cmp_lt_i32_e64 s[2:3], v12, v20
	s_cbranch_scc0 .LBB45_12
; %bb.7:
	v_mov_b64_e32 v[8:9], 0
	s_mov_b64 s[4:5], 0
	v_mov_b64_e32 v[0:1], v[8:9]
	v_mov_b64_e32 v[10:11], v[8:9]
	s_and_saveexec_b64 s[14:15], s[2:3]
	s_cbranch_execz .LBB45_11
; %bb.8:
	v_mad_u64_u32 v[14:15], s[16:17], v12, 6, 5
	v_mov_b64_e32 v[8:9], 0
	s_mov_b64 s[16:17], 0
	v_mov_b32_e32 v17, 0
	v_mov_b32_e32 v18, v12
	v_mov_b64_e32 v[0:1], v[8:9]
	v_mov_b64_e32 v[10:11], v[8:9]
.LBB45_9:                               ; =>This Inner Loop Header: Depth=1
	v_ashrrev_i32_e32 v19, 31, v18
	v_lshl_add_u64 v[22:23], v[18:19], 2, s[6:7]
	global_load_dword v13, v[22:23], off
	v_add_u32_e32 v16, -5, v14
	v_lshl_add_u64 v[22:23], v[16:17], 3, s[8:9]
	v_add_u32_e32 v16, -3, v14
	v_lshl_add_u64 v[28:29], v[16:17], 3, s[8:9]
	v_add_u32_e32 v16, -2, v14
	v_mov_b32_e32 v27, v17
	v_lshl_add_u64 v[32:33], v[16:17], 3, s[8:9]
	v_add_u32_e32 v16, -1, v14
	v_mov_b32_e32 v15, v17
	global_load_dwordx4 v[22:25], v[22:23], off
	v_lshl_add_u64 v[30:31], v[14:15], 3, s[8:9]
	global_load_dwordx2 v[34:35], v[28:29], off
	v_lshl_add_u64 v[28:29], v[16:17], 3, s[8:9]
	global_load_dwordx2 v[36:37], v[32:33], off
	global_load_dwordx2 v[38:39], v[28:29], off
	v_add_u32_e32 v18, 32, v18
	v_cmp_ge_i32_e32 vcc, v18, v20
	v_add_u32_e32 v14, 0xc0, v14
	s_or_b64 s[16:17], vcc, s[16:17]
	s_waitcnt vmcnt(4)
	v_subrev_u32_e32 v13, s12, v13
	v_lshlrev_b32_e32 v26, 1, v13
	v_lshl_add_u64 v[32:33], v[26:27], 3, s[10:11]
	global_load_dwordx4 v[26:29], v[32:33], off
	global_load_dwordx2 v[40:41], v[30:31], off
	s_waitcnt vmcnt(1)
	v_fmac_f64_e32 v[8:9], v[22:23], v[26:27]
	v_fmac_f64_e32 v[10:11], v[24:25], v[26:27]
	;; [unrolled: 1-line block ×5, first 2 shown]
	s_waitcnt vmcnt(0)
	v_fmac_f64_e32 v[0:1], v[40:41], v[28:29]
	s_andn2_b64 exec, exec, s[16:17]
	s_cbranch_execnz .LBB45_9
; %bb.10:
	s_or_b64 exec, exec, s[16:17]
.LBB45_11:
	s_or_b64 exec, exec, s[14:15]
	s_andn2_b64 vcc, exec, s[4:5]
	s_cbranch_vccz .LBB45_13
	s_branch .LBB45_18
.LBB45_12:
                                        ; implicit-def: $vgpr8_vgpr9
                                        ; implicit-def: $vgpr0_vgpr1
                                        ; implicit-def: $vgpr10_vgpr11
.LBB45_13:
	v_mov_b64_e32 v[8:9], 0
	v_mov_b64_e32 v[0:1], v[8:9]
	;; [unrolled: 1-line block ×3, first 2 shown]
	s_and_saveexec_b64 s[4:5], s[2:3]
	s_cbranch_execz .LBB45_17
; %bb.14:
	v_mad_u64_u32 v[14:15], s[2:3], v12, 6, 5
	v_mov_b64_e32 v[8:9], 0
	s_mov_b64 s[2:3], 0
	v_mov_b32_e32 v17, 0
	v_mov_b64_e32 v[0:1], v[8:9]
	v_mov_b64_e32 v[10:11], v[8:9]
.LBB45_15:                              ; =>This Inner Loop Header: Depth=1
	v_ashrrev_i32_e32 v13, 31, v12
	v_lshl_add_u64 v[18:19], v[12:13], 2, s[6:7]
	global_load_dword v13, v[18:19], off
	v_add_u32_e32 v16, -5, v14
	v_add_u32_e32 v18, -3, v14
	v_mov_b32_e32 v19, v17
	v_add_u32_e32 v22, -1, v14
	v_mov_b32_e32 v27, v17
	v_mov_b32_e32 v23, v17
	v_lshl_add_u64 v[24:25], v[16:17], 3, s[8:9]
	v_lshl_add_u64 v[18:19], v[18:19], 3, s[8:9]
	v_add_u32_e32 v16, -2, v14
	v_mov_b32_e32 v15, v17
	v_lshl_add_u64 v[28:29], v[22:23], 3, s[8:9]
	global_load_dwordx4 v[22:25], v[24:25], off
	v_lshl_add_u64 v[32:33], v[16:17], 3, s[8:9]
	global_load_dwordx2 v[34:35], v[18:19], off
	global_load_dwordx2 v[36:37], v[28:29], off
	;; [unrolled: 1-line block ×3, first 2 shown]
	v_lshl_add_u64 v[30:31], v[14:15], 3, s[8:9]
	v_add_u32_e32 v12, 32, v12
	v_cmp_ge_i32_e32 vcc, v12, v20
	v_add_u32_e32 v14, 0xc0, v14
	s_or_b64 s[2:3], vcc, s[2:3]
	s_waitcnt vmcnt(4)
	v_subrev_u32_e32 v13, s12, v13
	v_lshlrev_b32_e32 v26, 1, v13
	v_lshl_add_u64 v[18:19], v[26:27], 3, s[10:11]
	global_load_dwordx4 v[26:29], v[18:19], off
	global_load_dwordx2 v[32:33], v[30:31], off
	s_waitcnt vmcnt(1)
	v_fmac_f64_e32 v[8:9], v[22:23], v[26:27]
	v_fmac_f64_e32 v[10:11], v[34:35], v[26:27]
	;; [unrolled: 1-line block ×5, first 2 shown]
	s_waitcnt vmcnt(0)
	v_fmac_f64_e32 v[0:1], v[32:33], v[28:29]
	s_andn2_b64 exec, exec, s[2:3]
	s_cbranch_execnz .LBB45_15
; %bb.16:
	s_or_b64 exec, exec, s[2:3]
.LBB45_17:
	s_or_b64 exec, exec, s[4:5]
.LBB45_18:
	v_mov_b32_dpp v14, v10 row_shr:1 row_mask:0xf bank_mask:0xf
	v_mov_b32_dpp v15, v11 row_shr:1 row_mask:0xf bank_mask:0xf
	v_add_f64 v[10:11], v[10:11], v[14:15]
	v_mov_b32_dpp v12, v8 row_shr:1 row_mask:0xf bank_mask:0xf
	v_mov_b32_dpp v13, v9 row_shr:1 row_mask:0xf bank_mask:0xf
	;; [unrolled: 1-line block ×4, first 2 shown]
	v_add_f64 v[10:11], v[10:11], v[14:15]
	v_add_f64 v[8:9], v[8:9], v[12:13]
	v_cmp_eq_u32_e32 vcc, 31, v7
	v_mov_b32_dpp v14, v10 row_shr:4 row_mask:0xf bank_mask:0xe
	v_mov_b32_dpp v15, v11 row_shr:4 row_mask:0xf bank_mask:0xe
	v_add_f64 v[10:11], v[10:11], v[14:15]
	v_mov_b32_dpp v12, v8 row_shr:2 row_mask:0xf bank_mask:0xf
	v_mov_b32_dpp v13, v9 row_shr:2 row_mask:0xf bank_mask:0xf
	;; [unrolled: 1-line block ×4, first 2 shown]
	v_add_f64 v[14:15], v[10:11], v[14:15]
	v_mov_b32_dpp v10, v0 row_shr:1 row_mask:0xf bank_mask:0xf
	v_mov_b32_dpp v11, v1 row_shr:1 row_mask:0xf bank_mask:0xf
	v_add_f64 v[0:1], v[0:1], v[10:11]
	v_add_f64 v[8:9], v[8:9], v[12:13]
	v_mov_b32_dpp v16, v14 row_bcast:15 row_mask:0xa bank_mask:0xf
	v_mov_b32_dpp v10, v0 row_shr:2 row_mask:0xf bank_mask:0xf
	v_mov_b32_dpp v11, v1 row_shr:2 row_mask:0xf bank_mask:0xf
	v_add_f64 v[0:1], v[0:1], v[10:11]
	v_mov_b32_dpp v12, v8 row_shr:4 row_mask:0xf bank_mask:0xe
	v_mov_b32_dpp v13, v9 row_shr:4 row_mask:0xf bank_mask:0xe
	;; [unrolled: 1-line block ×4, first 2 shown]
	v_add_f64 v[8:9], v[8:9], v[12:13]
	v_add_f64 v[0:1], v[0:1], v[10:11]
	v_mov_b32_dpp v17, v15 row_bcast:15 row_mask:0xa bank_mask:0xf
	v_mov_b32_dpp v12, v8 row_shr:8 row_mask:0xf bank_mask:0xc
	v_mov_b32_dpp v13, v9 row_shr:8 row_mask:0xf bank_mask:0xc
	;; [unrolled: 1-line block ×4, first 2 shown]
	v_add_f64 v[8:9], v[8:9], v[12:13]
	v_add_f64 v[0:1], v[0:1], v[10:11]
	s_nop 0
	v_mov_b32_dpp v12, v8 row_bcast:15 row_mask:0xa bank_mask:0xf
	v_mov_b32_dpp v13, v9 row_bcast:15 row_mask:0xa bank_mask:0xf
	;; [unrolled: 1-line block ×4, first 2 shown]
	s_and_b64 exec, exec, vcc
	s_cbranch_execz .LBB45_23
; %bb.19:
	s_load_dwordx2 s[0:1], s[0:1], 0x38
	v_add_f64 v[10:11], v[8:9], v[12:13]
	v_add_f64 v[8:9], v[14:15], v[16:17]
	;; [unrolled: 1-line block ×3, first 2 shown]
	v_cmp_eq_f64_e32 vcc, 0, v[4:5]
	s_and_saveexec_b64 s[2:3], vcc
	s_xor_b64 s[2:3], exec, s[2:3]
	s_cbranch_execz .LBB45_21
; %bb.20:
	v_lshl_add_u32 v6, v6, 1, v6
	v_ashrrev_i32_e32 v7, 31, v6
	v_mul_f64 v[4:5], v[2:3], v[10:11]
	s_waitcnt lgkmcnt(0)
	v_lshl_add_u64 v[10:11], v[6:7], 3, s[0:1]
	v_mul_f64 v[6:7], v[2:3], v[8:9]
	v_mul_f64 v[0:1], v[2:3], v[0:1]
	global_store_dwordx4 v[10:11], v[4:7], off
	global_store_dwordx2 v[10:11], v[0:1], off offset:16
                                        ; implicit-def: $vgpr6
                                        ; implicit-def: $vgpr2_vgpr3
                                        ; implicit-def: $vgpr10_vgpr11
                                        ; implicit-def: $vgpr4_vgpr5
                                        ; implicit-def: $vgpr8_vgpr9
                                        ; implicit-def: $vgpr0_vgpr1
.LBB45_21:
	s_andn2_saveexec_b64 s[2:3], s[2:3]
	s_cbranch_execz .LBB45_23
; %bb.22:
	v_lshl_add_u32 v6, v6, 1, v6
	v_ashrrev_i32_e32 v7, 31, v6
	s_waitcnt lgkmcnt(0)
	v_lshl_add_u64 v[16:17], v[6:7], 3, s[0:1]
	global_load_dwordx4 v[12:15], v[16:17], off
	global_load_dwordx2 v[18:19], v[16:17], off offset:16
	v_mul_f64 v[6:7], v[2:3], v[10:11]
	v_mul_f64 v[8:9], v[2:3], v[8:9]
	v_mul_f64 v[0:1], v[2:3], v[0:1]
	s_waitcnt vmcnt(1)
	v_fmac_f64_e32 v[6:7], v[4:5], v[12:13]
	v_fmac_f64_e32 v[8:9], v[4:5], v[14:15]
	s_waitcnt vmcnt(0)
	v_fmac_f64_e32 v[0:1], v[4:5], v[18:19]
	global_store_dwordx4 v[16:17], v[6:9], off
	global_store_dwordx2 v[16:17], v[0:1], off offset:16
.LBB45_23:
	s_endpgm
	.section	.rodata,"a",@progbits
	.p2align	6, 0x0
	.amdhsa_kernel _ZN9rocsparseL19gebsrmvn_3xn_kernelILj128ELj2ELj32EdEEvi20rocsparse_direction_NS_24const_host_device_scalarIT2_EEPKiS6_PKS3_S8_S4_PS3_21rocsparse_index_base_b
		.amdhsa_group_segment_fixed_size 0
		.amdhsa_private_segment_fixed_size 0
		.amdhsa_kernarg_size 72
		.amdhsa_user_sgpr_count 2
		.amdhsa_user_sgpr_dispatch_ptr 0
		.amdhsa_user_sgpr_queue_ptr 0
		.amdhsa_user_sgpr_kernarg_segment_ptr 1
		.amdhsa_user_sgpr_dispatch_id 0
		.amdhsa_user_sgpr_kernarg_preload_length 0
		.amdhsa_user_sgpr_kernarg_preload_offset 0
		.amdhsa_user_sgpr_private_segment_size 0
		.amdhsa_uses_dynamic_stack 0
		.amdhsa_enable_private_segment 0
		.amdhsa_system_sgpr_workgroup_id_x 1
		.amdhsa_system_sgpr_workgroup_id_y 0
		.amdhsa_system_sgpr_workgroup_id_z 0
		.amdhsa_system_sgpr_workgroup_info 0
		.amdhsa_system_vgpr_workitem_id 0
		.amdhsa_next_free_vgpr 42
		.amdhsa_next_free_sgpr 18
		.amdhsa_accum_offset 44
		.amdhsa_reserve_vcc 1
		.amdhsa_float_round_mode_32 0
		.amdhsa_float_round_mode_16_64 0
		.amdhsa_float_denorm_mode_32 3
		.amdhsa_float_denorm_mode_16_64 3
		.amdhsa_dx10_clamp 1
		.amdhsa_ieee_mode 1
		.amdhsa_fp16_overflow 0
		.amdhsa_tg_split 0
		.amdhsa_exception_fp_ieee_invalid_op 0
		.amdhsa_exception_fp_denorm_src 0
		.amdhsa_exception_fp_ieee_div_zero 0
		.amdhsa_exception_fp_ieee_overflow 0
		.amdhsa_exception_fp_ieee_underflow 0
		.amdhsa_exception_fp_ieee_inexact 0
		.amdhsa_exception_int_div_zero 0
	.end_amdhsa_kernel
	.section	.text._ZN9rocsparseL19gebsrmvn_3xn_kernelILj128ELj2ELj32EdEEvi20rocsparse_direction_NS_24const_host_device_scalarIT2_EEPKiS6_PKS3_S8_S4_PS3_21rocsparse_index_base_b,"axG",@progbits,_ZN9rocsparseL19gebsrmvn_3xn_kernelILj128ELj2ELj32EdEEvi20rocsparse_direction_NS_24const_host_device_scalarIT2_EEPKiS6_PKS3_S8_S4_PS3_21rocsparse_index_base_b,comdat
.Lfunc_end45:
	.size	_ZN9rocsparseL19gebsrmvn_3xn_kernelILj128ELj2ELj32EdEEvi20rocsparse_direction_NS_24const_host_device_scalarIT2_EEPKiS6_PKS3_S8_S4_PS3_21rocsparse_index_base_b, .Lfunc_end45-_ZN9rocsparseL19gebsrmvn_3xn_kernelILj128ELj2ELj32EdEEvi20rocsparse_direction_NS_24const_host_device_scalarIT2_EEPKiS6_PKS3_S8_S4_PS3_21rocsparse_index_base_b
                                        ; -- End function
	.section	.AMDGPU.csdata,"",@progbits
; Kernel info:
; codeLenInByte = 1360
; NumSgprs: 24
; NumVgprs: 42
; NumAgprs: 0
; TotalNumVgprs: 42
; ScratchSize: 0
; MemoryBound: 0
; FloatMode: 240
; IeeeMode: 1
; LDSByteSize: 0 bytes/workgroup (compile time only)
; SGPRBlocks: 2
; VGPRBlocks: 5
; NumSGPRsForWavesPerEU: 24
; NumVGPRsForWavesPerEU: 42
; AccumOffset: 44
; Occupancy: 8
; WaveLimiterHint : 1
; COMPUTE_PGM_RSRC2:SCRATCH_EN: 0
; COMPUTE_PGM_RSRC2:USER_SGPR: 2
; COMPUTE_PGM_RSRC2:TRAP_HANDLER: 0
; COMPUTE_PGM_RSRC2:TGID_X_EN: 1
; COMPUTE_PGM_RSRC2:TGID_Y_EN: 0
; COMPUTE_PGM_RSRC2:TGID_Z_EN: 0
; COMPUTE_PGM_RSRC2:TIDIG_COMP_CNT: 0
; COMPUTE_PGM_RSRC3_GFX90A:ACCUM_OFFSET: 10
; COMPUTE_PGM_RSRC3_GFX90A:TG_SPLIT: 0
	.section	.text._ZN9rocsparseL19gebsrmvn_3xn_kernelILj128ELj2ELj64EdEEvi20rocsparse_direction_NS_24const_host_device_scalarIT2_EEPKiS6_PKS3_S8_S4_PS3_21rocsparse_index_base_b,"axG",@progbits,_ZN9rocsparseL19gebsrmvn_3xn_kernelILj128ELj2ELj64EdEEvi20rocsparse_direction_NS_24const_host_device_scalarIT2_EEPKiS6_PKS3_S8_S4_PS3_21rocsparse_index_base_b,comdat
	.globl	_ZN9rocsparseL19gebsrmvn_3xn_kernelILj128ELj2ELj64EdEEvi20rocsparse_direction_NS_24const_host_device_scalarIT2_EEPKiS6_PKS3_S8_S4_PS3_21rocsparse_index_base_b ; -- Begin function _ZN9rocsparseL19gebsrmvn_3xn_kernelILj128ELj2ELj64EdEEvi20rocsparse_direction_NS_24const_host_device_scalarIT2_EEPKiS6_PKS3_S8_S4_PS3_21rocsparse_index_base_b
	.p2align	8
	.type	_ZN9rocsparseL19gebsrmvn_3xn_kernelILj128ELj2ELj64EdEEvi20rocsparse_direction_NS_24const_host_device_scalarIT2_EEPKiS6_PKS3_S8_S4_PS3_21rocsparse_index_base_b,@function
_ZN9rocsparseL19gebsrmvn_3xn_kernelILj128ELj2ELj64EdEEvi20rocsparse_direction_NS_24const_host_device_scalarIT2_EEPKiS6_PKS3_S8_S4_PS3_21rocsparse_index_base_b: ; @_ZN9rocsparseL19gebsrmvn_3xn_kernelILj128ELj2ELj64EdEEvi20rocsparse_direction_NS_24const_host_device_scalarIT2_EEPKiS6_PKS3_S8_S4_PS3_21rocsparse_index_base_b
; %bb.0:
	s_load_dwordx2 s[12:13], s[0:1], 0x40
	s_load_dwordx2 s[8:9], s[0:1], 0x8
	;; [unrolled: 1-line block ×3, first 2 shown]
	s_waitcnt lgkmcnt(0)
	s_bitcmp1_b32 s13, 0
	s_cselect_b64 s[10:11], -1, 0
	s_xor_b64 s[6:7], s[10:11], -1
	s_and_b64 vcc, exec, s[10:11]
	v_mov_b64_e32 v[2:3], s[8:9]
	s_cbranch_vccnz .LBB46_2
; %bb.1:
	v_mov_b64_e32 v[2:3], s[8:9]
	flat_load_dwordx2 v[2:3], v[2:3]
.LBB46_2:
	s_andn2_b64 vcc, exec, s[6:7]
	v_mov_b64_e32 v[4:5], s[4:5]
	s_cbranch_vccnz .LBB46_4
; %bb.3:
	v_mov_b64_e32 v[4:5], s[4:5]
	flat_load_dwordx2 v[4:5], v[4:5]
.LBB46_4:
	s_waitcnt vmcnt(0) lgkmcnt(0)
	v_cmp_neq_f64_e32 vcc, 0, v[2:3]
	v_cmp_neq_f64_e64 s[4:5], 1.0, v[4:5]
	s_or_b64 s[4:5], vcc, s[4:5]
	s_and_saveexec_b64 s[6:7], s[4:5]
	s_cbranch_execz .LBB46_23
; %bb.5:
	s_load_dwordx2 s[14:15], s[0:1], 0x0
	v_lshrrev_b32_e32 v1, 6, v0
	v_lshl_or_b32 v6, s2, 1, v1
	s_waitcnt lgkmcnt(0)
	v_cmp_gt_i32_e32 vcc, s14, v6
	s_and_b64 exec, exec, vcc
	s_cbranch_execz .LBB46_23
; %bb.6:
	s_load_dwordx8 s[4:11], s[0:1], 0x10
	v_ashrrev_i32_e32 v7, 31, v6
	s_cmp_lg_u32 s15, 0
	s_waitcnt lgkmcnt(0)
	v_lshl_add_u64 v[8:9], v[6:7], 2, s[4:5]
	global_load_dwordx2 v[8:9], v[8:9], off
	v_and_b32_e32 v7, 63, v0
	s_waitcnt vmcnt(0)
	v_subrev_u32_e32 v0, s12, v8
	v_subrev_u32_e32 v20, s12, v9
	v_add_u32_e32 v12, v0, v7
	v_cmp_lt_i32_e64 s[2:3], v12, v20
	s_cbranch_scc0 .LBB46_12
; %bb.7:
	v_mov_b64_e32 v[10:11], 0
	s_mov_b64 s[4:5], 0
	v_mov_b64_e32 v[0:1], v[10:11]
	v_mov_b64_e32 v[8:9], v[10:11]
	s_and_saveexec_b64 s[14:15], s[2:3]
	s_cbranch_execz .LBB46_11
; %bb.8:
	v_mad_u64_u32 v[14:15], s[16:17], v12, 6, 5
	v_mov_b64_e32 v[10:11], 0
	s_mov_b64 s[16:17], 0
	v_mov_b32_e32 v17, 0
	v_mov_b32_e32 v18, v12
	v_mov_b64_e32 v[0:1], v[10:11]
	v_mov_b64_e32 v[8:9], v[10:11]
.LBB46_9:                               ; =>This Inner Loop Header: Depth=1
	v_ashrrev_i32_e32 v19, 31, v18
	v_lshl_add_u64 v[22:23], v[18:19], 2, s[6:7]
	global_load_dword v13, v[22:23], off
	v_add_u32_e32 v16, -5, v14
	v_lshl_add_u64 v[22:23], v[16:17], 3, s[8:9]
	v_add_u32_e32 v16, -3, v14
	v_lshl_add_u64 v[28:29], v[16:17], 3, s[8:9]
	v_add_u32_e32 v16, -2, v14
	v_mov_b32_e32 v27, v17
	v_lshl_add_u64 v[32:33], v[16:17], 3, s[8:9]
	v_add_u32_e32 v16, -1, v14
	v_mov_b32_e32 v15, v17
	global_load_dwordx4 v[22:25], v[22:23], off
	v_lshl_add_u64 v[30:31], v[14:15], 3, s[8:9]
	global_load_dwordx2 v[34:35], v[28:29], off
	v_lshl_add_u64 v[28:29], v[16:17], 3, s[8:9]
	global_load_dwordx2 v[36:37], v[32:33], off
	global_load_dwordx2 v[38:39], v[28:29], off
	v_add_u32_e32 v18, 64, v18
	v_cmp_ge_i32_e32 vcc, v18, v20
	v_add_u32_e32 v14, 0x180, v14
	s_or_b64 s[16:17], vcc, s[16:17]
	s_waitcnt vmcnt(4)
	v_subrev_u32_e32 v13, s12, v13
	v_lshlrev_b32_e32 v26, 1, v13
	v_lshl_add_u64 v[32:33], v[26:27], 3, s[10:11]
	global_load_dwordx4 v[26:29], v[32:33], off
	global_load_dwordx2 v[40:41], v[30:31], off
	s_waitcnt vmcnt(1)
	v_fmac_f64_e32 v[10:11], v[22:23], v[26:27]
	v_fmac_f64_e32 v[8:9], v[24:25], v[26:27]
	;; [unrolled: 1-line block ×5, first 2 shown]
	s_waitcnt vmcnt(0)
	v_fmac_f64_e32 v[0:1], v[40:41], v[28:29]
	s_andn2_b64 exec, exec, s[16:17]
	s_cbranch_execnz .LBB46_9
; %bb.10:
	s_or_b64 exec, exec, s[16:17]
.LBB46_11:
	s_or_b64 exec, exec, s[14:15]
	s_andn2_b64 vcc, exec, s[4:5]
	s_cbranch_vccz .LBB46_13
	s_branch .LBB46_18
.LBB46_12:
                                        ; implicit-def: $vgpr10_vgpr11
                                        ; implicit-def: $vgpr0_vgpr1
                                        ; implicit-def: $vgpr8_vgpr9
.LBB46_13:
	v_mov_b64_e32 v[10:11], 0
	v_mov_b64_e32 v[0:1], v[10:11]
	;; [unrolled: 1-line block ×3, first 2 shown]
	s_and_saveexec_b64 s[4:5], s[2:3]
	s_cbranch_execz .LBB46_17
; %bb.14:
	v_mad_u64_u32 v[14:15], s[2:3], v12, 6, 5
	v_mov_b64_e32 v[10:11], 0
	s_mov_b64 s[2:3], 0
	v_mov_b32_e32 v17, 0
	v_mov_b64_e32 v[0:1], v[10:11]
	v_mov_b64_e32 v[8:9], v[10:11]
.LBB46_15:                              ; =>This Inner Loop Header: Depth=1
	v_ashrrev_i32_e32 v13, 31, v12
	v_lshl_add_u64 v[18:19], v[12:13], 2, s[6:7]
	global_load_dword v13, v[18:19], off
	v_add_u32_e32 v16, -5, v14
	v_add_u32_e32 v18, -3, v14
	v_mov_b32_e32 v19, v17
	v_add_u32_e32 v22, -1, v14
	v_mov_b32_e32 v27, v17
	v_mov_b32_e32 v23, v17
	v_lshl_add_u64 v[24:25], v[16:17], 3, s[8:9]
	v_lshl_add_u64 v[18:19], v[18:19], 3, s[8:9]
	v_add_u32_e32 v16, -2, v14
	v_mov_b32_e32 v15, v17
	v_lshl_add_u64 v[28:29], v[22:23], 3, s[8:9]
	global_load_dwordx4 v[22:25], v[24:25], off
	v_lshl_add_u64 v[32:33], v[16:17], 3, s[8:9]
	global_load_dwordx2 v[34:35], v[18:19], off
	global_load_dwordx2 v[36:37], v[28:29], off
	global_load_dwordx2 v[38:39], v[32:33], off
	v_lshl_add_u64 v[30:31], v[14:15], 3, s[8:9]
	v_add_u32_e32 v12, 64, v12
	v_cmp_ge_i32_e32 vcc, v12, v20
	v_add_u32_e32 v14, 0x180, v14
	s_or_b64 s[2:3], vcc, s[2:3]
	s_waitcnt vmcnt(4)
	v_subrev_u32_e32 v13, s12, v13
	v_lshlrev_b32_e32 v26, 1, v13
	v_lshl_add_u64 v[18:19], v[26:27], 3, s[10:11]
	global_load_dwordx4 v[26:29], v[18:19], off
	global_load_dwordx2 v[32:33], v[30:31], off
	s_waitcnt vmcnt(1)
	v_fmac_f64_e32 v[10:11], v[22:23], v[26:27]
	v_fmac_f64_e32 v[8:9], v[34:35], v[26:27]
	;; [unrolled: 1-line block ×5, first 2 shown]
	s_waitcnt vmcnt(0)
	v_fmac_f64_e32 v[0:1], v[32:33], v[28:29]
	s_andn2_b64 exec, exec, s[2:3]
	s_cbranch_execnz .LBB46_15
; %bb.16:
	s_or_b64 exec, exec, s[2:3]
.LBB46_17:
	s_or_b64 exec, exec, s[4:5]
.LBB46_18:
	v_mov_b32_dpp v12, v10 row_shr:1 row_mask:0xf bank_mask:0xf
	v_mov_b32_dpp v13, v11 row_shr:1 row_mask:0xf bank_mask:0xf
	v_mov_b32_dpp v14, v8 row_shr:1 row_mask:0xf bank_mask:0xf
	v_mov_b32_dpp v15, v9 row_shr:1 row_mask:0xf bank_mask:0xf
	v_mov_b32_dpp v16, v0 row_shr:1 row_mask:0xf bank_mask:0xf
	v_mov_b32_dpp v17, v1 row_shr:1 row_mask:0xf bank_mask:0xf
	v_add_f64 v[10:11], v[10:11], v[12:13]
	v_add_f64 v[8:9], v[8:9], v[14:15]
	v_add_f64 v[0:1], v[0:1], v[16:17]
	v_mov_b32_dpp v12, v10 row_shr:2 row_mask:0xf bank_mask:0xf
	v_mov_b32_dpp v13, v11 row_shr:2 row_mask:0xf bank_mask:0xf
	v_mov_b32_dpp v14, v8 row_shr:2 row_mask:0xf bank_mask:0xf
	v_mov_b32_dpp v15, v9 row_shr:2 row_mask:0xf bank_mask:0xf
	v_mov_b32_dpp v16, v0 row_shr:2 row_mask:0xf bank_mask:0xf
	v_mov_b32_dpp v17, v1 row_shr:2 row_mask:0xf bank_mask:0xf
	v_add_f64 v[10:11], v[10:11], v[12:13]
	v_add_f64 v[8:9], v[8:9], v[14:15]
	v_add_f64 v[0:1], v[0:1], v[16:17]
	v_mov_b32_dpp v12, v10 row_shr:4 row_mask:0xf bank_mask:0xe
	v_mov_b32_dpp v13, v11 row_shr:4 row_mask:0xf bank_mask:0xe
	v_mov_b32_dpp v14, v8 row_shr:4 row_mask:0xf bank_mask:0xe
	v_mov_b32_dpp v15, v9 row_shr:4 row_mask:0xf bank_mask:0xe
	v_mov_b32_dpp v16, v0 row_shr:4 row_mask:0xf bank_mask:0xe
	v_mov_b32_dpp v17, v1 row_shr:4 row_mask:0xf bank_mask:0xe
	v_add_f64 v[10:11], v[10:11], v[12:13]
	v_add_f64 v[8:9], v[8:9], v[14:15]
	v_add_f64 v[0:1], v[0:1], v[16:17]
	v_mov_b32_dpp v12, v10 row_shr:8 row_mask:0xf bank_mask:0xc
	v_mov_b32_dpp v13, v11 row_shr:8 row_mask:0xf bank_mask:0xc
	v_mov_b32_dpp v14, v8 row_shr:8 row_mask:0xf bank_mask:0xc
	v_mov_b32_dpp v15, v9 row_shr:8 row_mask:0xf bank_mask:0xc
	v_mov_b32_dpp v16, v0 row_shr:8 row_mask:0xf bank_mask:0xc
	v_mov_b32_dpp v17, v1 row_shr:8 row_mask:0xf bank_mask:0xc
	v_add_f64 v[10:11], v[10:11], v[12:13]
	v_add_f64 v[8:9], v[8:9], v[14:15]
	v_add_f64 v[0:1], v[0:1], v[16:17]
	v_mov_b32_dpp v12, v10 row_bcast:15 row_mask:0xa bank_mask:0xf
	v_mov_b32_dpp v13, v11 row_bcast:15 row_mask:0xa bank_mask:0xf
	;; [unrolled: 1-line block ×6, first 2 shown]
	v_add_f64 v[10:11], v[10:11], v[12:13]
	v_add_f64 v[8:9], v[8:9], v[14:15]
	;; [unrolled: 1-line block ×3, first 2 shown]
	v_mov_b32_dpp v12, v10 row_bcast:31 row_mask:0xc bank_mask:0xf
	v_mov_b32_dpp v13, v11 row_bcast:31 row_mask:0xc bank_mask:0xf
	;; [unrolled: 1-line block ×6, first 2 shown]
	v_cmp_eq_u32_e32 vcc, 63, v7
	s_and_b64 exec, exec, vcc
	s_cbranch_execz .LBB46_23
; %bb.19:
	s_load_dwordx2 s[0:1], s[0:1], 0x38
	v_add_f64 v[10:11], v[10:11], v[12:13]
	v_add_f64 v[8:9], v[8:9], v[14:15]
	;; [unrolled: 1-line block ×3, first 2 shown]
	v_cmp_eq_f64_e32 vcc, 0, v[4:5]
	s_and_saveexec_b64 s[2:3], vcc
	s_xor_b64 s[2:3], exec, s[2:3]
	s_cbranch_execz .LBB46_21
; %bb.20:
	v_lshl_add_u32 v6, v6, 1, v6
	v_ashrrev_i32_e32 v7, 31, v6
	v_mul_f64 v[4:5], v[2:3], v[10:11]
	s_waitcnt lgkmcnt(0)
	v_lshl_add_u64 v[10:11], v[6:7], 3, s[0:1]
	v_mul_f64 v[6:7], v[2:3], v[8:9]
	v_mul_f64 v[0:1], v[2:3], v[0:1]
	global_store_dwordx4 v[10:11], v[4:7], off
	global_store_dwordx2 v[10:11], v[0:1], off offset:16
                                        ; implicit-def: $vgpr6
                                        ; implicit-def: $vgpr2_vgpr3
                                        ; implicit-def: $vgpr10_vgpr11
                                        ; implicit-def: $vgpr4_vgpr5
                                        ; implicit-def: $vgpr8_vgpr9
                                        ; implicit-def: $vgpr0_vgpr1
.LBB46_21:
	s_andn2_saveexec_b64 s[2:3], s[2:3]
	s_cbranch_execz .LBB46_23
; %bb.22:
	v_lshl_add_u32 v6, v6, 1, v6
	v_ashrrev_i32_e32 v7, 31, v6
	s_waitcnt lgkmcnt(0)
	v_lshl_add_u64 v[16:17], v[6:7], 3, s[0:1]
	global_load_dwordx4 v[12:15], v[16:17], off
	global_load_dwordx2 v[18:19], v[16:17], off offset:16
	v_mul_f64 v[6:7], v[2:3], v[10:11]
	v_mul_f64 v[8:9], v[2:3], v[8:9]
	v_mul_f64 v[0:1], v[2:3], v[0:1]
	s_waitcnt vmcnt(1)
	v_fmac_f64_e32 v[6:7], v[4:5], v[12:13]
	v_fmac_f64_e32 v[8:9], v[4:5], v[14:15]
	s_waitcnt vmcnt(0)
	v_fmac_f64_e32 v[0:1], v[4:5], v[18:19]
	global_store_dwordx4 v[16:17], v[6:9], off
	global_store_dwordx2 v[16:17], v[0:1], off offset:16
.LBB46_23:
	s_endpgm
	.section	.rodata,"a",@progbits
	.p2align	6, 0x0
	.amdhsa_kernel _ZN9rocsparseL19gebsrmvn_3xn_kernelILj128ELj2ELj64EdEEvi20rocsparse_direction_NS_24const_host_device_scalarIT2_EEPKiS6_PKS3_S8_S4_PS3_21rocsparse_index_base_b
		.amdhsa_group_segment_fixed_size 0
		.amdhsa_private_segment_fixed_size 0
		.amdhsa_kernarg_size 72
		.amdhsa_user_sgpr_count 2
		.amdhsa_user_sgpr_dispatch_ptr 0
		.amdhsa_user_sgpr_queue_ptr 0
		.amdhsa_user_sgpr_kernarg_segment_ptr 1
		.amdhsa_user_sgpr_dispatch_id 0
		.amdhsa_user_sgpr_kernarg_preload_length 0
		.amdhsa_user_sgpr_kernarg_preload_offset 0
		.amdhsa_user_sgpr_private_segment_size 0
		.amdhsa_uses_dynamic_stack 0
		.amdhsa_enable_private_segment 0
		.amdhsa_system_sgpr_workgroup_id_x 1
		.amdhsa_system_sgpr_workgroup_id_y 0
		.amdhsa_system_sgpr_workgroup_id_z 0
		.amdhsa_system_sgpr_workgroup_info 0
		.amdhsa_system_vgpr_workitem_id 0
		.amdhsa_next_free_vgpr 42
		.amdhsa_next_free_sgpr 18
		.amdhsa_accum_offset 44
		.amdhsa_reserve_vcc 1
		.amdhsa_float_round_mode_32 0
		.amdhsa_float_round_mode_16_64 0
		.amdhsa_float_denorm_mode_32 3
		.amdhsa_float_denorm_mode_16_64 3
		.amdhsa_dx10_clamp 1
		.amdhsa_ieee_mode 1
		.amdhsa_fp16_overflow 0
		.amdhsa_tg_split 0
		.amdhsa_exception_fp_ieee_invalid_op 0
		.amdhsa_exception_fp_denorm_src 0
		.amdhsa_exception_fp_ieee_div_zero 0
		.amdhsa_exception_fp_ieee_overflow 0
		.amdhsa_exception_fp_ieee_underflow 0
		.amdhsa_exception_fp_ieee_inexact 0
		.amdhsa_exception_int_div_zero 0
	.end_amdhsa_kernel
	.section	.text._ZN9rocsparseL19gebsrmvn_3xn_kernelILj128ELj2ELj64EdEEvi20rocsparse_direction_NS_24const_host_device_scalarIT2_EEPKiS6_PKS3_S8_S4_PS3_21rocsparse_index_base_b,"axG",@progbits,_ZN9rocsparseL19gebsrmvn_3xn_kernelILj128ELj2ELj64EdEEvi20rocsparse_direction_NS_24const_host_device_scalarIT2_EEPKiS6_PKS3_S8_S4_PS3_21rocsparse_index_base_b,comdat
.Lfunc_end46:
	.size	_ZN9rocsparseL19gebsrmvn_3xn_kernelILj128ELj2ELj64EdEEvi20rocsparse_direction_NS_24const_host_device_scalarIT2_EEPKiS6_PKS3_S8_S4_PS3_21rocsparse_index_base_b, .Lfunc_end46-_ZN9rocsparseL19gebsrmvn_3xn_kernelILj128ELj2ELj64EdEEvi20rocsparse_direction_NS_24const_host_device_scalarIT2_EEPKiS6_PKS3_S8_S4_PS3_21rocsparse_index_base_b
                                        ; -- End function
	.section	.AMDGPU.csdata,"",@progbits
; Kernel info:
; codeLenInByte = 1428
; NumSgprs: 24
; NumVgprs: 42
; NumAgprs: 0
; TotalNumVgprs: 42
; ScratchSize: 0
; MemoryBound: 0
; FloatMode: 240
; IeeeMode: 1
; LDSByteSize: 0 bytes/workgroup (compile time only)
; SGPRBlocks: 2
; VGPRBlocks: 5
; NumSGPRsForWavesPerEU: 24
; NumVGPRsForWavesPerEU: 42
; AccumOffset: 44
; Occupancy: 8
; WaveLimiterHint : 1
; COMPUTE_PGM_RSRC2:SCRATCH_EN: 0
; COMPUTE_PGM_RSRC2:USER_SGPR: 2
; COMPUTE_PGM_RSRC2:TRAP_HANDLER: 0
; COMPUTE_PGM_RSRC2:TGID_X_EN: 1
; COMPUTE_PGM_RSRC2:TGID_Y_EN: 0
; COMPUTE_PGM_RSRC2:TGID_Z_EN: 0
; COMPUTE_PGM_RSRC2:TIDIG_COMP_CNT: 0
; COMPUTE_PGM_RSRC3_GFX90A:ACCUM_OFFSET: 10
; COMPUTE_PGM_RSRC3_GFX90A:TG_SPLIT: 0
	.section	.text._ZN9rocsparseL19gebsrmvn_3xn_kernelILj128ELj4ELj4EdEEvi20rocsparse_direction_NS_24const_host_device_scalarIT2_EEPKiS6_PKS3_S8_S4_PS3_21rocsparse_index_base_b,"axG",@progbits,_ZN9rocsparseL19gebsrmvn_3xn_kernelILj128ELj4ELj4EdEEvi20rocsparse_direction_NS_24const_host_device_scalarIT2_EEPKiS6_PKS3_S8_S4_PS3_21rocsparse_index_base_b,comdat
	.globl	_ZN9rocsparseL19gebsrmvn_3xn_kernelILj128ELj4ELj4EdEEvi20rocsparse_direction_NS_24const_host_device_scalarIT2_EEPKiS6_PKS3_S8_S4_PS3_21rocsparse_index_base_b ; -- Begin function _ZN9rocsparseL19gebsrmvn_3xn_kernelILj128ELj4ELj4EdEEvi20rocsparse_direction_NS_24const_host_device_scalarIT2_EEPKiS6_PKS3_S8_S4_PS3_21rocsparse_index_base_b
	.p2align	8
	.type	_ZN9rocsparseL19gebsrmvn_3xn_kernelILj128ELj4ELj4EdEEvi20rocsparse_direction_NS_24const_host_device_scalarIT2_EEPKiS6_PKS3_S8_S4_PS3_21rocsparse_index_base_b,@function
_ZN9rocsparseL19gebsrmvn_3xn_kernelILj128ELj4ELj4EdEEvi20rocsparse_direction_NS_24const_host_device_scalarIT2_EEPKiS6_PKS3_S8_S4_PS3_21rocsparse_index_base_b: ; @_ZN9rocsparseL19gebsrmvn_3xn_kernelILj128ELj4ELj4EdEEvi20rocsparse_direction_NS_24const_host_device_scalarIT2_EEPKiS6_PKS3_S8_S4_PS3_21rocsparse_index_base_b
; %bb.0:
	s_load_dwordx2 s[12:13], s[0:1], 0x40
	s_load_dwordx2 s[8:9], s[0:1], 0x8
	;; [unrolled: 1-line block ×3, first 2 shown]
	s_waitcnt lgkmcnt(0)
	s_bitcmp1_b32 s13, 0
	s_cselect_b64 s[10:11], -1, 0
	s_xor_b64 s[6:7], s[10:11], -1
	s_and_b64 vcc, exec, s[10:11]
	v_mov_b64_e32 v[2:3], s[8:9]
	s_cbranch_vccnz .LBB47_2
; %bb.1:
	v_mov_b64_e32 v[2:3], s[8:9]
	flat_load_dwordx2 v[2:3], v[2:3]
.LBB47_2:
	s_andn2_b64 vcc, exec, s[6:7]
	v_mov_b64_e32 v[4:5], s[4:5]
	s_cbranch_vccnz .LBB47_4
; %bb.3:
	v_mov_b64_e32 v[4:5], s[4:5]
	flat_load_dwordx2 v[4:5], v[4:5]
.LBB47_4:
	s_waitcnt vmcnt(0) lgkmcnt(0)
	v_cmp_neq_f64_e32 vcc, 0, v[2:3]
	v_cmp_neq_f64_e64 s[4:5], 1.0, v[4:5]
	s_or_b64 s[4:5], vcc, s[4:5]
	s_and_saveexec_b64 s[6:7], s[4:5]
	s_cbranch_execz .LBB47_23
; %bb.5:
	s_load_dwordx2 s[14:15], s[0:1], 0x0
	v_lshrrev_b32_e32 v1, 2, v0
	v_lshl_or_b32 v6, s2, 5, v1
	s_waitcnt lgkmcnt(0)
	v_cmp_gt_i32_e32 vcc, s14, v6
	s_and_b64 exec, exec, vcc
	s_cbranch_execz .LBB47_23
; %bb.6:
	s_load_dwordx8 s[4:11], s[0:1], 0x10
	v_ashrrev_i32_e32 v7, 31, v6
	s_cmp_lg_u32 s15, 0
	s_waitcnt lgkmcnt(0)
	v_lshl_add_u64 v[8:9], v[6:7], 2, s[4:5]
	global_load_dwordx2 v[8:9], v[8:9], off
	v_and_b32_e32 v7, 3, v0
	s_waitcnt vmcnt(0)
	v_subrev_u32_e32 v0, s12, v8
	v_subrev_u32_e32 v20, s12, v9
	v_add_u32_e32 v10, v0, v7
	v_cmp_lt_i32_e64 s[2:3], v10, v20
	s_cbranch_scc0 .LBB47_12
; %bb.7:
	v_mov_b64_e32 v[0:1], 0
	s_mov_b64 s[4:5], 0
	v_mov_b64_e32 v[8:9], v[0:1]
	v_mov_b64_e32 v[12:13], v[0:1]
	s_and_saveexec_b64 s[14:15], s[2:3]
	s_cbranch_execz .LBB47_11
; %bb.8:
	v_mad_u64_u32 v[14:15], s[16:17], v10, 12, 11
	v_mov_b64_e32 v[0:1], 0
	s_mov_b64 s[16:17], 0
	v_mov_b32_e32 v17, 0
	v_mov_b32_e32 v18, v10
	v_mov_b64_e32 v[8:9], v[0:1]
	v_mov_b64_e32 v[12:13], v[0:1]
.LBB47_9:                               ; =>This Inner Loop Header: Depth=1
	v_ashrrev_i32_e32 v19, 31, v18
	v_lshl_add_u64 v[22:23], v[18:19], 2, s[6:7]
	global_load_dword v11, v[22:23], off
	v_add_u32_e32 v16, -11, v14
	v_lshl_add_u64 v[32:33], v[16:17], 3, s[8:9]
	v_add_u32_e32 v16, -7, v14
	global_load_dwordx4 v[22:25], v[32:33], off offset:16
	global_load_dwordx4 v[26:29], v[32:33], off
	v_lshl_add_u64 v[32:33], v[16:17], 3, s[8:9]
	v_add_u32_e32 v16, -6, v14
	v_lshl_add_u64 v[34:35], v[16:17], 3, s[8:9]
	v_add_u32_e32 v16, -5, v14
	global_load_dwordx2 v[40:41], v[32:33], off
	global_load_dwordx2 v[42:43], v[34:35], off
	v_lshl_add_u64 v[32:33], v[16:17], 3, s[8:9]
	v_add_u32_e32 v16, -4, v14
	v_lshl_add_u64 v[34:35], v[16:17], 3, s[8:9]
	v_add_u32_e32 v16, -3, v14
	v_mov_b32_e32 v31, v17
	global_load_dwordx2 v[44:45], v[32:33], off
	global_load_dwordx2 v[46:47], v[34:35], off
	v_lshl_add_u64 v[32:33], v[16:17], 3, s[8:9]
	v_add_u32_e32 v16, -2, v14
	v_mov_b32_e32 v15, v17
	global_load_dwordx2 v[48:49], v[32:33], off
	v_lshl_add_u64 v[50:51], v[16:17], 3, s[8:9]
	v_add_u32_e32 v16, -1, v14
	v_lshl_add_u64 v[38:39], v[14:15], 3, s[8:9]
	v_lshl_add_u64 v[52:53], v[16:17], 3, s[8:9]
	v_add_u32_e32 v18, 4, v18
	v_cmp_ge_i32_e32 vcc, v18, v20
	s_or_b64 s[16:17], vcc, s[16:17]
	v_add_u32_e32 v14, 48, v14
	s_waitcnt vmcnt(7)
	v_subrev_u32_e32 v11, s12, v11
	v_lshlrev_b32_e32 v30, 2, v11
	v_lshl_add_u64 v[54:55], v[30:31], 3, s[10:11]
	global_load_dwordx4 v[30:33], v[54:55], off
	global_load_dwordx4 v[34:37], v[54:55], off offset:16
	global_load_dwordx2 v[56:57], v[50:51], off
	global_load_dwordx2 v[58:59], v[52:53], off
	;; [unrolled: 1-line block ×3, first 2 shown]
	s_waitcnt vmcnt(4)
	v_fmac_f64_e32 v[0:1], v[26:27], v[30:31]
	v_fmac_f64_e32 v[12:13], v[28:29], v[30:31]
	;; [unrolled: 1-line block ×6, first 2 shown]
	s_waitcnt vmcnt(3)
	v_fmac_f64_e32 v[0:1], v[44:45], v[34:35]
	v_fmac_f64_e32 v[12:13], v[46:47], v[34:35]
	;; [unrolled: 1-line block ×3, first 2 shown]
	s_waitcnt vmcnt(2)
	v_fmac_f64_e32 v[0:1], v[56:57], v[36:37]
	s_waitcnt vmcnt(1)
	v_fmac_f64_e32 v[12:13], v[58:59], v[36:37]
	;; [unrolled: 2-line block ×3, first 2 shown]
	s_andn2_b64 exec, exec, s[16:17]
	s_cbranch_execnz .LBB47_9
; %bb.10:
	s_or_b64 exec, exec, s[16:17]
.LBB47_11:
	s_or_b64 exec, exec, s[14:15]
	s_andn2_b64 vcc, exec, s[4:5]
	s_cbranch_vccz .LBB47_13
	s_branch .LBB47_18
.LBB47_12:
                                        ; implicit-def: $vgpr0_vgpr1
                                        ; implicit-def: $vgpr8_vgpr9
                                        ; implicit-def: $vgpr12_vgpr13
.LBB47_13:
	v_mov_b64_e32 v[0:1], 0
	v_mov_b64_e32 v[8:9], v[0:1]
	;; [unrolled: 1-line block ×3, first 2 shown]
	s_and_saveexec_b64 s[4:5], s[2:3]
	s_cbranch_execz .LBB47_17
; %bb.14:
	v_mad_u64_u32 v[14:15], s[2:3], v10, 12, 11
	v_mov_b64_e32 v[0:1], 0
	s_mov_b64 s[2:3], 0
	v_mov_b32_e32 v17, 0
	v_mov_b64_e32 v[8:9], v[0:1]
	v_mov_b64_e32 v[12:13], v[0:1]
.LBB47_15:                              ; =>This Inner Loop Header: Depth=1
	v_ashrrev_i32_e32 v11, 31, v10
	v_lshl_add_u64 v[18:19], v[10:11], 2, s[6:7]
	global_load_dword v11, v[18:19], off
	v_add_u32_e32 v16, -11, v14
	v_add_u32_e32 v18, -7, v14
	;; [unrolled: 1-line block ×3, first 2 shown]
	v_mov_b32_e32 v19, v17
	v_mov_b32_e32 v23, v17
	v_lshl_add_u64 v[32:33], v[16:17], 3, s[8:9]
	v_add_u32_e32 v16, -6, v14
	v_lshl_add_u64 v[18:19], v[18:19], 3, s[8:9]
	v_lshl_add_u64 v[34:35], v[22:23], 3, s[8:9]
	global_load_dwordx4 v[22:25], v[32:33], off offset:16
	global_load_dwordx4 v[26:29], v[32:33], off
	v_lshl_add_u64 v[32:33], v[16:17], 3, s[8:9]
	v_add_u32_e32 v16, -2, v14
	global_load_dwordx2 v[40:41], v[18:19], off
	global_load_dwordx2 v[42:43], v[34:35], off
	v_lshl_add_u64 v[18:19], v[16:17], 3, s[8:9]
	v_add_u32_e32 v16, -5, v14
	v_mov_b32_e32 v31, v17
	global_load_dwordx2 v[44:45], v[32:33], off
	global_load_dwordx2 v[46:47], v[18:19], off
	v_lshl_add_u64 v[18:19], v[16:17], 3, s[8:9]
	v_add_u32_e32 v16, -1, v14
	v_lshl_add_u64 v[32:33], v[16:17], 3, s[8:9]
	global_load_dwordx2 v[48:49], v[18:19], off
	global_load_dwordx2 v[50:51], v[32:33], off
	v_add_u32_e32 v16, -4, v14
	v_mov_b32_e32 v15, v17
	v_lshl_add_u64 v[38:39], v[14:15], 3, s[8:9]
	v_add_u32_e32 v10, 4, v10
	v_cmp_ge_i32_e32 vcc, v10, v20
	s_or_b64 s[2:3], vcc, s[2:3]
	v_add_u32_e32 v14, 48, v14
	s_waitcnt vmcnt(8)
	v_subrev_u32_e32 v11, s12, v11
	v_lshlrev_b32_e32 v30, 2, v11
	v_lshl_add_u64 v[18:19], v[30:31], 3, s[10:11]
	global_load_dwordx4 v[30:33], v[18:19], off
	global_load_dwordx4 v[34:37], v[18:19], off offset:16
	v_lshl_add_u64 v[18:19], v[16:17], 3, s[8:9]
	global_load_dwordx2 v[52:53], v[18:19], off
	global_load_dwordx2 v[54:55], v[38:39], off
	s_waitcnt vmcnt(3)
	v_fmac_f64_e32 v[0:1], v[26:27], v[30:31]
	v_fmac_f64_e32 v[12:13], v[40:41], v[30:31]
	;; [unrolled: 1-line block ×6, first 2 shown]
	s_waitcnt vmcnt(2)
	v_fmac_f64_e32 v[0:1], v[22:23], v[34:35]
	v_fmac_f64_e32 v[12:13], v[48:49], v[34:35]
	;; [unrolled: 1-line block ×4, first 2 shown]
	s_waitcnt vmcnt(1)
	v_fmac_f64_e32 v[12:13], v[52:53], v[36:37]
	s_waitcnt vmcnt(0)
	v_fmac_f64_e32 v[8:9], v[54:55], v[36:37]
	s_andn2_b64 exec, exec, s[2:3]
	s_cbranch_execnz .LBB47_15
; %bb.16:
	s_or_b64 exec, exec, s[2:3]
.LBB47_17:
	s_or_b64 exec, exec, s[4:5]
.LBB47_18:
	v_mov_b32_dpp v10, v0 row_shr:1 row_mask:0xf bank_mask:0xf
	v_mov_b32_dpp v11, v1 row_shr:1 row_mask:0xf bank_mask:0xf
	;; [unrolled: 1-line block ×6, first 2 shown]
	v_add_f64 v[0:1], v[0:1], v[10:11]
	v_add_f64 v[12:13], v[12:13], v[14:15]
	;; [unrolled: 1-line block ×3, first 2 shown]
	v_mov_b32_dpp v10, v0 row_shr:2 row_mask:0xf bank_mask:0xf
	v_mov_b32_dpp v11, v1 row_shr:2 row_mask:0xf bank_mask:0xf
	;; [unrolled: 1-line block ×6, first 2 shown]
	v_cmp_eq_u32_e32 vcc, 3, v7
	s_and_b64 exec, exec, vcc
	s_cbranch_execz .LBB47_23
; %bb.19:
	s_load_dwordx2 s[0:1], s[0:1], 0x38
	v_add_f64 v[10:11], v[0:1], v[10:11]
	v_add_f64 v[8:9], v[12:13], v[14:15]
	;; [unrolled: 1-line block ×3, first 2 shown]
	v_cmp_eq_f64_e32 vcc, 0, v[4:5]
	s_and_saveexec_b64 s[2:3], vcc
	s_xor_b64 s[2:3], exec, s[2:3]
	s_cbranch_execz .LBB47_21
; %bb.20:
	v_lshl_add_u32 v6, v6, 1, v6
	v_ashrrev_i32_e32 v7, 31, v6
	v_mul_f64 v[4:5], v[2:3], v[10:11]
	s_waitcnt lgkmcnt(0)
	v_lshl_add_u64 v[10:11], v[6:7], 3, s[0:1]
	v_mul_f64 v[6:7], v[2:3], v[8:9]
	v_mul_f64 v[0:1], v[2:3], v[0:1]
	global_store_dwordx4 v[10:11], v[4:7], off
	global_store_dwordx2 v[10:11], v[0:1], off offset:16
                                        ; implicit-def: $vgpr6
                                        ; implicit-def: $vgpr2_vgpr3
                                        ; implicit-def: $vgpr10_vgpr11
                                        ; implicit-def: $vgpr4_vgpr5
                                        ; implicit-def: $vgpr8_vgpr9
                                        ; implicit-def: $vgpr0_vgpr1
.LBB47_21:
	s_andn2_saveexec_b64 s[2:3], s[2:3]
	s_cbranch_execz .LBB47_23
; %bb.22:
	v_lshl_add_u32 v6, v6, 1, v6
	v_ashrrev_i32_e32 v7, 31, v6
	s_waitcnt lgkmcnt(0)
	v_lshl_add_u64 v[16:17], v[6:7], 3, s[0:1]
	global_load_dwordx4 v[12:15], v[16:17], off
	global_load_dwordx2 v[18:19], v[16:17], off offset:16
	v_mul_f64 v[6:7], v[2:3], v[10:11]
	v_mul_f64 v[8:9], v[2:3], v[8:9]
	v_mul_f64 v[0:1], v[2:3], v[0:1]
	s_waitcnt vmcnt(1)
	v_fmac_f64_e32 v[6:7], v[4:5], v[12:13]
	v_fmac_f64_e32 v[8:9], v[4:5], v[14:15]
	s_waitcnt vmcnt(0)
	v_fmac_f64_e32 v[0:1], v[4:5], v[18:19]
	global_store_dwordx4 v[16:17], v[6:9], off
	global_store_dwordx2 v[16:17], v[0:1], off offset:16
.LBB47_23:
	s_endpgm
	.section	.rodata,"a",@progbits
	.p2align	6, 0x0
	.amdhsa_kernel _ZN9rocsparseL19gebsrmvn_3xn_kernelILj128ELj4ELj4EdEEvi20rocsparse_direction_NS_24const_host_device_scalarIT2_EEPKiS6_PKS3_S8_S4_PS3_21rocsparse_index_base_b
		.amdhsa_group_segment_fixed_size 0
		.amdhsa_private_segment_fixed_size 0
		.amdhsa_kernarg_size 72
		.amdhsa_user_sgpr_count 2
		.amdhsa_user_sgpr_dispatch_ptr 0
		.amdhsa_user_sgpr_queue_ptr 0
		.amdhsa_user_sgpr_kernarg_segment_ptr 1
		.amdhsa_user_sgpr_dispatch_id 0
		.amdhsa_user_sgpr_kernarg_preload_length 0
		.amdhsa_user_sgpr_kernarg_preload_offset 0
		.amdhsa_user_sgpr_private_segment_size 0
		.amdhsa_uses_dynamic_stack 0
		.amdhsa_enable_private_segment 0
		.amdhsa_system_sgpr_workgroup_id_x 1
		.amdhsa_system_sgpr_workgroup_id_y 0
		.amdhsa_system_sgpr_workgroup_id_z 0
		.amdhsa_system_sgpr_workgroup_info 0
		.amdhsa_system_vgpr_workitem_id 0
		.amdhsa_next_free_vgpr 62
		.amdhsa_next_free_sgpr 18
		.amdhsa_accum_offset 64
		.amdhsa_reserve_vcc 1
		.amdhsa_float_round_mode_32 0
		.amdhsa_float_round_mode_16_64 0
		.amdhsa_float_denorm_mode_32 3
		.amdhsa_float_denorm_mode_16_64 3
		.amdhsa_dx10_clamp 1
		.amdhsa_ieee_mode 1
		.amdhsa_fp16_overflow 0
		.amdhsa_tg_split 0
		.amdhsa_exception_fp_ieee_invalid_op 0
		.amdhsa_exception_fp_denorm_src 0
		.amdhsa_exception_fp_ieee_div_zero 0
		.amdhsa_exception_fp_ieee_overflow 0
		.amdhsa_exception_fp_ieee_underflow 0
		.amdhsa_exception_fp_ieee_inexact 0
		.amdhsa_exception_int_div_zero 0
	.end_amdhsa_kernel
	.section	.text._ZN9rocsparseL19gebsrmvn_3xn_kernelILj128ELj4ELj4EdEEvi20rocsparse_direction_NS_24const_host_device_scalarIT2_EEPKiS6_PKS3_S8_S4_PS3_21rocsparse_index_base_b,"axG",@progbits,_ZN9rocsparseL19gebsrmvn_3xn_kernelILj128ELj4ELj4EdEEvi20rocsparse_direction_NS_24const_host_device_scalarIT2_EEPKiS6_PKS3_S8_S4_PS3_21rocsparse_index_base_b,comdat
.Lfunc_end47:
	.size	_ZN9rocsparseL19gebsrmvn_3xn_kernelILj128ELj4ELj4EdEEvi20rocsparse_direction_NS_24const_host_device_scalarIT2_EEPKiS6_PKS3_S8_S4_PS3_21rocsparse_index_base_b, .Lfunc_end47-_ZN9rocsparseL19gebsrmvn_3xn_kernelILj128ELj4ELj4EdEEvi20rocsparse_direction_NS_24const_host_device_scalarIT2_EEPKiS6_PKS3_S8_S4_PS3_21rocsparse_index_base_b
                                        ; -- End function
	.section	.AMDGPU.csdata,"",@progbits
; Kernel info:
; codeLenInByte = 1392
; NumSgprs: 24
; NumVgprs: 62
; NumAgprs: 0
; TotalNumVgprs: 62
; ScratchSize: 0
; MemoryBound: 0
; FloatMode: 240
; IeeeMode: 1
; LDSByteSize: 0 bytes/workgroup (compile time only)
; SGPRBlocks: 2
; VGPRBlocks: 7
; NumSGPRsForWavesPerEU: 24
; NumVGPRsForWavesPerEU: 62
; AccumOffset: 64
; Occupancy: 8
; WaveLimiterHint : 1
; COMPUTE_PGM_RSRC2:SCRATCH_EN: 0
; COMPUTE_PGM_RSRC2:USER_SGPR: 2
; COMPUTE_PGM_RSRC2:TRAP_HANDLER: 0
; COMPUTE_PGM_RSRC2:TGID_X_EN: 1
; COMPUTE_PGM_RSRC2:TGID_Y_EN: 0
; COMPUTE_PGM_RSRC2:TGID_Z_EN: 0
; COMPUTE_PGM_RSRC2:TIDIG_COMP_CNT: 0
; COMPUTE_PGM_RSRC3_GFX90A:ACCUM_OFFSET: 15
; COMPUTE_PGM_RSRC3_GFX90A:TG_SPLIT: 0
	.section	.text._ZN9rocsparseL19gebsrmvn_3xn_kernelILj128ELj4ELj8EdEEvi20rocsparse_direction_NS_24const_host_device_scalarIT2_EEPKiS6_PKS3_S8_S4_PS3_21rocsparse_index_base_b,"axG",@progbits,_ZN9rocsparseL19gebsrmvn_3xn_kernelILj128ELj4ELj8EdEEvi20rocsparse_direction_NS_24const_host_device_scalarIT2_EEPKiS6_PKS3_S8_S4_PS3_21rocsparse_index_base_b,comdat
	.globl	_ZN9rocsparseL19gebsrmvn_3xn_kernelILj128ELj4ELj8EdEEvi20rocsparse_direction_NS_24const_host_device_scalarIT2_EEPKiS6_PKS3_S8_S4_PS3_21rocsparse_index_base_b ; -- Begin function _ZN9rocsparseL19gebsrmvn_3xn_kernelILj128ELj4ELj8EdEEvi20rocsparse_direction_NS_24const_host_device_scalarIT2_EEPKiS6_PKS3_S8_S4_PS3_21rocsparse_index_base_b
	.p2align	8
	.type	_ZN9rocsparseL19gebsrmvn_3xn_kernelILj128ELj4ELj8EdEEvi20rocsparse_direction_NS_24const_host_device_scalarIT2_EEPKiS6_PKS3_S8_S4_PS3_21rocsparse_index_base_b,@function
_ZN9rocsparseL19gebsrmvn_3xn_kernelILj128ELj4ELj8EdEEvi20rocsparse_direction_NS_24const_host_device_scalarIT2_EEPKiS6_PKS3_S8_S4_PS3_21rocsparse_index_base_b: ; @_ZN9rocsparseL19gebsrmvn_3xn_kernelILj128ELj4ELj8EdEEvi20rocsparse_direction_NS_24const_host_device_scalarIT2_EEPKiS6_PKS3_S8_S4_PS3_21rocsparse_index_base_b
; %bb.0:
	s_load_dwordx2 s[12:13], s[0:1], 0x40
	s_load_dwordx2 s[8:9], s[0:1], 0x8
	;; [unrolled: 1-line block ×3, first 2 shown]
	s_waitcnt lgkmcnt(0)
	s_bitcmp1_b32 s13, 0
	s_cselect_b64 s[10:11], -1, 0
	s_xor_b64 s[6:7], s[10:11], -1
	s_and_b64 vcc, exec, s[10:11]
	v_mov_b64_e32 v[2:3], s[8:9]
	s_cbranch_vccnz .LBB48_2
; %bb.1:
	v_mov_b64_e32 v[2:3], s[8:9]
	flat_load_dwordx2 v[2:3], v[2:3]
.LBB48_2:
	s_andn2_b64 vcc, exec, s[6:7]
	v_mov_b64_e32 v[4:5], s[4:5]
	s_cbranch_vccnz .LBB48_4
; %bb.3:
	v_mov_b64_e32 v[4:5], s[4:5]
	flat_load_dwordx2 v[4:5], v[4:5]
.LBB48_4:
	s_waitcnt vmcnt(0) lgkmcnt(0)
	v_cmp_neq_f64_e32 vcc, 0, v[2:3]
	v_cmp_neq_f64_e64 s[4:5], 1.0, v[4:5]
	s_or_b64 s[4:5], vcc, s[4:5]
	s_and_saveexec_b64 s[6:7], s[4:5]
	s_cbranch_execz .LBB48_23
; %bb.5:
	s_load_dwordx2 s[14:15], s[0:1], 0x0
	v_lshrrev_b32_e32 v1, 3, v0
	v_lshl_or_b32 v6, s2, 4, v1
	s_waitcnt lgkmcnt(0)
	v_cmp_gt_i32_e32 vcc, s14, v6
	s_and_b64 exec, exec, vcc
	s_cbranch_execz .LBB48_23
; %bb.6:
	s_load_dwordx8 s[4:11], s[0:1], 0x10
	v_ashrrev_i32_e32 v7, 31, v6
	s_cmp_lg_u32 s15, 0
	s_waitcnt lgkmcnt(0)
	v_lshl_add_u64 v[8:9], v[6:7], 2, s[4:5]
	global_load_dwordx2 v[8:9], v[8:9], off
	v_and_b32_e32 v7, 7, v0
	s_waitcnt vmcnt(0)
	v_subrev_u32_e32 v0, s12, v8
	v_subrev_u32_e32 v20, s12, v9
	v_add_u32_e32 v10, v0, v7
	v_cmp_lt_i32_e64 s[2:3], v10, v20
	s_cbranch_scc0 .LBB48_12
; %bb.7:
	v_mov_b64_e32 v[8:9], 0
	s_mov_b64 s[4:5], 0
	v_mov_b64_e32 v[0:1], v[8:9]
	v_mov_b64_e32 v[12:13], v[8:9]
	s_and_saveexec_b64 s[14:15], s[2:3]
	s_cbranch_execz .LBB48_11
; %bb.8:
	v_mad_u64_u32 v[14:15], s[16:17], v10, 12, 11
	v_mov_b64_e32 v[8:9], 0
	s_mov_b64 s[16:17], 0
	v_mov_b32_e32 v17, 0
	v_mov_b32_e32 v18, v10
	v_mov_b64_e32 v[0:1], v[8:9]
	v_mov_b64_e32 v[12:13], v[8:9]
.LBB48_9:                               ; =>This Inner Loop Header: Depth=1
	v_ashrrev_i32_e32 v19, 31, v18
	v_lshl_add_u64 v[22:23], v[18:19], 2, s[6:7]
	global_load_dword v11, v[22:23], off
	v_add_u32_e32 v16, -11, v14
	v_lshl_add_u64 v[32:33], v[16:17], 3, s[8:9]
	v_add_u32_e32 v16, -7, v14
	global_load_dwordx4 v[22:25], v[32:33], off offset:16
	global_load_dwordx4 v[26:29], v[32:33], off
	v_lshl_add_u64 v[32:33], v[16:17], 3, s[8:9]
	v_add_u32_e32 v16, -6, v14
	v_lshl_add_u64 v[34:35], v[16:17], 3, s[8:9]
	v_add_u32_e32 v16, -5, v14
	global_load_dwordx2 v[40:41], v[32:33], off
	global_load_dwordx2 v[42:43], v[34:35], off
	v_lshl_add_u64 v[32:33], v[16:17], 3, s[8:9]
	v_add_u32_e32 v16, -4, v14
	v_lshl_add_u64 v[34:35], v[16:17], 3, s[8:9]
	v_add_u32_e32 v16, -3, v14
	v_mov_b32_e32 v31, v17
	global_load_dwordx2 v[44:45], v[32:33], off
	global_load_dwordx2 v[46:47], v[34:35], off
	v_lshl_add_u64 v[32:33], v[16:17], 3, s[8:9]
	v_add_u32_e32 v16, -2, v14
	v_mov_b32_e32 v15, v17
	global_load_dwordx2 v[48:49], v[32:33], off
	v_lshl_add_u64 v[50:51], v[16:17], 3, s[8:9]
	v_add_u32_e32 v16, -1, v14
	v_lshl_add_u64 v[38:39], v[14:15], 3, s[8:9]
	v_lshl_add_u64 v[52:53], v[16:17], 3, s[8:9]
	v_add_u32_e32 v18, 8, v18
	v_cmp_ge_i32_e32 vcc, v18, v20
	s_or_b64 s[16:17], vcc, s[16:17]
	v_add_u32_e32 v14, 0x60, v14
	s_waitcnt vmcnt(7)
	v_subrev_u32_e32 v11, s12, v11
	v_lshlrev_b32_e32 v30, 2, v11
	v_lshl_add_u64 v[54:55], v[30:31], 3, s[10:11]
	global_load_dwordx4 v[30:33], v[54:55], off
	global_load_dwordx4 v[34:37], v[54:55], off offset:16
	global_load_dwordx2 v[56:57], v[50:51], off
	global_load_dwordx2 v[58:59], v[52:53], off
	;; [unrolled: 1-line block ×3, first 2 shown]
	s_waitcnt vmcnt(4)
	v_fmac_f64_e32 v[8:9], v[26:27], v[30:31]
	v_fmac_f64_e32 v[12:13], v[28:29], v[30:31]
	;; [unrolled: 1-line block ×6, first 2 shown]
	s_waitcnt vmcnt(3)
	v_fmac_f64_e32 v[8:9], v[44:45], v[34:35]
	v_fmac_f64_e32 v[12:13], v[46:47], v[34:35]
	v_fmac_f64_e32 v[0:1], v[48:49], v[34:35]
	s_waitcnt vmcnt(2)
	v_fmac_f64_e32 v[8:9], v[56:57], v[36:37]
	s_waitcnt vmcnt(1)
	v_fmac_f64_e32 v[12:13], v[58:59], v[36:37]
	;; [unrolled: 2-line block ×3, first 2 shown]
	s_andn2_b64 exec, exec, s[16:17]
	s_cbranch_execnz .LBB48_9
; %bb.10:
	s_or_b64 exec, exec, s[16:17]
.LBB48_11:
	s_or_b64 exec, exec, s[14:15]
	s_andn2_b64 vcc, exec, s[4:5]
	s_cbranch_vccz .LBB48_13
	s_branch .LBB48_18
.LBB48_12:
                                        ; implicit-def: $vgpr8_vgpr9
                                        ; implicit-def: $vgpr0_vgpr1
                                        ; implicit-def: $vgpr12_vgpr13
.LBB48_13:
	v_mov_b64_e32 v[8:9], 0
	v_mov_b64_e32 v[0:1], v[8:9]
	;; [unrolled: 1-line block ×3, first 2 shown]
	s_and_saveexec_b64 s[4:5], s[2:3]
	s_cbranch_execz .LBB48_17
; %bb.14:
	v_mad_u64_u32 v[14:15], s[2:3], v10, 12, 11
	v_mov_b64_e32 v[8:9], 0
	s_mov_b64 s[2:3], 0
	v_mov_b32_e32 v17, 0
	v_mov_b64_e32 v[0:1], v[8:9]
	v_mov_b64_e32 v[12:13], v[8:9]
.LBB48_15:                              ; =>This Inner Loop Header: Depth=1
	v_ashrrev_i32_e32 v11, 31, v10
	v_lshl_add_u64 v[18:19], v[10:11], 2, s[6:7]
	global_load_dword v11, v[18:19], off
	v_add_u32_e32 v16, -11, v14
	v_add_u32_e32 v18, -7, v14
	;; [unrolled: 1-line block ×3, first 2 shown]
	v_mov_b32_e32 v19, v17
	v_mov_b32_e32 v23, v17
	v_lshl_add_u64 v[32:33], v[16:17], 3, s[8:9]
	v_add_u32_e32 v16, -6, v14
	v_lshl_add_u64 v[18:19], v[18:19], 3, s[8:9]
	v_lshl_add_u64 v[34:35], v[22:23], 3, s[8:9]
	global_load_dwordx4 v[22:25], v[32:33], off offset:16
	global_load_dwordx4 v[26:29], v[32:33], off
	v_lshl_add_u64 v[32:33], v[16:17], 3, s[8:9]
	v_add_u32_e32 v16, -2, v14
	global_load_dwordx2 v[40:41], v[18:19], off
	global_load_dwordx2 v[42:43], v[34:35], off
	v_lshl_add_u64 v[18:19], v[16:17], 3, s[8:9]
	v_add_u32_e32 v16, -5, v14
	v_mov_b32_e32 v31, v17
	global_load_dwordx2 v[44:45], v[32:33], off
	global_load_dwordx2 v[46:47], v[18:19], off
	v_lshl_add_u64 v[18:19], v[16:17], 3, s[8:9]
	v_add_u32_e32 v16, -1, v14
	v_lshl_add_u64 v[32:33], v[16:17], 3, s[8:9]
	global_load_dwordx2 v[48:49], v[18:19], off
	global_load_dwordx2 v[50:51], v[32:33], off
	v_add_u32_e32 v16, -4, v14
	v_mov_b32_e32 v15, v17
	v_lshl_add_u64 v[38:39], v[14:15], 3, s[8:9]
	v_add_u32_e32 v10, 8, v10
	v_cmp_ge_i32_e32 vcc, v10, v20
	s_or_b64 s[2:3], vcc, s[2:3]
	v_add_u32_e32 v14, 0x60, v14
	s_waitcnt vmcnt(8)
	v_subrev_u32_e32 v11, s12, v11
	v_lshlrev_b32_e32 v30, 2, v11
	v_lshl_add_u64 v[18:19], v[30:31], 3, s[10:11]
	global_load_dwordx4 v[30:33], v[18:19], off
	global_load_dwordx4 v[34:37], v[18:19], off offset:16
	v_lshl_add_u64 v[18:19], v[16:17], 3, s[8:9]
	global_load_dwordx2 v[52:53], v[18:19], off
	global_load_dwordx2 v[54:55], v[38:39], off
	s_waitcnt vmcnt(3)
	v_fmac_f64_e32 v[8:9], v[26:27], v[30:31]
	v_fmac_f64_e32 v[12:13], v[40:41], v[30:31]
	;; [unrolled: 1-line block ×6, first 2 shown]
	s_waitcnt vmcnt(2)
	v_fmac_f64_e32 v[8:9], v[22:23], v[34:35]
	v_fmac_f64_e32 v[12:13], v[48:49], v[34:35]
	;; [unrolled: 1-line block ×4, first 2 shown]
	s_waitcnt vmcnt(1)
	v_fmac_f64_e32 v[12:13], v[52:53], v[36:37]
	s_waitcnt vmcnt(0)
	v_fmac_f64_e32 v[0:1], v[54:55], v[36:37]
	s_andn2_b64 exec, exec, s[2:3]
	s_cbranch_execnz .LBB48_15
; %bb.16:
	s_or_b64 exec, exec, s[2:3]
.LBB48_17:
	s_or_b64 exec, exec, s[4:5]
.LBB48_18:
	v_mov_b32_dpp v10, v8 row_shr:1 row_mask:0xf bank_mask:0xf
	v_mov_b32_dpp v11, v9 row_shr:1 row_mask:0xf bank_mask:0xf
	;; [unrolled: 1-line block ×6, first 2 shown]
	v_add_f64 v[8:9], v[8:9], v[10:11]
	v_add_f64 v[12:13], v[12:13], v[14:15]
	;; [unrolled: 1-line block ×3, first 2 shown]
	v_mov_b32_dpp v10, v8 row_shr:2 row_mask:0xf bank_mask:0xf
	v_mov_b32_dpp v11, v9 row_shr:2 row_mask:0xf bank_mask:0xf
	;; [unrolled: 1-line block ×6, first 2 shown]
	v_add_f64 v[8:9], v[8:9], v[10:11]
	v_add_f64 v[12:13], v[12:13], v[14:15]
	;; [unrolled: 1-line block ×3, first 2 shown]
	v_mov_b32_dpp v10, v8 row_shr:4 row_mask:0xf bank_mask:0xe
	v_mov_b32_dpp v11, v9 row_shr:4 row_mask:0xf bank_mask:0xe
	;; [unrolled: 1-line block ×6, first 2 shown]
	v_cmp_eq_u32_e32 vcc, 7, v7
	s_and_b64 exec, exec, vcc
	s_cbranch_execz .LBB48_23
; %bb.19:
	s_load_dwordx2 s[0:1], s[0:1], 0x38
	v_add_f64 v[10:11], v[8:9], v[10:11]
	v_add_f64 v[8:9], v[12:13], v[14:15]
	;; [unrolled: 1-line block ×3, first 2 shown]
	v_cmp_eq_f64_e32 vcc, 0, v[4:5]
	s_and_saveexec_b64 s[2:3], vcc
	s_xor_b64 s[2:3], exec, s[2:3]
	s_cbranch_execz .LBB48_21
; %bb.20:
	v_lshl_add_u32 v6, v6, 1, v6
	v_ashrrev_i32_e32 v7, 31, v6
	v_mul_f64 v[4:5], v[2:3], v[10:11]
	s_waitcnt lgkmcnt(0)
	v_lshl_add_u64 v[10:11], v[6:7], 3, s[0:1]
	v_mul_f64 v[6:7], v[2:3], v[8:9]
	v_mul_f64 v[0:1], v[2:3], v[0:1]
	global_store_dwordx4 v[10:11], v[4:7], off
	global_store_dwordx2 v[10:11], v[0:1], off offset:16
                                        ; implicit-def: $vgpr6
                                        ; implicit-def: $vgpr2_vgpr3
                                        ; implicit-def: $vgpr10_vgpr11
                                        ; implicit-def: $vgpr4_vgpr5
                                        ; implicit-def: $vgpr8_vgpr9
                                        ; implicit-def: $vgpr0_vgpr1
.LBB48_21:
	s_andn2_saveexec_b64 s[2:3], s[2:3]
	s_cbranch_execz .LBB48_23
; %bb.22:
	v_lshl_add_u32 v6, v6, 1, v6
	v_ashrrev_i32_e32 v7, 31, v6
	s_waitcnt lgkmcnt(0)
	v_lshl_add_u64 v[16:17], v[6:7], 3, s[0:1]
	global_load_dwordx4 v[12:15], v[16:17], off
	global_load_dwordx2 v[18:19], v[16:17], off offset:16
	v_mul_f64 v[6:7], v[2:3], v[10:11]
	v_mul_f64 v[8:9], v[2:3], v[8:9]
	;; [unrolled: 1-line block ×3, first 2 shown]
	s_waitcnt vmcnt(1)
	v_fmac_f64_e32 v[6:7], v[4:5], v[12:13]
	v_fmac_f64_e32 v[8:9], v[4:5], v[14:15]
	s_waitcnt vmcnt(0)
	v_fmac_f64_e32 v[0:1], v[4:5], v[18:19]
	global_store_dwordx4 v[16:17], v[6:9], off
	global_store_dwordx2 v[16:17], v[0:1], off offset:16
.LBB48_23:
	s_endpgm
	.section	.rodata,"a",@progbits
	.p2align	6, 0x0
	.amdhsa_kernel _ZN9rocsparseL19gebsrmvn_3xn_kernelILj128ELj4ELj8EdEEvi20rocsparse_direction_NS_24const_host_device_scalarIT2_EEPKiS6_PKS3_S8_S4_PS3_21rocsparse_index_base_b
		.amdhsa_group_segment_fixed_size 0
		.amdhsa_private_segment_fixed_size 0
		.amdhsa_kernarg_size 72
		.amdhsa_user_sgpr_count 2
		.amdhsa_user_sgpr_dispatch_ptr 0
		.amdhsa_user_sgpr_queue_ptr 0
		.amdhsa_user_sgpr_kernarg_segment_ptr 1
		.amdhsa_user_sgpr_dispatch_id 0
		.amdhsa_user_sgpr_kernarg_preload_length 0
		.amdhsa_user_sgpr_kernarg_preload_offset 0
		.amdhsa_user_sgpr_private_segment_size 0
		.amdhsa_uses_dynamic_stack 0
		.amdhsa_enable_private_segment 0
		.amdhsa_system_sgpr_workgroup_id_x 1
		.amdhsa_system_sgpr_workgroup_id_y 0
		.amdhsa_system_sgpr_workgroup_id_z 0
		.amdhsa_system_sgpr_workgroup_info 0
		.amdhsa_system_vgpr_workitem_id 0
		.amdhsa_next_free_vgpr 62
		.amdhsa_next_free_sgpr 18
		.amdhsa_accum_offset 64
		.amdhsa_reserve_vcc 1
		.amdhsa_float_round_mode_32 0
		.amdhsa_float_round_mode_16_64 0
		.amdhsa_float_denorm_mode_32 3
		.amdhsa_float_denorm_mode_16_64 3
		.amdhsa_dx10_clamp 1
		.amdhsa_ieee_mode 1
		.amdhsa_fp16_overflow 0
		.amdhsa_tg_split 0
		.amdhsa_exception_fp_ieee_invalid_op 0
		.amdhsa_exception_fp_denorm_src 0
		.amdhsa_exception_fp_ieee_div_zero 0
		.amdhsa_exception_fp_ieee_overflow 0
		.amdhsa_exception_fp_ieee_underflow 0
		.amdhsa_exception_fp_ieee_inexact 0
		.amdhsa_exception_int_div_zero 0
	.end_amdhsa_kernel
	.section	.text._ZN9rocsparseL19gebsrmvn_3xn_kernelILj128ELj4ELj8EdEEvi20rocsparse_direction_NS_24const_host_device_scalarIT2_EEPKiS6_PKS3_S8_S4_PS3_21rocsparse_index_base_b,"axG",@progbits,_ZN9rocsparseL19gebsrmvn_3xn_kernelILj128ELj4ELj8EdEEvi20rocsparse_direction_NS_24const_host_device_scalarIT2_EEPKiS6_PKS3_S8_S4_PS3_21rocsparse_index_base_b,comdat
.Lfunc_end48:
	.size	_ZN9rocsparseL19gebsrmvn_3xn_kernelILj128ELj4ELj8EdEEvi20rocsparse_direction_NS_24const_host_device_scalarIT2_EEPKiS6_PKS3_S8_S4_PS3_21rocsparse_index_base_b, .Lfunc_end48-_ZN9rocsparseL19gebsrmvn_3xn_kernelILj128ELj4ELj8EdEEvi20rocsparse_direction_NS_24const_host_device_scalarIT2_EEPKiS6_PKS3_S8_S4_PS3_21rocsparse_index_base_b
                                        ; -- End function
	.section	.AMDGPU.csdata,"",@progbits
; Kernel info:
; codeLenInByte = 1472
; NumSgprs: 24
; NumVgprs: 62
; NumAgprs: 0
; TotalNumVgprs: 62
; ScratchSize: 0
; MemoryBound: 0
; FloatMode: 240
; IeeeMode: 1
; LDSByteSize: 0 bytes/workgroup (compile time only)
; SGPRBlocks: 2
; VGPRBlocks: 7
; NumSGPRsForWavesPerEU: 24
; NumVGPRsForWavesPerEU: 62
; AccumOffset: 64
; Occupancy: 8
; WaveLimiterHint : 1
; COMPUTE_PGM_RSRC2:SCRATCH_EN: 0
; COMPUTE_PGM_RSRC2:USER_SGPR: 2
; COMPUTE_PGM_RSRC2:TRAP_HANDLER: 0
; COMPUTE_PGM_RSRC2:TGID_X_EN: 1
; COMPUTE_PGM_RSRC2:TGID_Y_EN: 0
; COMPUTE_PGM_RSRC2:TGID_Z_EN: 0
; COMPUTE_PGM_RSRC2:TIDIG_COMP_CNT: 0
; COMPUTE_PGM_RSRC3_GFX90A:ACCUM_OFFSET: 15
; COMPUTE_PGM_RSRC3_GFX90A:TG_SPLIT: 0
	.section	.text._ZN9rocsparseL19gebsrmvn_3xn_kernelILj128ELj4ELj16EdEEvi20rocsparse_direction_NS_24const_host_device_scalarIT2_EEPKiS6_PKS3_S8_S4_PS3_21rocsparse_index_base_b,"axG",@progbits,_ZN9rocsparseL19gebsrmvn_3xn_kernelILj128ELj4ELj16EdEEvi20rocsparse_direction_NS_24const_host_device_scalarIT2_EEPKiS6_PKS3_S8_S4_PS3_21rocsparse_index_base_b,comdat
	.globl	_ZN9rocsparseL19gebsrmvn_3xn_kernelILj128ELj4ELj16EdEEvi20rocsparse_direction_NS_24const_host_device_scalarIT2_EEPKiS6_PKS3_S8_S4_PS3_21rocsparse_index_base_b ; -- Begin function _ZN9rocsparseL19gebsrmvn_3xn_kernelILj128ELj4ELj16EdEEvi20rocsparse_direction_NS_24const_host_device_scalarIT2_EEPKiS6_PKS3_S8_S4_PS3_21rocsparse_index_base_b
	.p2align	8
	.type	_ZN9rocsparseL19gebsrmvn_3xn_kernelILj128ELj4ELj16EdEEvi20rocsparse_direction_NS_24const_host_device_scalarIT2_EEPKiS6_PKS3_S8_S4_PS3_21rocsparse_index_base_b,@function
_ZN9rocsparseL19gebsrmvn_3xn_kernelILj128ELj4ELj16EdEEvi20rocsparse_direction_NS_24const_host_device_scalarIT2_EEPKiS6_PKS3_S8_S4_PS3_21rocsparse_index_base_b: ; @_ZN9rocsparseL19gebsrmvn_3xn_kernelILj128ELj4ELj16EdEEvi20rocsparse_direction_NS_24const_host_device_scalarIT2_EEPKiS6_PKS3_S8_S4_PS3_21rocsparse_index_base_b
; %bb.0:
	s_load_dwordx2 s[12:13], s[0:1], 0x40
	s_load_dwordx2 s[8:9], s[0:1], 0x8
	;; [unrolled: 1-line block ×3, first 2 shown]
	s_waitcnt lgkmcnt(0)
	s_bitcmp1_b32 s13, 0
	s_cselect_b64 s[10:11], -1, 0
	s_xor_b64 s[6:7], s[10:11], -1
	s_and_b64 vcc, exec, s[10:11]
	v_mov_b64_e32 v[2:3], s[8:9]
	s_cbranch_vccnz .LBB49_2
; %bb.1:
	v_mov_b64_e32 v[2:3], s[8:9]
	flat_load_dwordx2 v[2:3], v[2:3]
.LBB49_2:
	s_andn2_b64 vcc, exec, s[6:7]
	v_mov_b64_e32 v[4:5], s[4:5]
	s_cbranch_vccnz .LBB49_4
; %bb.3:
	v_mov_b64_e32 v[4:5], s[4:5]
	flat_load_dwordx2 v[4:5], v[4:5]
.LBB49_4:
	s_waitcnt vmcnt(0) lgkmcnt(0)
	v_cmp_neq_f64_e32 vcc, 0, v[2:3]
	v_cmp_neq_f64_e64 s[4:5], 1.0, v[4:5]
	s_or_b64 s[4:5], vcc, s[4:5]
	s_and_saveexec_b64 s[6:7], s[4:5]
	s_cbranch_execz .LBB49_23
; %bb.5:
	s_load_dwordx2 s[14:15], s[0:1], 0x0
	v_lshrrev_b32_e32 v1, 4, v0
	v_lshl_or_b32 v6, s2, 3, v1
	s_waitcnt lgkmcnt(0)
	v_cmp_gt_i32_e32 vcc, s14, v6
	s_and_b64 exec, exec, vcc
	s_cbranch_execz .LBB49_23
; %bb.6:
	s_load_dwordx8 s[4:11], s[0:1], 0x10
	v_ashrrev_i32_e32 v7, 31, v6
	s_cmp_lg_u32 s15, 0
	s_waitcnt lgkmcnt(0)
	v_lshl_add_u64 v[8:9], v[6:7], 2, s[4:5]
	global_load_dwordx2 v[8:9], v[8:9], off
	v_and_b32_e32 v7, 15, v0
	s_waitcnt vmcnt(0)
	v_subrev_u32_e32 v0, s12, v8
	v_subrev_u32_e32 v20, s12, v9
	v_add_u32_e32 v12, v0, v7
	v_cmp_lt_i32_e64 s[2:3], v12, v20
	s_cbranch_scc0 .LBB49_12
; %bb.7:
	v_mov_b64_e32 v[8:9], 0
	s_mov_b64 s[4:5], 0
	v_mov_b64_e32 v[0:1], v[8:9]
	v_mov_b64_e32 v[10:11], v[8:9]
	s_and_saveexec_b64 s[14:15], s[2:3]
	s_cbranch_execz .LBB49_11
; %bb.8:
	v_mad_u64_u32 v[14:15], s[16:17], v12, 12, 11
	v_mov_b64_e32 v[8:9], 0
	s_mov_b64 s[16:17], 0
	v_mov_b32_e32 v17, 0
	v_mov_b32_e32 v18, v12
	v_mov_b64_e32 v[0:1], v[8:9]
	v_mov_b64_e32 v[10:11], v[8:9]
.LBB49_9:                               ; =>This Inner Loop Header: Depth=1
	v_ashrrev_i32_e32 v19, 31, v18
	v_lshl_add_u64 v[22:23], v[18:19], 2, s[6:7]
	global_load_dword v13, v[22:23], off
	v_add_u32_e32 v16, -11, v14
	v_lshl_add_u64 v[32:33], v[16:17], 3, s[8:9]
	v_add_u32_e32 v16, -7, v14
	global_load_dwordx4 v[22:25], v[32:33], off offset:16
	global_load_dwordx4 v[26:29], v[32:33], off
	v_lshl_add_u64 v[32:33], v[16:17], 3, s[8:9]
	v_add_u32_e32 v16, -6, v14
	v_lshl_add_u64 v[34:35], v[16:17], 3, s[8:9]
	v_add_u32_e32 v16, -5, v14
	global_load_dwordx2 v[40:41], v[32:33], off
	global_load_dwordx2 v[42:43], v[34:35], off
	v_lshl_add_u64 v[32:33], v[16:17], 3, s[8:9]
	v_add_u32_e32 v16, -4, v14
	v_lshl_add_u64 v[34:35], v[16:17], 3, s[8:9]
	v_add_u32_e32 v16, -3, v14
	v_mov_b32_e32 v31, v17
	global_load_dwordx2 v[44:45], v[32:33], off
	global_load_dwordx2 v[46:47], v[34:35], off
	v_lshl_add_u64 v[32:33], v[16:17], 3, s[8:9]
	v_add_u32_e32 v16, -2, v14
	v_mov_b32_e32 v15, v17
	global_load_dwordx2 v[48:49], v[32:33], off
	v_lshl_add_u64 v[50:51], v[16:17], 3, s[8:9]
	v_add_u32_e32 v16, -1, v14
	v_lshl_add_u64 v[38:39], v[14:15], 3, s[8:9]
	v_lshl_add_u64 v[52:53], v[16:17], 3, s[8:9]
	v_add_u32_e32 v18, 16, v18
	v_cmp_ge_i32_e32 vcc, v18, v20
	s_or_b64 s[16:17], vcc, s[16:17]
	v_add_u32_e32 v14, 0xc0, v14
	s_waitcnt vmcnt(7)
	v_subrev_u32_e32 v13, s12, v13
	v_lshlrev_b32_e32 v30, 2, v13
	v_lshl_add_u64 v[54:55], v[30:31], 3, s[10:11]
	global_load_dwordx4 v[30:33], v[54:55], off
	global_load_dwordx4 v[34:37], v[54:55], off offset:16
	global_load_dwordx2 v[56:57], v[50:51], off
	global_load_dwordx2 v[58:59], v[52:53], off
	;; [unrolled: 1-line block ×3, first 2 shown]
	s_waitcnt vmcnt(4)
	v_fmac_f64_e32 v[8:9], v[26:27], v[30:31]
	v_fmac_f64_e32 v[10:11], v[28:29], v[30:31]
	;; [unrolled: 1-line block ×6, first 2 shown]
	s_waitcnt vmcnt(3)
	v_fmac_f64_e32 v[8:9], v[44:45], v[34:35]
	v_fmac_f64_e32 v[10:11], v[46:47], v[34:35]
	;; [unrolled: 1-line block ×3, first 2 shown]
	s_waitcnt vmcnt(2)
	v_fmac_f64_e32 v[8:9], v[56:57], v[36:37]
	s_waitcnt vmcnt(1)
	v_fmac_f64_e32 v[10:11], v[58:59], v[36:37]
	;; [unrolled: 2-line block ×3, first 2 shown]
	s_andn2_b64 exec, exec, s[16:17]
	s_cbranch_execnz .LBB49_9
; %bb.10:
	s_or_b64 exec, exec, s[16:17]
.LBB49_11:
	s_or_b64 exec, exec, s[14:15]
	s_andn2_b64 vcc, exec, s[4:5]
	s_cbranch_vccz .LBB49_13
	s_branch .LBB49_18
.LBB49_12:
                                        ; implicit-def: $vgpr8_vgpr9
                                        ; implicit-def: $vgpr0_vgpr1
                                        ; implicit-def: $vgpr10_vgpr11
.LBB49_13:
	v_mov_b64_e32 v[8:9], 0
	v_mov_b64_e32 v[0:1], v[8:9]
	;; [unrolled: 1-line block ×3, first 2 shown]
	s_and_saveexec_b64 s[4:5], s[2:3]
	s_cbranch_execz .LBB49_17
; %bb.14:
	v_mad_u64_u32 v[14:15], s[2:3], v12, 12, 11
	v_mov_b64_e32 v[8:9], 0
	s_mov_b64 s[2:3], 0
	v_mov_b32_e32 v17, 0
	v_mov_b64_e32 v[0:1], v[8:9]
	v_mov_b64_e32 v[10:11], v[8:9]
.LBB49_15:                              ; =>This Inner Loop Header: Depth=1
	v_ashrrev_i32_e32 v13, 31, v12
	v_lshl_add_u64 v[18:19], v[12:13], 2, s[6:7]
	global_load_dword v13, v[18:19], off
	v_add_u32_e32 v16, -11, v14
	v_add_u32_e32 v18, -7, v14
	;; [unrolled: 1-line block ×3, first 2 shown]
	v_mov_b32_e32 v19, v17
	v_mov_b32_e32 v23, v17
	v_lshl_add_u64 v[32:33], v[16:17], 3, s[8:9]
	v_add_u32_e32 v16, -6, v14
	v_lshl_add_u64 v[18:19], v[18:19], 3, s[8:9]
	v_lshl_add_u64 v[34:35], v[22:23], 3, s[8:9]
	global_load_dwordx4 v[22:25], v[32:33], off offset:16
	global_load_dwordx4 v[26:29], v[32:33], off
	v_lshl_add_u64 v[32:33], v[16:17], 3, s[8:9]
	v_add_u32_e32 v16, -2, v14
	global_load_dwordx2 v[40:41], v[18:19], off
	global_load_dwordx2 v[42:43], v[34:35], off
	v_lshl_add_u64 v[18:19], v[16:17], 3, s[8:9]
	v_add_u32_e32 v16, -5, v14
	v_mov_b32_e32 v31, v17
	global_load_dwordx2 v[44:45], v[32:33], off
	global_load_dwordx2 v[46:47], v[18:19], off
	v_lshl_add_u64 v[18:19], v[16:17], 3, s[8:9]
	v_add_u32_e32 v16, -1, v14
	v_lshl_add_u64 v[32:33], v[16:17], 3, s[8:9]
	global_load_dwordx2 v[48:49], v[18:19], off
	global_load_dwordx2 v[50:51], v[32:33], off
	v_add_u32_e32 v16, -4, v14
	v_mov_b32_e32 v15, v17
	v_lshl_add_u64 v[38:39], v[14:15], 3, s[8:9]
	v_add_u32_e32 v12, 16, v12
	v_cmp_ge_i32_e32 vcc, v12, v20
	s_or_b64 s[2:3], vcc, s[2:3]
	v_add_u32_e32 v14, 0xc0, v14
	s_waitcnt vmcnt(8)
	v_subrev_u32_e32 v13, s12, v13
	v_lshlrev_b32_e32 v30, 2, v13
	v_lshl_add_u64 v[18:19], v[30:31], 3, s[10:11]
	global_load_dwordx4 v[30:33], v[18:19], off
	global_load_dwordx4 v[34:37], v[18:19], off offset:16
	v_lshl_add_u64 v[18:19], v[16:17], 3, s[8:9]
	global_load_dwordx2 v[52:53], v[18:19], off
	global_load_dwordx2 v[54:55], v[38:39], off
	s_waitcnt vmcnt(3)
	v_fmac_f64_e32 v[8:9], v[26:27], v[30:31]
	v_fmac_f64_e32 v[10:11], v[40:41], v[30:31]
	;; [unrolled: 1-line block ×6, first 2 shown]
	s_waitcnt vmcnt(2)
	v_fmac_f64_e32 v[8:9], v[22:23], v[34:35]
	v_fmac_f64_e32 v[10:11], v[48:49], v[34:35]
	;; [unrolled: 1-line block ×4, first 2 shown]
	s_waitcnt vmcnt(1)
	v_fmac_f64_e32 v[10:11], v[52:53], v[36:37]
	s_waitcnt vmcnt(0)
	v_fmac_f64_e32 v[0:1], v[54:55], v[36:37]
	s_andn2_b64 exec, exec, s[2:3]
	s_cbranch_execnz .LBB49_15
; %bb.16:
	s_or_b64 exec, exec, s[2:3]
.LBB49_17:
	s_or_b64 exec, exec, s[4:5]
.LBB49_18:
	v_mov_b32_dpp v14, v10 row_shr:1 row_mask:0xf bank_mask:0xf
	v_mov_b32_dpp v15, v11 row_shr:1 row_mask:0xf bank_mask:0xf
	v_add_f64 v[10:11], v[10:11], v[14:15]
	v_mov_b32_dpp v12, v8 row_shr:1 row_mask:0xf bank_mask:0xf
	v_mov_b32_dpp v13, v9 row_shr:1 row_mask:0xf bank_mask:0xf
	;; [unrolled: 1-line block ×4, first 2 shown]
	v_add_f64 v[10:11], v[10:11], v[14:15]
	v_add_f64 v[8:9], v[8:9], v[12:13]
	v_cmp_eq_u32_e32 vcc, 15, v7
	v_mov_b32_dpp v14, v10 row_shr:4 row_mask:0xf bank_mask:0xe
	v_mov_b32_dpp v15, v11 row_shr:4 row_mask:0xf bank_mask:0xe
	v_add_f64 v[14:15], v[10:11], v[14:15]
	v_mov_b32_dpp v10, v0 row_shr:1 row_mask:0xf bank_mask:0xf
	v_mov_b32_dpp v11, v1 row_shr:1 row_mask:0xf bank_mask:0xf
	v_add_f64 v[0:1], v[0:1], v[10:11]
	v_mov_b32_dpp v12, v8 row_shr:2 row_mask:0xf bank_mask:0xf
	v_mov_b32_dpp v13, v9 row_shr:2 row_mask:0xf bank_mask:0xf
	;; [unrolled: 1-line block ×4, first 2 shown]
	v_add_f64 v[8:9], v[8:9], v[12:13]
	v_add_f64 v[0:1], v[0:1], v[10:11]
	v_mov_b32_dpp v16, v14 row_shr:8 row_mask:0xf bank_mask:0xc
	v_mov_b32_dpp v12, v8 row_shr:4 row_mask:0xf bank_mask:0xe
	;; [unrolled: 1-line block ×5, first 2 shown]
	v_add_f64 v[8:9], v[8:9], v[12:13]
	v_add_f64 v[0:1], v[0:1], v[10:11]
	v_mov_b32_dpp v17, v15 row_shr:8 row_mask:0xf bank_mask:0xc
	v_mov_b32_dpp v12, v8 row_shr:8 row_mask:0xf bank_mask:0xc
	v_mov_b32_dpp v13, v9 row_shr:8 row_mask:0xf bank_mask:0xc
	v_mov_b32_dpp v18, v0 row_shr:8 row_mask:0xf bank_mask:0xc
	v_mov_b32_dpp v19, v1 row_shr:8 row_mask:0xf bank_mask:0xc
	s_and_b64 exec, exec, vcc
	s_cbranch_execz .LBB49_23
; %bb.19:
	s_load_dwordx2 s[0:1], s[0:1], 0x38
	v_add_f64 v[10:11], v[8:9], v[12:13]
	v_add_f64 v[8:9], v[14:15], v[16:17]
	;; [unrolled: 1-line block ×3, first 2 shown]
	v_cmp_eq_f64_e32 vcc, 0, v[4:5]
	s_and_saveexec_b64 s[2:3], vcc
	s_xor_b64 s[2:3], exec, s[2:3]
	s_cbranch_execz .LBB49_21
; %bb.20:
	v_lshl_add_u32 v6, v6, 1, v6
	v_ashrrev_i32_e32 v7, 31, v6
	v_mul_f64 v[4:5], v[2:3], v[10:11]
	s_waitcnt lgkmcnt(0)
	v_lshl_add_u64 v[10:11], v[6:7], 3, s[0:1]
	v_mul_f64 v[6:7], v[2:3], v[8:9]
	v_mul_f64 v[0:1], v[2:3], v[0:1]
	global_store_dwordx4 v[10:11], v[4:7], off
	global_store_dwordx2 v[10:11], v[0:1], off offset:16
                                        ; implicit-def: $vgpr6
                                        ; implicit-def: $vgpr2_vgpr3
                                        ; implicit-def: $vgpr10_vgpr11
                                        ; implicit-def: $vgpr4_vgpr5
                                        ; implicit-def: $vgpr8_vgpr9
                                        ; implicit-def: $vgpr0_vgpr1
.LBB49_21:
	s_andn2_saveexec_b64 s[2:3], s[2:3]
	s_cbranch_execz .LBB49_23
; %bb.22:
	v_lshl_add_u32 v6, v6, 1, v6
	v_ashrrev_i32_e32 v7, 31, v6
	s_waitcnt lgkmcnt(0)
	v_lshl_add_u64 v[16:17], v[6:7], 3, s[0:1]
	global_load_dwordx4 v[12:15], v[16:17], off
	global_load_dwordx2 v[18:19], v[16:17], off offset:16
	v_mul_f64 v[6:7], v[2:3], v[10:11]
	v_mul_f64 v[8:9], v[2:3], v[8:9]
	;; [unrolled: 1-line block ×3, first 2 shown]
	s_waitcnt vmcnt(1)
	v_fmac_f64_e32 v[6:7], v[4:5], v[12:13]
	v_fmac_f64_e32 v[8:9], v[4:5], v[14:15]
	s_waitcnt vmcnt(0)
	v_fmac_f64_e32 v[0:1], v[4:5], v[18:19]
	global_store_dwordx4 v[16:17], v[6:9], off
	global_store_dwordx2 v[16:17], v[0:1], off offset:16
.LBB49_23:
	s_endpgm
	.section	.rodata,"a",@progbits
	.p2align	6, 0x0
	.amdhsa_kernel _ZN9rocsparseL19gebsrmvn_3xn_kernelILj128ELj4ELj16EdEEvi20rocsparse_direction_NS_24const_host_device_scalarIT2_EEPKiS6_PKS3_S8_S4_PS3_21rocsparse_index_base_b
		.amdhsa_group_segment_fixed_size 0
		.amdhsa_private_segment_fixed_size 0
		.amdhsa_kernarg_size 72
		.amdhsa_user_sgpr_count 2
		.amdhsa_user_sgpr_dispatch_ptr 0
		.amdhsa_user_sgpr_queue_ptr 0
		.amdhsa_user_sgpr_kernarg_segment_ptr 1
		.amdhsa_user_sgpr_dispatch_id 0
		.amdhsa_user_sgpr_kernarg_preload_length 0
		.amdhsa_user_sgpr_kernarg_preload_offset 0
		.amdhsa_user_sgpr_private_segment_size 0
		.amdhsa_uses_dynamic_stack 0
		.amdhsa_enable_private_segment 0
		.amdhsa_system_sgpr_workgroup_id_x 1
		.amdhsa_system_sgpr_workgroup_id_y 0
		.amdhsa_system_sgpr_workgroup_id_z 0
		.amdhsa_system_sgpr_workgroup_info 0
		.amdhsa_system_vgpr_workitem_id 0
		.amdhsa_next_free_vgpr 62
		.amdhsa_next_free_sgpr 18
		.amdhsa_accum_offset 64
		.amdhsa_reserve_vcc 1
		.amdhsa_float_round_mode_32 0
		.amdhsa_float_round_mode_16_64 0
		.amdhsa_float_denorm_mode_32 3
		.amdhsa_float_denorm_mode_16_64 3
		.amdhsa_dx10_clamp 1
		.amdhsa_ieee_mode 1
		.amdhsa_fp16_overflow 0
		.amdhsa_tg_split 0
		.amdhsa_exception_fp_ieee_invalid_op 0
		.amdhsa_exception_fp_denorm_src 0
		.amdhsa_exception_fp_ieee_div_zero 0
		.amdhsa_exception_fp_ieee_overflow 0
		.amdhsa_exception_fp_ieee_underflow 0
		.amdhsa_exception_fp_ieee_inexact 0
		.amdhsa_exception_int_div_zero 0
	.end_amdhsa_kernel
	.section	.text._ZN9rocsparseL19gebsrmvn_3xn_kernelILj128ELj4ELj16EdEEvi20rocsparse_direction_NS_24const_host_device_scalarIT2_EEPKiS6_PKS3_S8_S4_PS3_21rocsparse_index_base_b,"axG",@progbits,_ZN9rocsparseL19gebsrmvn_3xn_kernelILj128ELj4ELj16EdEEvi20rocsparse_direction_NS_24const_host_device_scalarIT2_EEPKiS6_PKS3_S8_S4_PS3_21rocsparse_index_base_b,comdat
.Lfunc_end49:
	.size	_ZN9rocsparseL19gebsrmvn_3xn_kernelILj128ELj4ELj16EdEEvi20rocsparse_direction_NS_24const_host_device_scalarIT2_EEPKiS6_PKS3_S8_S4_PS3_21rocsparse_index_base_b, .Lfunc_end49-_ZN9rocsparseL19gebsrmvn_3xn_kernelILj128ELj4ELj16EdEEvi20rocsparse_direction_NS_24const_host_device_scalarIT2_EEPKiS6_PKS3_S8_S4_PS3_21rocsparse_index_base_b
                                        ; -- End function
	.section	.AMDGPU.csdata,"",@progbits
; Kernel info:
; codeLenInByte = 1544
; NumSgprs: 24
; NumVgprs: 62
; NumAgprs: 0
; TotalNumVgprs: 62
; ScratchSize: 0
; MemoryBound: 0
; FloatMode: 240
; IeeeMode: 1
; LDSByteSize: 0 bytes/workgroup (compile time only)
; SGPRBlocks: 2
; VGPRBlocks: 7
; NumSGPRsForWavesPerEU: 24
; NumVGPRsForWavesPerEU: 62
; AccumOffset: 64
; Occupancy: 8
; WaveLimiterHint : 1
; COMPUTE_PGM_RSRC2:SCRATCH_EN: 0
; COMPUTE_PGM_RSRC2:USER_SGPR: 2
; COMPUTE_PGM_RSRC2:TRAP_HANDLER: 0
; COMPUTE_PGM_RSRC2:TGID_X_EN: 1
; COMPUTE_PGM_RSRC2:TGID_Y_EN: 0
; COMPUTE_PGM_RSRC2:TGID_Z_EN: 0
; COMPUTE_PGM_RSRC2:TIDIG_COMP_CNT: 0
; COMPUTE_PGM_RSRC3_GFX90A:ACCUM_OFFSET: 15
; COMPUTE_PGM_RSRC3_GFX90A:TG_SPLIT: 0
	.section	.text._ZN9rocsparseL19gebsrmvn_3xn_kernelILj128ELj4ELj32EdEEvi20rocsparse_direction_NS_24const_host_device_scalarIT2_EEPKiS6_PKS3_S8_S4_PS3_21rocsparse_index_base_b,"axG",@progbits,_ZN9rocsparseL19gebsrmvn_3xn_kernelILj128ELj4ELj32EdEEvi20rocsparse_direction_NS_24const_host_device_scalarIT2_EEPKiS6_PKS3_S8_S4_PS3_21rocsparse_index_base_b,comdat
	.globl	_ZN9rocsparseL19gebsrmvn_3xn_kernelILj128ELj4ELj32EdEEvi20rocsparse_direction_NS_24const_host_device_scalarIT2_EEPKiS6_PKS3_S8_S4_PS3_21rocsparse_index_base_b ; -- Begin function _ZN9rocsparseL19gebsrmvn_3xn_kernelILj128ELj4ELj32EdEEvi20rocsparse_direction_NS_24const_host_device_scalarIT2_EEPKiS6_PKS3_S8_S4_PS3_21rocsparse_index_base_b
	.p2align	8
	.type	_ZN9rocsparseL19gebsrmvn_3xn_kernelILj128ELj4ELj32EdEEvi20rocsparse_direction_NS_24const_host_device_scalarIT2_EEPKiS6_PKS3_S8_S4_PS3_21rocsparse_index_base_b,@function
_ZN9rocsparseL19gebsrmvn_3xn_kernelILj128ELj4ELj32EdEEvi20rocsparse_direction_NS_24const_host_device_scalarIT2_EEPKiS6_PKS3_S8_S4_PS3_21rocsparse_index_base_b: ; @_ZN9rocsparseL19gebsrmvn_3xn_kernelILj128ELj4ELj32EdEEvi20rocsparse_direction_NS_24const_host_device_scalarIT2_EEPKiS6_PKS3_S8_S4_PS3_21rocsparse_index_base_b
; %bb.0:
	s_load_dwordx2 s[12:13], s[0:1], 0x40
	s_load_dwordx2 s[8:9], s[0:1], 0x8
	;; [unrolled: 1-line block ×3, first 2 shown]
	s_waitcnt lgkmcnt(0)
	s_bitcmp1_b32 s13, 0
	s_cselect_b64 s[10:11], -1, 0
	s_xor_b64 s[6:7], s[10:11], -1
	s_and_b64 vcc, exec, s[10:11]
	v_mov_b64_e32 v[2:3], s[8:9]
	s_cbranch_vccnz .LBB50_2
; %bb.1:
	v_mov_b64_e32 v[2:3], s[8:9]
	flat_load_dwordx2 v[2:3], v[2:3]
.LBB50_2:
	s_andn2_b64 vcc, exec, s[6:7]
	v_mov_b64_e32 v[4:5], s[4:5]
	s_cbranch_vccnz .LBB50_4
; %bb.3:
	v_mov_b64_e32 v[4:5], s[4:5]
	flat_load_dwordx2 v[4:5], v[4:5]
.LBB50_4:
	s_waitcnt vmcnt(0) lgkmcnt(0)
	v_cmp_neq_f64_e32 vcc, 0, v[2:3]
	v_cmp_neq_f64_e64 s[4:5], 1.0, v[4:5]
	s_or_b64 s[4:5], vcc, s[4:5]
	s_and_saveexec_b64 s[6:7], s[4:5]
	s_cbranch_execz .LBB50_23
; %bb.5:
	s_load_dwordx2 s[14:15], s[0:1], 0x0
	v_lshrrev_b32_e32 v1, 5, v0
	v_lshl_or_b32 v6, s2, 2, v1
	s_waitcnt lgkmcnt(0)
	v_cmp_gt_i32_e32 vcc, s14, v6
	s_and_b64 exec, exec, vcc
	s_cbranch_execz .LBB50_23
; %bb.6:
	s_load_dwordx8 s[4:11], s[0:1], 0x10
	v_ashrrev_i32_e32 v7, 31, v6
	s_cmp_lg_u32 s15, 0
	s_waitcnt lgkmcnt(0)
	v_lshl_add_u64 v[8:9], v[6:7], 2, s[4:5]
	global_load_dwordx2 v[8:9], v[8:9], off
	v_and_b32_e32 v7, 31, v0
	s_waitcnt vmcnt(0)
	v_subrev_u32_e32 v0, s12, v8
	v_subrev_u32_e32 v20, s12, v9
	v_add_u32_e32 v12, v0, v7
	v_cmp_lt_i32_e64 s[2:3], v12, v20
	s_cbranch_scc0 .LBB50_12
; %bb.7:
	v_mov_b64_e32 v[8:9], 0
	s_mov_b64 s[4:5], 0
	v_mov_b64_e32 v[0:1], v[8:9]
	v_mov_b64_e32 v[10:11], v[8:9]
	s_and_saveexec_b64 s[14:15], s[2:3]
	s_cbranch_execz .LBB50_11
; %bb.8:
	v_mad_u64_u32 v[14:15], s[16:17], v12, 12, 11
	v_mov_b64_e32 v[8:9], 0
	s_mov_b64 s[16:17], 0
	v_mov_b32_e32 v17, 0
	v_mov_b32_e32 v18, v12
	v_mov_b64_e32 v[0:1], v[8:9]
	v_mov_b64_e32 v[10:11], v[8:9]
.LBB50_9:                               ; =>This Inner Loop Header: Depth=1
	v_ashrrev_i32_e32 v19, 31, v18
	v_lshl_add_u64 v[22:23], v[18:19], 2, s[6:7]
	global_load_dword v13, v[22:23], off
	v_add_u32_e32 v16, -11, v14
	v_lshl_add_u64 v[32:33], v[16:17], 3, s[8:9]
	v_add_u32_e32 v16, -7, v14
	global_load_dwordx4 v[22:25], v[32:33], off offset:16
	global_load_dwordx4 v[26:29], v[32:33], off
	v_lshl_add_u64 v[32:33], v[16:17], 3, s[8:9]
	v_add_u32_e32 v16, -6, v14
	v_lshl_add_u64 v[34:35], v[16:17], 3, s[8:9]
	v_add_u32_e32 v16, -5, v14
	global_load_dwordx2 v[40:41], v[32:33], off
	global_load_dwordx2 v[42:43], v[34:35], off
	v_lshl_add_u64 v[32:33], v[16:17], 3, s[8:9]
	v_add_u32_e32 v16, -4, v14
	v_lshl_add_u64 v[34:35], v[16:17], 3, s[8:9]
	v_add_u32_e32 v16, -3, v14
	v_mov_b32_e32 v31, v17
	global_load_dwordx2 v[44:45], v[32:33], off
	global_load_dwordx2 v[46:47], v[34:35], off
	v_lshl_add_u64 v[32:33], v[16:17], 3, s[8:9]
	v_add_u32_e32 v16, -2, v14
	v_mov_b32_e32 v15, v17
	global_load_dwordx2 v[48:49], v[32:33], off
	v_lshl_add_u64 v[50:51], v[16:17], 3, s[8:9]
	v_add_u32_e32 v16, -1, v14
	v_lshl_add_u64 v[38:39], v[14:15], 3, s[8:9]
	v_lshl_add_u64 v[52:53], v[16:17], 3, s[8:9]
	v_add_u32_e32 v18, 32, v18
	v_cmp_ge_i32_e32 vcc, v18, v20
	s_or_b64 s[16:17], vcc, s[16:17]
	v_add_u32_e32 v14, 0x180, v14
	s_waitcnt vmcnt(7)
	v_subrev_u32_e32 v13, s12, v13
	v_lshlrev_b32_e32 v30, 2, v13
	v_lshl_add_u64 v[54:55], v[30:31], 3, s[10:11]
	global_load_dwordx4 v[30:33], v[54:55], off
	global_load_dwordx4 v[34:37], v[54:55], off offset:16
	global_load_dwordx2 v[56:57], v[50:51], off
	global_load_dwordx2 v[58:59], v[52:53], off
	;; [unrolled: 1-line block ×3, first 2 shown]
	s_waitcnt vmcnt(4)
	v_fmac_f64_e32 v[8:9], v[26:27], v[30:31]
	v_fmac_f64_e32 v[10:11], v[28:29], v[30:31]
	;; [unrolled: 1-line block ×6, first 2 shown]
	s_waitcnt vmcnt(3)
	v_fmac_f64_e32 v[8:9], v[44:45], v[34:35]
	v_fmac_f64_e32 v[10:11], v[46:47], v[34:35]
	;; [unrolled: 1-line block ×3, first 2 shown]
	s_waitcnt vmcnt(2)
	v_fmac_f64_e32 v[8:9], v[56:57], v[36:37]
	s_waitcnt vmcnt(1)
	v_fmac_f64_e32 v[10:11], v[58:59], v[36:37]
	;; [unrolled: 2-line block ×3, first 2 shown]
	s_andn2_b64 exec, exec, s[16:17]
	s_cbranch_execnz .LBB50_9
; %bb.10:
	s_or_b64 exec, exec, s[16:17]
.LBB50_11:
	s_or_b64 exec, exec, s[14:15]
	s_andn2_b64 vcc, exec, s[4:5]
	s_cbranch_vccz .LBB50_13
	s_branch .LBB50_18
.LBB50_12:
                                        ; implicit-def: $vgpr8_vgpr9
                                        ; implicit-def: $vgpr0_vgpr1
                                        ; implicit-def: $vgpr10_vgpr11
.LBB50_13:
	v_mov_b64_e32 v[8:9], 0
	v_mov_b64_e32 v[0:1], v[8:9]
	;; [unrolled: 1-line block ×3, first 2 shown]
	s_and_saveexec_b64 s[4:5], s[2:3]
	s_cbranch_execz .LBB50_17
; %bb.14:
	v_mad_u64_u32 v[14:15], s[2:3], v12, 12, 11
	v_mov_b64_e32 v[8:9], 0
	s_mov_b64 s[2:3], 0
	v_mov_b32_e32 v17, 0
	v_mov_b64_e32 v[0:1], v[8:9]
	v_mov_b64_e32 v[10:11], v[8:9]
.LBB50_15:                              ; =>This Inner Loop Header: Depth=1
	v_ashrrev_i32_e32 v13, 31, v12
	v_lshl_add_u64 v[18:19], v[12:13], 2, s[6:7]
	global_load_dword v13, v[18:19], off
	v_add_u32_e32 v16, -11, v14
	v_add_u32_e32 v18, -7, v14
	;; [unrolled: 1-line block ×3, first 2 shown]
	v_mov_b32_e32 v19, v17
	v_mov_b32_e32 v23, v17
	v_lshl_add_u64 v[32:33], v[16:17], 3, s[8:9]
	v_add_u32_e32 v16, -6, v14
	v_lshl_add_u64 v[18:19], v[18:19], 3, s[8:9]
	v_lshl_add_u64 v[34:35], v[22:23], 3, s[8:9]
	global_load_dwordx4 v[22:25], v[32:33], off offset:16
	global_load_dwordx4 v[26:29], v[32:33], off
	v_lshl_add_u64 v[32:33], v[16:17], 3, s[8:9]
	v_add_u32_e32 v16, -2, v14
	global_load_dwordx2 v[40:41], v[18:19], off
	global_load_dwordx2 v[42:43], v[34:35], off
	v_lshl_add_u64 v[18:19], v[16:17], 3, s[8:9]
	v_add_u32_e32 v16, -5, v14
	v_mov_b32_e32 v31, v17
	global_load_dwordx2 v[44:45], v[32:33], off
	global_load_dwordx2 v[46:47], v[18:19], off
	v_lshl_add_u64 v[18:19], v[16:17], 3, s[8:9]
	v_add_u32_e32 v16, -1, v14
	v_lshl_add_u64 v[32:33], v[16:17], 3, s[8:9]
	global_load_dwordx2 v[48:49], v[18:19], off
	global_load_dwordx2 v[50:51], v[32:33], off
	v_add_u32_e32 v16, -4, v14
	v_mov_b32_e32 v15, v17
	v_lshl_add_u64 v[38:39], v[14:15], 3, s[8:9]
	v_add_u32_e32 v12, 32, v12
	v_cmp_ge_i32_e32 vcc, v12, v20
	s_or_b64 s[2:3], vcc, s[2:3]
	v_add_u32_e32 v14, 0x180, v14
	s_waitcnt vmcnt(8)
	v_subrev_u32_e32 v13, s12, v13
	v_lshlrev_b32_e32 v30, 2, v13
	v_lshl_add_u64 v[18:19], v[30:31], 3, s[10:11]
	global_load_dwordx4 v[30:33], v[18:19], off
	global_load_dwordx4 v[34:37], v[18:19], off offset:16
	v_lshl_add_u64 v[18:19], v[16:17], 3, s[8:9]
	global_load_dwordx2 v[52:53], v[18:19], off
	global_load_dwordx2 v[54:55], v[38:39], off
	s_waitcnt vmcnt(3)
	v_fmac_f64_e32 v[8:9], v[26:27], v[30:31]
	v_fmac_f64_e32 v[10:11], v[40:41], v[30:31]
	;; [unrolled: 1-line block ×6, first 2 shown]
	s_waitcnt vmcnt(2)
	v_fmac_f64_e32 v[8:9], v[22:23], v[34:35]
	v_fmac_f64_e32 v[10:11], v[48:49], v[34:35]
	;; [unrolled: 1-line block ×4, first 2 shown]
	s_waitcnt vmcnt(1)
	v_fmac_f64_e32 v[10:11], v[52:53], v[36:37]
	s_waitcnt vmcnt(0)
	v_fmac_f64_e32 v[0:1], v[54:55], v[36:37]
	s_andn2_b64 exec, exec, s[2:3]
	s_cbranch_execnz .LBB50_15
; %bb.16:
	s_or_b64 exec, exec, s[2:3]
.LBB50_17:
	s_or_b64 exec, exec, s[4:5]
.LBB50_18:
	v_mov_b32_dpp v14, v10 row_shr:1 row_mask:0xf bank_mask:0xf
	v_mov_b32_dpp v15, v11 row_shr:1 row_mask:0xf bank_mask:0xf
	v_add_f64 v[10:11], v[10:11], v[14:15]
	v_mov_b32_dpp v12, v8 row_shr:1 row_mask:0xf bank_mask:0xf
	v_mov_b32_dpp v13, v9 row_shr:1 row_mask:0xf bank_mask:0xf
	;; [unrolled: 1-line block ×4, first 2 shown]
	v_add_f64 v[10:11], v[10:11], v[14:15]
	v_add_f64 v[8:9], v[8:9], v[12:13]
	v_cmp_eq_u32_e32 vcc, 31, v7
	v_mov_b32_dpp v14, v10 row_shr:4 row_mask:0xf bank_mask:0xe
	v_mov_b32_dpp v15, v11 row_shr:4 row_mask:0xf bank_mask:0xe
	v_add_f64 v[10:11], v[10:11], v[14:15]
	v_mov_b32_dpp v12, v8 row_shr:2 row_mask:0xf bank_mask:0xf
	v_mov_b32_dpp v13, v9 row_shr:2 row_mask:0xf bank_mask:0xf
	;; [unrolled: 1-line block ×4, first 2 shown]
	v_add_f64 v[14:15], v[10:11], v[14:15]
	v_mov_b32_dpp v10, v0 row_shr:1 row_mask:0xf bank_mask:0xf
	v_mov_b32_dpp v11, v1 row_shr:1 row_mask:0xf bank_mask:0xf
	v_add_f64 v[0:1], v[0:1], v[10:11]
	v_add_f64 v[8:9], v[8:9], v[12:13]
	v_mov_b32_dpp v16, v14 row_bcast:15 row_mask:0xa bank_mask:0xf
	v_mov_b32_dpp v10, v0 row_shr:2 row_mask:0xf bank_mask:0xf
	v_mov_b32_dpp v11, v1 row_shr:2 row_mask:0xf bank_mask:0xf
	v_add_f64 v[0:1], v[0:1], v[10:11]
	v_mov_b32_dpp v12, v8 row_shr:4 row_mask:0xf bank_mask:0xe
	v_mov_b32_dpp v13, v9 row_shr:4 row_mask:0xf bank_mask:0xe
	;; [unrolled: 1-line block ×4, first 2 shown]
	v_add_f64 v[8:9], v[8:9], v[12:13]
	v_add_f64 v[0:1], v[0:1], v[10:11]
	v_mov_b32_dpp v17, v15 row_bcast:15 row_mask:0xa bank_mask:0xf
	v_mov_b32_dpp v12, v8 row_shr:8 row_mask:0xf bank_mask:0xc
	v_mov_b32_dpp v13, v9 row_shr:8 row_mask:0xf bank_mask:0xc
	;; [unrolled: 1-line block ×4, first 2 shown]
	v_add_f64 v[8:9], v[8:9], v[12:13]
	v_add_f64 v[0:1], v[0:1], v[10:11]
	s_nop 0
	v_mov_b32_dpp v12, v8 row_bcast:15 row_mask:0xa bank_mask:0xf
	v_mov_b32_dpp v13, v9 row_bcast:15 row_mask:0xa bank_mask:0xf
	;; [unrolled: 1-line block ×4, first 2 shown]
	s_and_b64 exec, exec, vcc
	s_cbranch_execz .LBB50_23
; %bb.19:
	s_load_dwordx2 s[0:1], s[0:1], 0x38
	v_add_f64 v[10:11], v[8:9], v[12:13]
	v_add_f64 v[8:9], v[14:15], v[16:17]
	;; [unrolled: 1-line block ×3, first 2 shown]
	v_cmp_eq_f64_e32 vcc, 0, v[4:5]
	s_and_saveexec_b64 s[2:3], vcc
	s_xor_b64 s[2:3], exec, s[2:3]
	s_cbranch_execz .LBB50_21
; %bb.20:
	v_lshl_add_u32 v6, v6, 1, v6
	v_ashrrev_i32_e32 v7, 31, v6
	v_mul_f64 v[4:5], v[2:3], v[10:11]
	s_waitcnt lgkmcnt(0)
	v_lshl_add_u64 v[10:11], v[6:7], 3, s[0:1]
	v_mul_f64 v[6:7], v[2:3], v[8:9]
	v_mul_f64 v[0:1], v[2:3], v[0:1]
	global_store_dwordx4 v[10:11], v[4:7], off
	global_store_dwordx2 v[10:11], v[0:1], off offset:16
                                        ; implicit-def: $vgpr6
                                        ; implicit-def: $vgpr2_vgpr3
                                        ; implicit-def: $vgpr10_vgpr11
                                        ; implicit-def: $vgpr4_vgpr5
                                        ; implicit-def: $vgpr8_vgpr9
                                        ; implicit-def: $vgpr0_vgpr1
.LBB50_21:
	s_andn2_saveexec_b64 s[2:3], s[2:3]
	s_cbranch_execz .LBB50_23
; %bb.22:
	v_lshl_add_u32 v6, v6, 1, v6
	v_ashrrev_i32_e32 v7, 31, v6
	s_waitcnt lgkmcnt(0)
	v_lshl_add_u64 v[16:17], v[6:7], 3, s[0:1]
	global_load_dwordx4 v[12:15], v[16:17], off
	global_load_dwordx2 v[18:19], v[16:17], off offset:16
	v_mul_f64 v[6:7], v[2:3], v[10:11]
	v_mul_f64 v[8:9], v[2:3], v[8:9]
	;; [unrolled: 1-line block ×3, first 2 shown]
	s_waitcnt vmcnt(1)
	v_fmac_f64_e32 v[6:7], v[4:5], v[12:13]
	v_fmac_f64_e32 v[8:9], v[4:5], v[14:15]
	s_waitcnt vmcnt(0)
	v_fmac_f64_e32 v[0:1], v[4:5], v[18:19]
	global_store_dwordx4 v[16:17], v[6:9], off
	global_store_dwordx2 v[16:17], v[0:1], off offset:16
.LBB50_23:
	s_endpgm
	.section	.rodata,"a",@progbits
	.p2align	6, 0x0
	.amdhsa_kernel _ZN9rocsparseL19gebsrmvn_3xn_kernelILj128ELj4ELj32EdEEvi20rocsparse_direction_NS_24const_host_device_scalarIT2_EEPKiS6_PKS3_S8_S4_PS3_21rocsparse_index_base_b
		.amdhsa_group_segment_fixed_size 0
		.amdhsa_private_segment_fixed_size 0
		.amdhsa_kernarg_size 72
		.amdhsa_user_sgpr_count 2
		.amdhsa_user_sgpr_dispatch_ptr 0
		.amdhsa_user_sgpr_queue_ptr 0
		.amdhsa_user_sgpr_kernarg_segment_ptr 1
		.amdhsa_user_sgpr_dispatch_id 0
		.amdhsa_user_sgpr_kernarg_preload_length 0
		.amdhsa_user_sgpr_kernarg_preload_offset 0
		.amdhsa_user_sgpr_private_segment_size 0
		.amdhsa_uses_dynamic_stack 0
		.amdhsa_enable_private_segment 0
		.amdhsa_system_sgpr_workgroup_id_x 1
		.amdhsa_system_sgpr_workgroup_id_y 0
		.amdhsa_system_sgpr_workgroup_id_z 0
		.amdhsa_system_sgpr_workgroup_info 0
		.amdhsa_system_vgpr_workitem_id 0
		.amdhsa_next_free_vgpr 62
		.amdhsa_next_free_sgpr 18
		.amdhsa_accum_offset 64
		.amdhsa_reserve_vcc 1
		.amdhsa_float_round_mode_32 0
		.amdhsa_float_round_mode_16_64 0
		.amdhsa_float_denorm_mode_32 3
		.amdhsa_float_denorm_mode_16_64 3
		.amdhsa_dx10_clamp 1
		.amdhsa_ieee_mode 1
		.amdhsa_fp16_overflow 0
		.amdhsa_tg_split 0
		.amdhsa_exception_fp_ieee_invalid_op 0
		.amdhsa_exception_fp_denorm_src 0
		.amdhsa_exception_fp_ieee_div_zero 0
		.amdhsa_exception_fp_ieee_overflow 0
		.amdhsa_exception_fp_ieee_underflow 0
		.amdhsa_exception_fp_ieee_inexact 0
		.amdhsa_exception_int_div_zero 0
	.end_amdhsa_kernel
	.section	.text._ZN9rocsparseL19gebsrmvn_3xn_kernelILj128ELj4ELj32EdEEvi20rocsparse_direction_NS_24const_host_device_scalarIT2_EEPKiS6_PKS3_S8_S4_PS3_21rocsparse_index_base_b,"axG",@progbits,_ZN9rocsparseL19gebsrmvn_3xn_kernelILj128ELj4ELj32EdEEvi20rocsparse_direction_NS_24const_host_device_scalarIT2_EEPKiS6_PKS3_S8_S4_PS3_21rocsparse_index_base_b,comdat
.Lfunc_end50:
	.size	_ZN9rocsparseL19gebsrmvn_3xn_kernelILj128ELj4ELj32EdEEvi20rocsparse_direction_NS_24const_host_device_scalarIT2_EEPKiS6_PKS3_S8_S4_PS3_21rocsparse_index_base_b, .Lfunc_end50-_ZN9rocsparseL19gebsrmvn_3xn_kernelILj128ELj4ELj32EdEEvi20rocsparse_direction_NS_24const_host_device_scalarIT2_EEPKiS6_PKS3_S8_S4_PS3_21rocsparse_index_base_b
                                        ; -- End function
	.section	.AMDGPU.csdata,"",@progbits
; Kernel info:
; codeLenInByte = 1620
; NumSgprs: 24
; NumVgprs: 62
; NumAgprs: 0
; TotalNumVgprs: 62
; ScratchSize: 0
; MemoryBound: 0
; FloatMode: 240
; IeeeMode: 1
; LDSByteSize: 0 bytes/workgroup (compile time only)
; SGPRBlocks: 2
; VGPRBlocks: 7
; NumSGPRsForWavesPerEU: 24
; NumVGPRsForWavesPerEU: 62
; AccumOffset: 64
; Occupancy: 8
; WaveLimiterHint : 1
; COMPUTE_PGM_RSRC2:SCRATCH_EN: 0
; COMPUTE_PGM_RSRC2:USER_SGPR: 2
; COMPUTE_PGM_RSRC2:TRAP_HANDLER: 0
; COMPUTE_PGM_RSRC2:TGID_X_EN: 1
; COMPUTE_PGM_RSRC2:TGID_Y_EN: 0
; COMPUTE_PGM_RSRC2:TGID_Z_EN: 0
; COMPUTE_PGM_RSRC2:TIDIG_COMP_CNT: 0
; COMPUTE_PGM_RSRC3_GFX90A:ACCUM_OFFSET: 15
; COMPUTE_PGM_RSRC3_GFX90A:TG_SPLIT: 0
	.section	.text._ZN9rocsparseL19gebsrmvn_3xn_kernelILj128ELj4ELj64EdEEvi20rocsparse_direction_NS_24const_host_device_scalarIT2_EEPKiS6_PKS3_S8_S4_PS3_21rocsparse_index_base_b,"axG",@progbits,_ZN9rocsparseL19gebsrmvn_3xn_kernelILj128ELj4ELj64EdEEvi20rocsparse_direction_NS_24const_host_device_scalarIT2_EEPKiS6_PKS3_S8_S4_PS3_21rocsparse_index_base_b,comdat
	.globl	_ZN9rocsparseL19gebsrmvn_3xn_kernelILj128ELj4ELj64EdEEvi20rocsparse_direction_NS_24const_host_device_scalarIT2_EEPKiS6_PKS3_S8_S4_PS3_21rocsparse_index_base_b ; -- Begin function _ZN9rocsparseL19gebsrmvn_3xn_kernelILj128ELj4ELj64EdEEvi20rocsparse_direction_NS_24const_host_device_scalarIT2_EEPKiS6_PKS3_S8_S4_PS3_21rocsparse_index_base_b
	.p2align	8
	.type	_ZN9rocsparseL19gebsrmvn_3xn_kernelILj128ELj4ELj64EdEEvi20rocsparse_direction_NS_24const_host_device_scalarIT2_EEPKiS6_PKS3_S8_S4_PS3_21rocsparse_index_base_b,@function
_ZN9rocsparseL19gebsrmvn_3xn_kernelILj128ELj4ELj64EdEEvi20rocsparse_direction_NS_24const_host_device_scalarIT2_EEPKiS6_PKS3_S8_S4_PS3_21rocsparse_index_base_b: ; @_ZN9rocsparseL19gebsrmvn_3xn_kernelILj128ELj4ELj64EdEEvi20rocsparse_direction_NS_24const_host_device_scalarIT2_EEPKiS6_PKS3_S8_S4_PS3_21rocsparse_index_base_b
; %bb.0:
	s_load_dwordx2 s[12:13], s[0:1], 0x40
	s_load_dwordx2 s[8:9], s[0:1], 0x8
	;; [unrolled: 1-line block ×3, first 2 shown]
	s_waitcnt lgkmcnt(0)
	s_bitcmp1_b32 s13, 0
	s_cselect_b64 s[10:11], -1, 0
	s_xor_b64 s[6:7], s[10:11], -1
	s_and_b64 vcc, exec, s[10:11]
	v_mov_b64_e32 v[2:3], s[8:9]
	s_cbranch_vccnz .LBB51_2
; %bb.1:
	v_mov_b64_e32 v[2:3], s[8:9]
	flat_load_dwordx2 v[2:3], v[2:3]
.LBB51_2:
	s_andn2_b64 vcc, exec, s[6:7]
	v_mov_b64_e32 v[4:5], s[4:5]
	s_cbranch_vccnz .LBB51_4
; %bb.3:
	v_mov_b64_e32 v[4:5], s[4:5]
	flat_load_dwordx2 v[4:5], v[4:5]
.LBB51_4:
	s_waitcnt vmcnt(0) lgkmcnt(0)
	v_cmp_neq_f64_e32 vcc, 0, v[2:3]
	v_cmp_neq_f64_e64 s[4:5], 1.0, v[4:5]
	s_or_b64 s[4:5], vcc, s[4:5]
	s_and_saveexec_b64 s[6:7], s[4:5]
	s_cbranch_execz .LBB51_23
; %bb.5:
	s_load_dwordx2 s[14:15], s[0:1], 0x0
	v_lshrrev_b32_e32 v1, 6, v0
	v_lshl_or_b32 v6, s2, 1, v1
	s_waitcnt lgkmcnt(0)
	v_cmp_gt_i32_e32 vcc, s14, v6
	s_and_b64 exec, exec, vcc
	s_cbranch_execz .LBB51_23
; %bb.6:
	s_load_dwordx8 s[4:11], s[0:1], 0x10
	v_ashrrev_i32_e32 v7, 31, v6
	s_cmp_lg_u32 s15, 0
	s_waitcnt lgkmcnt(0)
	v_lshl_add_u64 v[8:9], v[6:7], 2, s[4:5]
	global_load_dwordx2 v[8:9], v[8:9], off
	v_and_b32_e32 v7, 63, v0
	s_waitcnt vmcnt(0)
	v_subrev_u32_e32 v0, s12, v8
	v_subrev_u32_e32 v20, s12, v9
	v_add_u32_e32 v12, v0, v7
	v_cmp_lt_i32_e64 s[2:3], v12, v20
	s_cbranch_scc0 .LBB51_12
; %bb.7:
	v_mov_b64_e32 v[10:11], 0
	s_mov_b64 s[4:5], 0
	v_mov_b64_e32 v[0:1], v[10:11]
	v_mov_b64_e32 v[8:9], v[10:11]
	s_and_saveexec_b64 s[14:15], s[2:3]
	s_cbranch_execz .LBB51_11
; %bb.8:
	v_mad_u64_u32 v[14:15], s[16:17], v12, 12, 11
	v_mov_b64_e32 v[10:11], 0
	s_mov_b64 s[16:17], 0
	v_mov_b32_e32 v17, 0
	v_mov_b32_e32 v18, v12
	v_mov_b64_e32 v[0:1], v[10:11]
	v_mov_b64_e32 v[8:9], v[10:11]
.LBB51_9:                               ; =>This Inner Loop Header: Depth=1
	v_ashrrev_i32_e32 v19, 31, v18
	v_lshl_add_u64 v[22:23], v[18:19], 2, s[6:7]
	global_load_dword v13, v[22:23], off
	v_add_u32_e32 v16, -11, v14
	v_lshl_add_u64 v[32:33], v[16:17], 3, s[8:9]
	v_add_u32_e32 v16, -7, v14
	global_load_dwordx4 v[22:25], v[32:33], off offset:16
	global_load_dwordx4 v[26:29], v[32:33], off
	v_lshl_add_u64 v[32:33], v[16:17], 3, s[8:9]
	v_add_u32_e32 v16, -6, v14
	v_lshl_add_u64 v[34:35], v[16:17], 3, s[8:9]
	v_add_u32_e32 v16, -5, v14
	global_load_dwordx2 v[40:41], v[32:33], off
	global_load_dwordx2 v[42:43], v[34:35], off
	v_lshl_add_u64 v[32:33], v[16:17], 3, s[8:9]
	v_add_u32_e32 v16, -4, v14
	v_lshl_add_u64 v[34:35], v[16:17], 3, s[8:9]
	v_add_u32_e32 v16, -3, v14
	v_mov_b32_e32 v31, v17
	global_load_dwordx2 v[44:45], v[32:33], off
	global_load_dwordx2 v[46:47], v[34:35], off
	v_lshl_add_u64 v[32:33], v[16:17], 3, s[8:9]
	v_add_u32_e32 v16, -2, v14
	v_mov_b32_e32 v15, v17
	global_load_dwordx2 v[48:49], v[32:33], off
	v_lshl_add_u64 v[50:51], v[16:17], 3, s[8:9]
	v_add_u32_e32 v16, -1, v14
	v_lshl_add_u64 v[38:39], v[14:15], 3, s[8:9]
	v_lshl_add_u64 v[52:53], v[16:17], 3, s[8:9]
	v_add_u32_e32 v18, 64, v18
	v_cmp_ge_i32_e32 vcc, v18, v20
	s_or_b64 s[16:17], vcc, s[16:17]
	v_add_u32_e32 v14, 0x300, v14
	s_waitcnt vmcnt(7)
	v_subrev_u32_e32 v13, s12, v13
	v_lshlrev_b32_e32 v30, 2, v13
	v_lshl_add_u64 v[54:55], v[30:31], 3, s[10:11]
	global_load_dwordx4 v[30:33], v[54:55], off
	global_load_dwordx4 v[34:37], v[54:55], off offset:16
	global_load_dwordx2 v[56:57], v[50:51], off
	global_load_dwordx2 v[58:59], v[52:53], off
	global_load_dwordx2 v[60:61], v[38:39], off
	s_waitcnt vmcnt(4)
	v_fmac_f64_e32 v[10:11], v[26:27], v[30:31]
	v_fmac_f64_e32 v[8:9], v[28:29], v[30:31]
	;; [unrolled: 1-line block ×6, first 2 shown]
	s_waitcnt vmcnt(3)
	v_fmac_f64_e32 v[10:11], v[44:45], v[34:35]
	v_fmac_f64_e32 v[8:9], v[46:47], v[34:35]
	;; [unrolled: 1-line block ×3, first 2 shown]
	s_waitcnt vmcnt(2)
	v_fmac_f64_e32 v[10:11], v[56:57], v[36:37]
	s_waitcnt vmcnt(1)
	v_fmac_f64_e32 v[8:9], v[58:59], v[36:37]
	;; [unrolled: 2-line block ×3, first 2 shown]
	s_andn2_b64 exec, exec, s[16:17]
	s_cbranch_execnz .LBB51_9
; %bb.10:
	s_or_b64 exec, exec, s[16:17]
.LBB51_11:
	s_or_b64 exec, exec, s[14:15]
	s_andn2_b64 vcc, exec, s[4:5]
	s_cbranch_vccz .LBB51_13
	s_branch .LBB51_18
.LBB51_12:
                                        ; implicit-def: $vgpr10_vgpr11
                                        ; implicit-def: $vgpr0_vgpr1
                                        ; implicit-def: $vgpr8_vgpr9
.LBB51_13:
	v_mov_b64_e32 v[10:11], 0
	v_mov_b64_e32 v[0:1], v[10:11]
	;; [unrolled: 1-line block ×3, first 2 shown]
	s_and_saveexec_b64 s[4:5], s[2:3]
	s_cbranch_execz .LBB51_17
; %bb.14:
	v_mad_u64_u32 v[14:15], s[2:3], v12, 12, 11
	v_mov_b64_e32 v[10:11], 0
	s_mov_b64 s[2:3], 0
	v_mov_b32_e32 v17, 0
	v_mov_b64_e32 v[0:1], v[10:11]
	v_mov_b64_e32 v[8:9], v[10:11]
.LBB51_15:                              ; =>This Inner Loop Header: Depth=1
	v_ashrrev_i32_e32 v13, 31, v12
	v_lshl_add_u64 v[18:19], v[12:13], 2, s[6:7]
	global_load_dword v13, v[18:19], off
	v_add_u32_e32 v16, -11, v14
	v_add_u32_e32 v18, -7, v14
	;; [unrolled: 1-line block ×3, first 2 shown]
	v_mov_b32_e32 v19, v17
	v_mov_b32_e32 v23, v17
	v_lshl_add_u64 v[32:33], v[16:17], 3, s[8:9]
	v_add_u32_e32 v16, -6, v14
	v_lshl_add_u64 v[18:19], v[18:19], 3, s[8:9]
	v_lshl_add_u64 v[34:35], v[22:23], 3, s[8:9]
	global_load_dwordx4 v[22:25], v[32:33], off offset:16
	global_load_dwordx4 v[26:29], v[32:33], off
	v_lshl_add_u64 v[32:33], v[16:17], 3, s[8:9]
	v_add_u32_e32 v16, -2, v14
	global_load_dwordx2 v[40:41], v[18:19], off
	global_load_dwordx2 v[42:43], v[34:35], off
	v_lshl_add_u64 v[18:19], v[16:17], 3, s[8:9]
	v_add_u32_e32 v16, -5, v14
	v_mov_b32_e32 v31, v17
	global_load_dwordx2 v[44:45], v[32:33], off
	global_load_dwordx2 v[46:47], v[18:19], off
	v_lshl_add_u64 v[18:19], v[16:17], 3, s[8:9]
	v_add_u32_e32 v16, -1, v14
	v_lshl_add_u64 v[32:33], v[16:17], 3, s[8:9]
	global_load_dwordx2 v[48:49], v[18:19], off
	global_load_dwordx2 v[50:51], v[32:33], off
	v_add_u32_e32 v16, -4, v14
	v_mov_b32_e32 v15, v17
	v_lshl_add_u64 v[38:39], v[14:15], 3, s[8:9]
	v_add_u32_e32 v12, 64, v12
	v_cmp_ge_i32_e32 vcc, v12, v20
	s_or_b64 s[2:3], vcc, s[2:3]
	v_add_u32_e32 v14, 0x300, v14
	s_waitcnt vmcnt(8)
	v_subrev_u32_e32 v13, s12, v13
	v_lshlrev_b32_e32 v30, 2, v13
	v_lshl_add_u64 v[18:19], v[30:31], 3, s[10:11]
	global_load_dwordx4 v[30:33], v[18:19], off
	global_load_dwordx4 v[34:37], v[18:19], off offset:16
	v_lshl_add_u64 v[18:19], v[16:17], 3, s[8:9]
	global_load_dwordx2 v[52:53], v[18:19], off
	global_load_dwordx2 v[54:55], v[38:39], off
	s_waitcnt vmcnt(3)
	v_fmac_f64_e32 v[10:11], v[26:27], v[30:31]
	v_fmac_f64_e32 v[8:9], v[40:41], v[30:31]
	;; [unrolled: 1-line block ×6, first 2 shown]
	s_waitcnt vmcnt(2)
	v_fmac_f64_e32 v[10:11], v[22:23], v[34:35]
	v_fmac_f64_e32 v[8:9], v[48:49], v[34:35]
	;; [unrolled: 1-line block ×4, first 2 shown]
	s_waitcnt vmcnt(1)
	v_fmac_f64_e32 v[8:9], v[52:53], v[36:37]
	s_waitcnt vmcnt(0)
	v_fmac_f64_e32 v[0:1], v[54:55], v[36:37]
	s_andn2_b64 exec, exec, s[2:3]
	s_cbranch_execnz .LBB51_15
; %bb.16:
	s_or_b64 exec, exec, s[2:3]
.LBB51_17:
	s_or_b64 exec, exec, s[4:5]
.LBB51_18:
	v_mov_b32_dpp v12, v10 row_shr:1 row_mask:0xf bank_mask:0xf
	v_mov_b32_dpp v13, v11 row_shr:1 row_mask:0xf bank_mask:0xf
	v_mov_b32_dpp v14, v8 row_shr:1 row_mask:0xf bank_mask:0xf
	v_mov_b32_dpp v15, v9 row_shr:1 row_mask:0xf bank_mask:0xf
	v_mov_b32_dpp v16, v0 row_shr:1 row_mask:0xf bank_mask:0xf
	v_mov_b32_dpp v17, v1 row_shr:1 row_mask:0xf bank_mask:0xf
	v_add_f64 v[10:11], v[10:11], v[12:13]
	v_add_f64 v[8:9], v[8:9], v[14:15]
	v_add_f64 v[0:1], v[0:1], v[16:17]
	v_mov_b32_dpp v12, v10 row_shr:2 row_mask:0xf bank_mask:0xf
	v_mov_b32_dpp v13, v11 row_shr:2 row_mask:0xf bank_mask:0xf
	v_mov_b32_dpp v14, v8 row_shr:2 row_mask:0xf bank_mask:0xf
	v_mov_b32_dpp v15, v9 row_shr:2 row_mask:0xf bank_mask:0xf
	v_mov_b32_dpp v16, v0 row_shr:2 row_mask:0xf bank_mask:0xf
	v_mov_b32_dpp v17, v1 row_shr:2 row_mask:0xf bank_mask:0xf
	v_add_f64 v[10:11], v[10:11], v[12:13]
	v_add_f64 v[8:9], v[8:9], v[14:15]
	v_add_f64 v[0:1], v[0:1], v[16:17]
	;; [unrolled: 9-line block ×4, first 2 shown]
	v_mov_b32_dpp v12, v10 row_bcast:15 row_mask:0xa bank_mask:0xf
	v_mov_b32_dpp v13, v11 row_bcast:15 row_mask:0xa bank_mask:0xf
	;; [unrolled: 1-line block ×6, first 2 shown]
	v_add_f64 v[10:11], v[10:11], v[12:13]
	v_add_f64 v[8:9], v[8:9], v[14:15]
	;; [unrolled: 1-line block ×3, first 2 shown]
	v_mov_b32_dpp v12, v10 row_bcast:31 row_mask:0xc bank_mask:0xf
	v_mov_b32_dpp v13, v11 row_bcast:31 row_mask:0xc bank_mask:0xf
	;; [unrolled: 1-line block ×6, first 2 shown]
	v_cmp_eq_u32_e32 vcc, 63, v7
	s_and_b64 exec, exec, vcc
	s_cbranch_execz .LBB51_23
; %bb.19:
	s_load_dwordx2 s[0:1], s[0:1], 0x38
	v_add_f64 v[10:11], v[10:11], v[12:13]
	v_add_f64 v[8:9], v[8:9], v[14:15]
	;; [unrolled: 1-line block ×3, first 2 shown]
	v_cmp_eq_f64_e32 vcc, 0, v[4:5]
	s_and_saveexec_b64 s[2:3], vcc
	s_xor_b64 s[2:3], exec, s[2:3]
	s_cbranch_execz .LBB51_21
; %bb.20:
	v_lshl_add_u32 v6, v6, 1, v6
	v_ashrrev_i32_e32 v7, 31, v6
	v_mul_f64 v[4:5], v[2:3], v[10:11]
	s_waitcnt lgkmcnt(0)
	v_lshl_add_u64 v[10:11], v[6:7], 3, s[0:1]
	v_mul_f64 v[6:7], v[2:3], v[8:9]
	v_mul_f64 v[0:1], v[2:3], v[0:1]
	global_store_dwordx4 v[10:11], v[4:7], off
	global_store_dwordx2 v[10:11], v[0:1], off offset:16
                                        ; implicit-def: $vgpr6
                                        ; implicit-def: $vgpr2_vgpr3
                                        ; implicit-def: $vgpr10_vgpr11
                                        ; implicit-def: $vgpr4_vgpr5
                                        ; implicit-def: $vgpr8_vgpr9
                                        ; implicit-def: $vgpr0_vgpr1
.LBB51_21:
	s_andn2_saveexec_b64 s[2:3], s[2:3]
	s_cbranch_execz .LBB51_23
; %bb.22:
	v_lshl_add_u32 v6, v6, 1, v6
	v_ashrrev_i32_e32 v7, 31, v6
	s_waitcnt lgkmcnt(0)
	v_lshl_add_u64 v[16:17], v[6:7], 3, s[0:1]
	global_load_dwordx4 v[12:15], v[16:17], off
	global_load_dwordx2 v[18:19], v[16:17], off offset:16
	v_mul_f64 v[6:7], v[2:3], v[10:11]
	v_mul_f64 v[8:9], v[2:3], v[8:9]
	;; [unrolled: 1-line block ×3, first 2 shown]
	s_waitcnt vmcnt(1)
	v_fmac_f64_e32 v[6:7], v[4:5], v[12:13]
	v_fmac_f64_e32 v[8:9], v[4:5], v[14:15]
	s_waitcnt vmcnt(0)
	v_fmac_f64_e32 v[0:1], v[4:5], v[18:19]
	global_store_dwordx4 v[16:17], v[6:9], off
	global_store_dwordx2 v[16:17], v[0:1], off offset:16
.LBB51_23:
	s_endpgm
	.section	.rodata,"a",@progbits
	.p2align	6, 0x0
	.amdhsa_kernel _ZN9rocsparseL19gebsrmvn_3xn_kernelILj128ELj4ELj64EdEEvi20rocsparse_direction_NS_24const_host_device_scalarIT2_EEPKiS6_PKS3_S8_S4_PS3_21rocsparse_index_base_b
		.amdhsa_group_segment_fixed_size 0
		.amdhsa_private_segment_fixed_size 0
		.amdhsa_kernarg_size 72
		.amdhsa_user_sgpr_count 2
		.amdhsa_user_sgpr_dispatch_ptr 0
		.amdhsa_user_sgpr_queue_ptr 0
		.amdhsa_user_sgpr_kernarg_segment_ptr 1
		.amdhsa_user_sgpr_dispatch_id 0
		.amdhsa_user_sgpr_kernarg_preload_length 0
		.amdhsa_user_sgpr_kernarg_preload_offset 0
		.amdhsa_user_sgpr_private_segment_size 0
		.amdhsa_uses_dynamic_stack 0
		.amdhsa_enable_private_segment 0
		.amdhsa_system_sgpr_workgroup_id_x 1
		.amdhsa_system_sgpr_workgroup_id_y 0
		.amdhsa_system_sgpr_workgroup_id_z 0
		.amdhsa_system_sgpr_workgroup_info 0
		.amdhsa_system_vgpr_workitem_id 0
		.amdhsa_next_free_vgpr 62
		.amdhsa_next_free_sgpr 18
		.amdhsa_accum_offset 64
		.amdhsa_reserve_vcc 1
		.amdhsa_float_round_mode_32 0
		.amdhsa_float_round_mode_16_64 0
		.amdhsa_float_denorm_mode_32 3
		.amdhsa_float_denorm_mode_16_64 3
		.amdhsa_dx10_clamp 1
		.amdhsa_ieee_mode 1
		.amdhsa_fp16_overflow 0
		.amdhsa_tg_split 0
		.amdhsa_exception_fp_ieee_invalid_op 0
		.amdhsa_exception_fp_denorm_src 0
		.amdhsa_exception_fp_ieee_div_zero 0
		.amdhsa_exception_fp_ieee_overflow 0
		.amdhsa_exception_fp_ieee_underflow 0
		.amdhsa_exception_fp_ieee_inexact 0
		.amdhsa_exception_int_div_zero 0
	.end_amdhsa_kernel
	.section	.text._ZN9rocsparseL19gebsrmvn_3xn_kernelILj128ELj4ELj64EdEEvi20rocsparse_direction_NS_24const_host_device_scalarIT2_EEPKiS6_PKS3_S8_S4_PS3_21rocsparse_index_base_b,"axG",@progbits,_ZN9rocsparseL19gebsrmvn_3xn_kernelILj128ELj4ELj64EdEEvi20rocsparse_direction_NS_24const_host_device_scalarIT2_EEPKiS6_PKS3_S8_S4_PS3_21rocsparse_index_base_b,comdat
.Lfunc_end51:
	.size	_ZN9rocsparseL19gebsrmvn_3xn_kernelILj128ELj4ELj64EdEEvi20rocsparse_direction_NS_24const_host_device_scalarIT2_EEPKiS6_PKS3_S8_S4_PS3_21rocsparse_index_base_b, .Lfunc_end51-_ZN9rocsparseL19gebsrmvn_3xn_kernelILj128ELj4ELj64EdEEvi20rocsparse_direction_NS_24const_host_device_scalarIT2_EEPKiS6_PKS3_S8_S4_PS3_21rocsparse_index_base_b
                                        ; -- End function
	.section	.AMDGPU.csdata,"",@progbits
; Kernel info:
; codeLenInByte = 1688
; NumSgprs: 24
; NumVgprs: 62
; NumAgprs: 0
; TotalNumVgprs: 62
; ScratchSize: 0
; MemoryBound: 0
; FloatMode: 240
; IeeeMode: 1
; LDSByteSize: 0 bytes/workgroup (compile time only)
; SGPRBlocks: 2
; VGPRBlocks: 7
; NumSGPRsForWavesPerEU: 24
; NumVGPRsForWavesPerEU: 62
; AccumOffset: 64
; Occupancy: 8
; WaveLimiterHint : 1
; COMPUTE_PGM_RSRC2:SCRATCH_EN: 0
; COMPUTE_PGM_RSRC2:USER_SGPR: 2
; COMPUTE_PGM_RSRC2:TRAP_HANDLER: 0
; COMPUTE_PGM_RSRC2:TGID_X_EN: 1
; COMPUTE_PGM_RSRC2:TGID_Y_EN: 0
; COMPUTE_PGM_RSRC2:TGID_Z_EN: 0
; COMPUTE_PGM_RSRC2:TIDIG_COMP_CNT: 0
; COMPUTE_PGM_RSRC3_GFX90A:ACCUM_OFFSET: 15
; COMPUTE_PGM_RSRC3_GFX90A:TG_SPLIT: 0
	.section	.text._ZN9rocsparseL19gebsrmvn_3xn_kernelILj128ELj5ELj4EdEEvi20rocsparse_direction_NS_24const_host_device_scalarIT2_EEPKiS6_PKS3_S8_S4_PS3_21rocsparse_index_base_b,"axG",@progbits,_ZN9rocsparseL19gebsrmvn_3xn_kernelILj128ELj5ELj4EdEEvi20rocsparse_direction_NS_24const_host_device_scalarIT2_EEPKiS6_PKS3_S8_S4_PS3_21rocsparse_index_base_b,comdat
	.globl	_ZN9rocsparseL19gebsrmvn_3xn_kernelILj128ELj5ELj4EdEEvi20rocsparse_direction_NS_24const_host_device_scalarIT2_EEPKiS6_PKS3_S8_S4_PS3_21rocsparse_index_base_b ; -- Begin function _ZN9rocsparseL19gebsrmvn_3xn_kernelILj128ELj5ELj4EdEEvi20rocsparse_direction_NS_24const_host_device_scalarIT2_EEPKiS6_PKS3_S8_S4_PS3_21rocsparse_index_base_b
	.p2align	8
	.type	_ZN9rocsparseL19gebsrmvn_3xn_kernelILj128ELj5ELj4EdEEvi20rocsparse_direction_NS_24const_host_device_scalarIT2_EEPKiS6_PKS3_S8_S4_PS3_21rocsparse_index_base_b,@function
_ZN9rocsparseL19gebsrmvn_3xn_kernelILj128ELj5ELj4EdEEvi20rocsparse_direction_NS_24const_host_device_scalarIT2_EEPKiS6_PKS3_S8_S4_PS3_21rocsparse_index_base_b: ; @_ZN9rocsparseL19gebsrmvn_3xn_kernelILj128ELj5ELj4EdEEvi20rocsparse_direction_NS_24const_host_device_scalarIT2_EEPKiS6_PKS3_S8_S4_PS3_21rocsparse_index_base_b
; %bb.0:
	s_load_dwordx2 s[12:13], s[0:1], 0x40
	s_load_dwordx2 s[8:9], s[0:1], 0x8
	s_load_dwordx2 s[4:5], s[0:1], 0x30
	s_waitcnt lgkmcnt(0)
	s_bitcmp1_b32 s13, 0
	s_cselect_b64 s[10:11], -1, 0
	s_xor_b64 s[6:7], s[10:11], -1
	s_and_b64 vcc, exec, s[10:11]
	v_mov_b64_e32 v[2:3], s[8:9]
	s_cbranch_vccnz .LBB52_2
; %bb.1:
	v_mov_b64_e32 v[2:3], s[8:9]
	flat_load_dwordx2 v[2:3], v[2:3]
.LBB52_2:
	s_andn2_b64 vcc, exec, s[6:7]
	v_mov_b64_e32 v[4:5], s[4:5]
	s_cbranch_vccnz .LBB52_4
; %bb.3:
	v_mov_b64_e32 v[4:5], s[4:5]
	flat_load_dwordx2 v[4:5], v[4:5]
.LBB52_4:
	s_waitcnt vmcnt(0) lgkmcnt(0)
	v_cmp_neq_f64_e32 vcc, 0, v[2:3]
	v_cmp_neq_f64_e64 s[4:5], 1.0, v[4:5]
	s_or_b64 s[4:5], vcc, s[4:5]
	s_and_saveexec_b64 s[6:7], s[4:5]
	s_cbranch_execz .LBB52_23
; %bb.5:
	s_load_dwordx2 s[14:15], s[0:1], 0x0
	v_lshrrev_b32_e32 v1, 2, v0
	v_lshl_or_b32 v6, s2, 5, v1
	s_waitcnt lgkmcnt(0)
	v_cmp_gt_i32_e32 vcc, s14, v6
	s_and_b64 exec, exec, vcc
	s_cbranch_execz .LBB52_23
; %bb.6:
	s_load_dwordx8 s[4:11], s[0:1], 0x10
	v_ashrrev_i32_e32 v7, 31, v6
	s_cmp_lg_u32 s15, 0
	s_waitcnt lgkmcnt(0)
	v_lshl_add_u64 v[8:9], v[6:7], 2, s[4:5]
	global_load_dwordx2 v[8:9], v[8:9], off
	v_and_b32_e32 v7, 3, v0
	s_waitcnt vmcnt(0)
	v_subrev_u32_e32 v0, s12, v8
	v_subrev_u32_e32 v20, s12, v9
	v_add_u32_e32 v10, v0, v7
	v_cmp_lt_i32_e64 s[2:3], v10, v20
	s_cbranch_scc0 .LBB52_12
; %bb.7:
	v_mov_b64_e32 v[0:1], 0
	s_mov_b64 s[4:5], 0
	v_mov_b64_e32 v[8:9], v[0:1]
	v_mov_b64_e32 v[12:13], v[0:1]
	s_and_saveexec_b64 s[14:15], s[2:3]
	s_cbranch_execz .LBB52_11
; %bb.8:
	v_mad_u64_u32 v[14:15], s[16:17], v10, 15, 14
	v_mov_b64_e32 v[0:1], 0
	s_mov_b64 s[16:17], 0
	v_mov_b32_e32 v17, 0
	v_mov_b32_e32 v18, v10
	v_mov_b64_e32 v[8:9], v[0:1]
	v_mov_b64_e32 v[12:13], v[0:1]
.LBB52_9:                               ; =>This Inner Loop Header: Depth=1
	v_ashrrev_i32_e32 v19, 31, v18
	v_lshl_add_u64 v[22:23], v[18:19], 2, s[6:7]
	global_load_dword v11, v[22:23], off
	v_add_u32_e32 v16, -14, v14
	v_lshl_add_u64 v[24:25], v[16:17], 3, s[8:9]
	v_add_u32_e32 v16, -13, v14
	v_lshl_add_u64 v[28:29], v[16:17], 3, s[8:9]
	;; [unrolled: 2-line block ×4, first 2 shown]
	global_load_dwordx2 v[24:25], v[24:25], off
	v_mov_b32_e32 v23, v17
	global_load_dwordx2 v[28:29], v[28:29], off
	s_nop 0
	global_load_dwordx2 v[34:35], v[30:31], off
	global_load_dwordx2 v[36:37], v[32:33], off
	v_mov_b32_e32 v15, v17
	v_lshl_add_u64 v[26:27], v[14:15], 3, s[8:9]
	v_add_u32_e32 v18, 4, v18
	v_cmp_ge_i32_e32 vcc, v18, v20
	s_or_b64 s[16:17], vcc, s[16:17]
	s_waitcnt vmcnt(4)
	v_subrev_u32_e32 v11, s12, v11
	v_lshl_add_u32 v22, v11, 2, v11
	v_add_u32_e32 v16, 1, v22
	v_lshl_add_u64 v[32:33], v[16:17], 3, s[10:11]
	v_add_u32_e32 v16, -10, v14
	v_lshl_add_u64 v[38:39], v[16:17], 3, s[8:9]
	v_add_u32_e32 v16, -9, v14
	v_lshl_add_u64 v[40:41], v[16:17], 3, s[8:9]
	v_add_u32_e32 v16, -8, v14
	v_lshl_add_u64 v[30:31], v[22:23], 3, s[10:11]
	v_lshl_add_u64 v[42:43], v[16:17], 3, s[8:9]
	v_add_u32_e32 v16, 2, v22
	global_load_dwordx2 v[30:31], v[30:31], off
	s_nop 0
	global_load_dwordx2 v[32:33], v[32:33], off
	s_waitcnt vmcnt(1)
	v_fmac_f64_e32 v[0:1], v[24:25], v[30:31]
	global_load_dwordx2 v[38:39], v[38:39], off
	s_nop 0
	global_load_dwordx2 v[44:45], v[40:41], off
	global_load_dwordx2 v[46:47], v[42:43], off
	v_lshl_add_u64 v[40:41], v[16:17], 3, s[10:11]
	v_add_u32_e32 v16, -7, v14
	v_lshl_add_u64 v[42:43], v[16:17], 3, s[8:9]
	v_add_u32_e32 v16, -6, v14
	;; [unrolled: 2-line block ×3, first 2 shown]
	v_lshl_add_u64 v[50:51], v[16:17], 3, s[8:9]
	v_add_u32_e32 v16, 3, v22
	global_load_dwordx2 v[40:41], v[40:41], off
	v_fmac_f64_e32 v[12:13], v[28:29], v[30:31]
	global_load_dwordx2 v[42:43], v[42:43], off
	s_nop 0
	global_load_dwordx2 v[52:53], v[48:49], off
	global_load_dwordx2 v[54:55], v[50:51], off
	v_lshl_add_u64 v[48:49], v[16:17], 3, s[10:11]
	v_add_u32_e32 v16, -4, v14
	v_lshl_add_u64 v[50:51], v[16:17], 3, s[8:9]
	v_add_u32_e32 v16, -3, v14
	;; [unrolled: 2-line block ×3, first 2 shown]
	v_lshl_add_u64 v[58:59], v[16:17], 3, s[8:9]
	v_add_u32_e32 v16, 4, v22
	global_load_dwordx2 v[48:49], v[48:49], off
	v_fmac_f64_e32 v[8:9], v[34:35], v[30:31]
	global_load_dwordx2 v[50:51], v[50:51], off
	s_nop 0
	global_load_dwordx2 v[22:23], v[56:57], off
	global_load_dwordx2 v[60:61], v[58:59], off
	v_lshl_add_u64 v[56:57], v[16:17], 3, s[10:11]
	v_add_u32_e32 v16, -1, v14
	v_lshl_add_u64 v[58:59], v[16:17], 3, s[8:9]
	global_load_dwordx2 v[56:57], v[56:57], off
	s_nop 0
	global_load_dwordx2 v[62:63], v[58:59], off
	global_load_dwordx2 v[64:65], v[26:27], off
	s_waitcnt vmcnt(14)
	v_fmac_f64_e32 v[0:1], v[36:37], v[32:33]
	v_add_u32_e32 v14, 60, v14
	s_waitcnt vmcnt(13)
	v_fmac_f64_e32 v[12:13], v[38:39], v[32:33]
	s_waitcnt vmcnt(12)
	v_fmac_f64_e32 v[8:9], v[44:45], v[32:33]
	;; [unrolled: 2-line block ×11, first 2 shown]
	s_andn2_b64 exec, exec, s[16:17]
	s_cbranch_execnz .LBB52_9
; %bb.10:
	s_or_b64 exec, exec, s[16:17]
.LBB52_11:
	s_or_b64 exec, exec, s[14:15]
	s_andn2_b64 vcc, exec, s[4:5]
	s_cbranch_vccz .LBB52_13
	s_branch .LBB52_18
.LBB52_12:
                                        ; implicit-def: $vgpr0_vgpr1
                                        ; implicit-def: $vgpr8_vgpr9
                                        ; implicit-def: $vgpr12_vgpr13
.LBB52_13:
	v_mov_b64_e32 v[0:1], 0
	v_mov_b64_e32 v[8:9], v[0:1]
	;; [unrolled: 1-line block ×3, first 2 shown]
	s_and_saveexec_b64 s[4:5], s[2:3]
	s_cbranch_execz .LBB52_17
; %bb.14:
	v_mad_u64_u32 v[14:15], s[2:3], v10, 15, 14
	v_mov_b64_e32 v[0:1], 0
	s_mov_b64 s[2:3], 0
	v_mov_b32_e32 v17, 0
	v_mov_b64_e32 v[8:9], v[0:1]
	v_mov_b64_e32 v[12:13], v[0:1]
.LBB52_15:                              ; =>This Inner Loop Header: Depth=1
	v_ashrrev_i32_e32 v11, 31, v10
	v_lshl_add_u64 v[18:19], v[10:11], 2, s[6:7]
	global_load_dword v11, v[18:19], off
	v_add_u32_e32 v16, -14, v14
	v_add_u32_e32 v18, -9, v14
	;; [unrolled: 1-line block ×3, first 2 shown]
	v_mov_b32_e32 v19, v17
	v_mov_b32_e32 v23, v17
	v_lshl_add_u64 v[26:27], v[16:17], 3, s[8:9]
	v_add_u32_e32 v16, -13, v14
	v_lshl_add_u64 v[18:19], v[18:19], 3, s[8:9]
	v_lshl_add_u64 v[22:23], v[22:23], 3, s[8:9]
	;; [unrolled: 1-line block ×3, first 2 shown]
	global_load_dwordx2 v[26:27], v[26:27], off
	s_nop 0
	global_load_dwordx2 v[32:33], v[18:19], off
	global_load_dwordx2 v[34:35], v[22:23], off
	global_load_dwordx2 v[36:37], v[30:31], off
	v_mov_b32_e32 v25, v17
	v_mov_b32_e32 v15, v17
	v_lshl_add_u64 v[28:29], v[14:15], 3, s[8:9]
	v_add_u32_e32 v10, 4, v10
	v_cmp_ge_i32_e32 vcc, v10, v20
	s_or_b64 s[2:3], vcc, s[2:3]
	s_waitcnt vmcnt(4)
	v_subrev_u32_e32 v11, s12, v11
	v_lshl_add_u32 v24, v11, 2, v11
	v_add_u32_e32 v16, 1, v24
	v_lshl_add_u64 v[22:23], v[16:17], 3, s[10:11]
	v_add_u32_e32 v16, -8, v14
	v_lshl_add_u64 v[30:31], v[16:17], 3, s[8:9]
	v_add_u32_e32 v16, -3, v14
	;; [unrolled: 2-line block ×3, first 2 shown]
	v_lshl_add_u64 v[18:19], v[24:25], 3, s[10:11]
	v_lshl_add_u64 v[40:41], v[16:17], 3, s[8:9]
	v_add_u32_e32 v16, 2, v24
	global_load_dwordx2 v[18:19], v[18:19], off
	s_nop 0
	global_load_dwordx2 v[22:23], v[22:23], off
	s_waitcnt vmcnt(1)
	v_fmac_f64_e32 v[0:1], v[26:27], v[18:19]
	global_load_dwordx2 v[30:31], v[30:31], off
	s_nop 0
	global_load_dwordx2 v[42:43], v[38:39], off
	global_load_dwordx2 v[44:45], v[40:41], off
	v_lshl_add_u64 v[38:39], v[16:17], 3, s[10:11]
	v_add_u32_e32 v16, -7, v14
	v_lshl_add_u64 v[40:41], v[16:17], 3, s[8:9]
	v_add_u32_e32 v16, -2, v14
	;; [unrolled: 2-line block ×3, first 2 shown]
	v_lshl_add_u64 v[48:49], v[16:17], 3, s[8:9]
	v_add_u32_e32 v16, 3, v24
	global_load_dwordx2 v[38:39], v[38:39], off
	v_fmac_f64_e32 v[12:13], v[32:33], v[18:19]
	global_load_dwordx2 v[40:41], v[40:41], off
	s_nop 0
	global_load_dwordx2 v[50:51], v[46:47], off
	global_load_dwordx2 v[52:53], v[48:49], off
	v_lshl_add_u64 v[46:47], v[16:17], 3, s[10:11]
	v_add_u32_e32 v16, -6, v14
	v_lshl_add_u64 v[48:49], v[16:17], 3, s[8:9]
	v_add_u32_e32 v16, -1, v14
	;; [unrolled: 2-line block ×3, first 2 shown]
	v_lshl_add_u64 v[56:57], v[16:17], 3, s[8:9]
	v_add_u32_e32 v16, 4, v24
	global_load_dwordx2 v[46:47], v[46:47], off
	v_fmac_f64_e32 v[8:9], v[34:35], v[18:19]
	global_load_dwordx2 v[48:49], v[48:49], off
	s_nop 0
	global_load_dwordx2 v[24:25], v[54:55], off
	global_load_dwordx2 v[58:59], v[56:57], off
	v_lshl_add_u64 v[54:55], v[16:17], 3, s[10:11]
	v_add_u32_e32 v16, -5, v14
	v_lshl_add_u64 v[56:57], v[16:17], 3, s[8:9]
	global_load_dwordx2 v[54:55], v[54:55], off
	s_nop 0
	global_load_dwordx2 v[60:61], v[56:57], off
	global_load_dwordx2 v[62:63], v[28:29], off
	s_waitcnt vmcnt(14)
	v_fmac_f64_e32 v[0:1], v[36:37], v[22:23]
	v_add_u32_e32 v14, 60, v14
	s_waitcnt vmcnt(13)
	v_fmac_f64_e32 v[12:13], v[30:31], v[22:23]
	s_waitcnt vmcnt(12)
	v_fmac_f64_e32 v[8:9], v[42:43], v[22:23]
	;; [unrolled: 2-line block ×11, first 2 shown]
	s_andn2_b64 exec, exec, s[2:3]
	s_cbranch_execnz .LBB52_15
; %bb.16:
	s_or_b64 exec, exec, s[2:3]
.LBB52_17:
	s_or_b64 exec, exec, s[4:5]
.LBB52_18:
	v_mov_b32_dpp v10, v0 row_shr:1 row_mask:0xf bank_mask:0xf
	v_mov_b32_dpp v11, v1 row_shr:1 row_mask:0xf bank_mask:0xf
	;; [unrolled: 1-line block ×6, first 2 shown]
	v_add_f64 v[0:1], v[0:1], v[10:11]
	v_add_f64 v[12:13], v[12:13], v[14:15]
	;; [unrolled: 1-line block ×3, first 2 shown]
	v_mov_b32_dpp v10, v0 row_shr:2 row_mask:0xf bank_mask:0xf
	v_mov_b32_dpp v11, v1 row_shr:2 row_mask:0xf bank_mask:0xf
	;; [unrolled: 1-line block ×6, first 2 shown]
	v_cmp_eq_u32_e32 vcc, 3, v7
	s_and_b64 exec, exec, vcc
	s_cbranch_execz .LBB52_23
; %bb.19:
	s_load_dwordx2 s[0:1], s[0:1], 0x38
	v_add_f64 v[10:11], v[0:1], v[10:11]
	v_add_f64 v[8:9], v[12:13], v[14:15]
	;; [unrolled: 1-line block ×3, first 2 shown]
	v_cmp_eq_f64_e32 vcc, 0, v[4:5]
	s_and_saveexec_b64 s[2:3], vcc
	s_xor_b64 s[2:3], exec, s[2:3]
	s_cbranch_execz .LBB52_21
; %bb.20:
	v_lshl_add_u32 v6, v6, 1, v6
	v_ashrrev_i32_e32 v7, 31, v6
	v_mul_f64 v[4:5], v[2:3], v[10:11]
	s_waitcnt lgkmcnt(0)
	v_lshl_add_u64 v[10:11], v[6:7], 3, s[0:1]
	v_mul_f64 v[6:7], v[2:3], v[8:9]
	v_mul_f64 v[0:1], v[2:3], v[0:1]
	global_store_dwordx4 v[10:11], v[4:7], off
	global_store_dwordx2 v[10:11], v[0:1], off offset:16
                                        ; implicit-def: $vgpr6
                                        ; implicit-def: $vgpr2_vgpr3
                                        ; implicit-def: $vgpr10_vgpr11
                                        ; implicit-def: $vgpr4_vgpr5
                                        ; implicit-def: $vgpr8_vgpr9
                                        ; implicit-def: $vgpr0_vgpr1
.LBB52_21:
	s_andn2_saveexec_b64 s[2:3], s[2:3]
	s_cbranch_execz .LBB52_23
; %bb.22:
	v_lshl_add_u32 v6, v6, 1, v6
	v_ashrrev_i32_e32 v7, 31, v6
	s_waitcnt lgkmcnt(0)
	v_lshl_add_u64 v[16:17], v[6:7], 3, s[0:1]
	global_load_dwordx4 v[12:15], v[16:17], off
	global_load_dwordx2 v[18:19], v[16:17], off offset:16
	v_mul_f64 v[6:7], v[2:3], v[10:11]
	v_mul_f64 v[8:9], v[2:3], v[8:9]
	;; [unrolled: 1-line block ×3, first 2 shown]
	s_waitcnt vmcnt(1)
	v_fmac_f64_e32 v[6:7], v[4:5], v[12:13]
	v_fmac_f64_e32 v[8:9], v[4:5], v[14:15]
	s_waitcnt vmcnt(0)
	v_fmac_f64_e32 v[0:1], v[4:5], v[18:19]
	global_store_dwordx4 v[16:17], v[6:9], off
	global_store_dwordx2 v[16:17], v[0:1], off offset:16
.LBB52_23:
	s_endpgm
	.section	.rodata,"a",@progbits
	.p2align	6, 0x0
	.amdhsa_kernel _ZN9rocsparseL19gebsrmvn_3xn_kernelILj128ELj5ELj4EdEEvi20rocsparse_direction_NS_24const_host_device_scalarIT2_EEPKiS6_PKS3_S8_S4_PS3_21rocsparse_index_base_b
		.amdhsa_group_segment_fixed_size 0
		.amdhsa_private_segment_fixed_size 0
		.amdhsa_kernarg_size 72
		.amdhsa_user_sgpr_count 2
		.amdhsa_user_sgpr_dispatch_ptr 0
		.amdhsa_user_sgpr_queue_ptr 0
		.amdhsa_user_sgpr_kernarg_segment_ptr 1
		.amdhsa_user_sgpr_dispatch_id 0
		.amdhsa_user_sgpr_kernarg_preload_length 0
		.amdhsa_user_sgpr_kernarg_preload_offset 0
		.amdhsa_user_sgpr_private_segment_size 0
		.amdhsa_uses_dynamic_stack 0
		.amdhsa_enable_private_segment 0
		.amdhsa_system_sgpr_workgroup_id_x 1
		.amdhsa_system_sgpr_workgroup_id_y 0
		.amdhsa_system_sgpr_workgroup_id_z 0
		.amdhsa_system_sgpr_workgroup_info 0
		.amdhsa_system_vgpr_workitem_id 0
		.amdhsa_next_free_vgpr 66
		.amdhsa_next_free_sgpr 18
		.amdhsa_accum_offset 68
		.amdhsa_reserve_vcc 1
		.amdhsa_float_round_mode_32 0
		.amdhsa_float_round_mode_16_64 0
		.amdhsa_float_denorm_mode_32 3
		.amdhsa_float_denorm_mode_16_64 3
		.amdhsa_dx10_clamp 1
		.amdhsa_ieee_mode 1
		.amdhsa_fp16_overflow 0
		.amdhsa_tg_split 0
		.amdhsa_exception_fp_ieee_invalid_op 0
		.amdhsa_exception_fp_denorm_src 0
		.amdhsa_exception_fp_ieee_div_zero 0
		.amdhsa_exception_fp_ieee_overflow 0
		.amdhsa_exception_fp_ieee_underflow 0
		.amdhsa_exception_fp_ieee_inexact 0
		.amdhsa_exception_int_div_zero 0
	.end_amdhsa_kernel
	.section	.text._ZN9rocsparseL19gebsrmvn_3xn_kernelILj128ELj5ELj4EdEEvi20rocsparse_direction_NS_24const_host_device_scalarIT2_EEPKiS6_PKS3_S8_S4_PS3_21rocsparse_index_base_b,"axG",@progbits,_ZN9rocsparseL19gebsrmvn_3xn_kernelILj128ELj5ELj4EdEEvi20rocsparse_direction_NS_24const_host_device_scalarIT2_EEPKiS6_PKS3_S8_S4_PS3_21rocsparse_index_base_b,comdat
.Lfunc_end52:
	.size	_ZN9rocsparseL19gebsrmvn_3xn_kernelILj128ELj5ELj4EdEEvi20rocsparse_direction_NS_24const_host_device_scalarIT2_EEPKiS6_PKS3_S8_S4_PS3_21rocsparse_index_base_b, .Lfunc_end52-_ZN9rocsparseL19gebsrmvn_3xn_kernelILj128ELj5ELj4EdEEvi20rocsparse_direction_NS_24const_host_device_scalarIT2_EEPKiS6_PKS3_S8_S4_PS3_21rocsparse_index_base_b
                                        ; -- End function
	.section	.AMDGPU.csdata,"",@progbits
; Kernel info:
; codeLenInByte = 1908
; NumSgprs: 24
; NumVgprs: 66
; NumAgprs: 0
; TotalNumVgprs: 66
; ScratchSize: 0
; MemoryBound: 0
; FloatMode: 240
; IeeeMode: 1
; LDSByteSize: 0 bytes/workgroup (compile time only)
; SGPRBlocks: 2
; VGPRBlocks: 8
; NumSGPRsForWavesPerEU: 24
; NumVGPRsForWavesPerEU: 66
; AccumOffset: 68
; Occupancy: 7
; WaveLimiterHint : 1
; COMPUTE_PGM_RSRC2:SCRATCH_EN: 0
; COMPUTE_PGM_RSRC2:USER_SGPR: 2
; COMPUTE_PGM_RSRC2:TRAP_HANDLER: 0
; COMPUTE_PGM_RSRC2:TGID_X_EN: 1
; COMPUTE_PGM_RSRC2:TGID_Y_EN: 0
; COMPUTE_PGM_RSRC2:TGID_Z_EN: 0
; COMPUTE_PGM_RSRC2:TIDIG_COMP_CNT: 0
; COMPUTE_PGM_RSRC3_GFX90A:ACCUM_OFFSET: 16
; COMPUTE_PGM_RSRC3_GFX90A:TG_SPLIT: 0
	.section	.text._ZN9rocsparseL19gebsrmvn_3xn_kernelILj128ELj5ELj8EdEEvi20rocsparse_direction_NS_24const_host_device_scalarIT2_EEPKiS6_PKS3_S8_S4_PS3_21rocsparse_index_base_b,"axG",@progbits,_ZN9rocsparseL19gebsrmvn_3xn_kernelILj128ELj5ELj8EdEEvi20rocsparse_direction_NS_24const_host_device_scalarIT2_EEPKiS6_PKS3_S8_S4_PS3_21rocsparse_index_base_b,comdat
	.globl	_ZN9rocsparseL19gebsrmvn_3xn_kernelILj128ELj5ELj8EdEEvi20rocsparse_direction_NS_24const_host_device_scalarIT2_EEPKiS6_PKS3_S8_S4_PS3_21rocsparse_index_base_b ; -- Begin function _ZN9rocsparseL19gebsrmvn_3xn_kernelILj128ELj5ELj8EdEEvi20rocsparse_direction_NS_24const_host_device_scalarIT2_EEPKiS6_PKS3_S8_S4_PS3_21rocsparse_index_base_b
	.p2align	8
	.type	_ZN9rocsparseL19gebsrmvn_3xn_kernelILj128ELj5ELj8EdEEvi20rocsparse_direction_NS_24const_host_device_scalarIT2_EEPKiS6_PKS3_S8_S4_PS3_21rocsparse_index_base_b,@function
_ZN9rocsparseL19gebsrmvn_3xn_kernelILj128ELj5ELj8EdEEvi20rocsparse_direction_NS_24const_host_device_scalarIT2_EEPKiS6_PKS3_S8_S4_PS3_21rocsparse_index_base_b: ; @_ZN9rocsparseL19gebsrmvn_3xn_kernelILj128ELj5ELj8EdEEvi20rocsparse_direction_NS_24const_host_device_scalarIT2_EEPKiS6_PKS3_S8_S4_PS3_21rocsparse_index_base_b
; %bb.0:
	s_load_dwordx2 s[12:13], s[0:1], 0x40
	s_load_dwordx2 s[8:9], s[0:1], 0x8
	;; [unrolled: 1-line block ×3, first 2 shown]
	s_waitcnt lgkmcnt(0)
	s_bitcmp1_b32 s13, 0
	s_cselect_b64 s[10:11], -1, 0
	s_xor_b64 s[6:7], s[10:11], -1
	s_and_b64 vcc, exec, s[10:11]
	v_mov_b64_e32 v[2:3], s[8:9]
	s_cbranch_vccnz .LBB53_2
; %bb.1:
	v_mov_b64_e32 v[2:3], s[8:9]
	flat_load_dwordx2 v[2:3], v[2:3]
.LBB53_2:
	s_andn2_b64 vcc, exec, s[6:7]
	v_mov_b64_e32 v[4:5], s[4:5]
	s_cbranch_vccnz .LBB53_4
; %bb.3:
	v_mov_b64_e32 v[4:5], s[4:5]
	flat_load_dwordx2 v[4:5], v[4:5]
.LBB53_4:
	s_waitcnt vmcnt(0) lgkmcnt(0)
	v_cmp_neq_f64_e32 vcc, 0, v[2:3]
	v_cmp_neq_f64_e64 s[4:5], 1.0, v[4:5]
	s_or_b64 s[4:5], vcc, s[4:5]
	s_and_saveexec_b64 s[6:7], s[4:5]
	s_cbranch_execz .LBB53_23
; %bb.5:
	s_load_dwordx2 s[14:15], s[0:1], 0x0
	v_lshrrev_b32_e32 v1, 3, v0
	v_lshl_or_b32 v6, s2, 4, v1
	s_waitcnt lgkmcnt(0)
	v_cmp_gt_i32_e32 vcc, s14, v6
	s_and_b64 exec, exec, vcc
	s_cbranch_execz .LBB53_23
; %bb.6:
	s_load_dwordx8 s[4:11], s[0:1], 0x10
	v_ashrrev_i32_e32 v7, 31, v6
	s_cmp_lg_u32 s15, 0
	s_waitcnt lgkmcnt(0)
	v_lshl_add_u64 v[8:9], v[6:7], 2, s[4:5]
	global_load_dwordx2 v[8:9], v[8:9], off
	v_and_b32_e32 v7, 7, v0
	s_waitcnt vmcnt(0)
	v_subrev_u32_e32 v0, s12, v8
	v_subrev_u32_e32 v20, s12, v9
	v_add_u32_e32 v10, v0, v7
	v_cmp_lt_i32_e64 s[2:3], v10, v20
	s_cbranch_scc0 .LBB53_12
; %bb.7:
	v_mov_b64_e32 v[8:9], 0
	s_mov_b64 s[4:5], 0
	v_mov_b64_e32 v[0:1], v[8:9]
	v_mov_b64_e32 v[12:13], v[8:9]
	s_and_saveexec_b64 s[14:15], s[2:3]
	s_cbranch_execz .LBB53_11
; %bb.8:
	v_mad_u64_u32 v[14:15], s[16:17], v10, 15, 14
	v_mov_b64_e32 v[8:9], 0
	s_mov_b64 s[16:17], 0
	v_mov_b32_e32 v17, 0
	v_mov_b32_e32 v18, v10
	v_mov_b64_e32 v[0:1], v[8:9]
	v_mov_b64_e32 v[12:13], v[8:9]
.LBB53_9:                               ; =>This Inner Loop Header: Depth=1
	v_ashrrev_i32_e32 v19, 31, v18
	v_lshl_add_u64 v[22:23], v[18:19], 2, s[6:7]
	global_load_dword v11, v[22:23], off
	v_add_u32_e32 v16, -14, v14
	v_lshl_add_u64 v[24:25], v[16:17], 3, s[8:9]
	v_add_u32_e32 v16, -13, v14
	v_lshl_add_u64 v[28:29], v[16:17], 3, s[8:9]
	;; [unrolled: 2-line block ×4, first 2 shown]
	global_load_dwordx2 v[24:25], v[24:25], off
	v_mov_b32_e32 v23, v17
	global_load_dwordx2 v[28:29], v[28:29], off
	s_nop 0
	global_load_dwordx2 v[34:35], v[30:31], off
	global_load_dwordx2 v[36:37], v[32:33], off
	v_mov_b32_e32 v15, v17
	v_lshl_add_u64 v[26:27], v[14:15], 3, s[8:9]
	v_add_u32_e32 v18, 8, v18
	v_cmp_ge_i32_e32 vcc, v18, v20
	s_or_b64 s[16:17], vcc, s[16:17]
	s_waitcnt vmcnt(4)
	v_subrev_u32_e32 v11, s12, v11
	v_lshl_add_u32 v22, v11, 2, v11
	v_add_u32_e32 v16, 1, v22
	v_lshl_add_u64 v[32:33], v[16:17], 3, s[10:11]
	v_add_u32_e32 v16, -10, v14
	v_lshl_add_u64 v[38:39], v[16:17], 3, s[8:9]
	v_add_u32_e32 v16, -9, v14
	v_lshl_add_u64 v[40:41], v[16:17], 3, s[8:9]
	v_add_u32_e32 v16, -8, v14
	v_lshl_add_u64 v[30:31], v[22:23], 3, s[10:11]
	v_lshl_add_u64 v[42:43], v[16:17], 3, s[8:9]
	v_add_u32_e32 v16, 2, v22
	global_load_dwordx2 v[30:31], v[30:31], off
	s_nop 0
	global_load_dwordx2 v[32:33], v[32:33], off
	s_waitcnt vmcnt(1)
	v_fmac_f64_e32 v[8:9], v[24:25], v[30:31]
	global_load_dwordx2 v[38:39], v[38:39], off
	s_nop 0
	global_load_dwordx2 v[44:45], v[40:41], off
	global_load_dwordx2 v[46:47], v[42:43], off
	v_lshl_add_u64 v[40:41], v[16:17], 3, s[10:11]
	v_add_u32_e32 v16, -7, v14
	v_lshl_add_u64 v[42:43], v[16:17], 3, s[8:9]
	v_add_u32_e32 v16, -6, v14
	v_lshl_add_u64 v[48:49], v[16:17], 3, s[8:9]
	v_add_u32_e32 v16, -5, v14
	v_lshl_add_u64 v[50:51], v[16:17], 3, s[8:9]
	v_add_u32_e32 v16, 3, v22
	global_load_dwordx2 v[40:41], v[40:41], off
	v_fmac_f64_e32 v[12:13], v[28:29], v[30:31]
	global_load_dwordx2 v[42:43], v[42:43], off
	s_nop 0
	global_load_dwordx2 v[52:53], v[48:49], off
	global_load_dwordx2 v[54:55], v[50:51], off
	v_lshl_add_u64 v[48:49], v[16:17], 3, s[10:11]
	v_add_u32_e32 v16, -4, v14
	v_lshl_add_u64 v[50:51], v[16:17], 3, s[8:9]
	v_add_u32_e32 v16, -3, v14
	;; [unrolled: 2-line block ×3, first 2 shown]
	v_lshl_add_u64 v[58:59], v[16:17], 3, s[8:9]
	v_add_u32_e32 v16, 4, v22
	global_load_dwordx2 v[48:49], v[48:49], off
	v_fmac_f64_e32 v[0:1], v[34:35], v[30:31]
	global_load_dwordx2 v[50:51], v[50:51], off
	s_nop 0
	global_load_dwordx2 v[22:23], v[56:57], off
	global_load_dwordx2 v[60:61], v[58:59], off
	v_lshl_add_u64 v[56:57], v[16:17], 3, s[10:11]
	v_add_u32_e32 v16, -1, v14
	v_lshl_add_u64 v[58:59], v[16:17], 3, s[8:9]
	global_load_dwordx2 v[56:57], v[56:57], off
	s_nop 0
	global_load_dwordx2 v[62:63], v[58:59], off
	global_load_dwordx2 v[64:65], v[26:27], off
	s_waitcnt vmcnt(14)
	v_fmac_f64_e32 v[8:9], v[36:37], v[32:33]
	v_add_u32_e32 v14, 0x78, v14
	s_waitcnt vmcnt(13)
	v_fmac_f64_e32 v[12:13], v[38:39], v[32:33]
	s_waitcnt vmcnt(12)
	v_fmac_f64_e32 v[0:1], v[44:45], v[32:33]
	;; [unrolled: 2-line block ×11, first 2 shown]
	s_andn2_b64 exec, exec, s[16:17]
	s_cbranch_execnz .LBB53_9
; %bb.10:
	s_or_b64 exec, exec, s[16:17]
.LBB53_11:
	s_or_b64 exec, exec, s[14:15]
	s_andn2_b64 vcc, exec, s[4:5]
	s_cbranch_vccz .LBB53_13
	s_branch .LBB53_18
.LBB53_12:
                                        ; implicit-def: $vgpr8_vgpr9
                                        ; implicit-def: $vgpr0_vgpr1
                                        ; implicit-def: $vgpr12_vgpr13
.LBB53_13:
	v_mov_b64_e32 v[8:9], 0
	v_mov_b64_e32 v[0:1], v[8:9]
	;; [unrolled: 1-line block ×3, first 2 shown]
	s_and_saveexec_b64 s[4:5], s[2:3]
	s_cbranch_execz .LBB53_17
; %bb.14:
	v_mad_u64_u32 v[14:15], s[2:3], v10, 15, 14
	v_mov_b64_e32 v[8:9], 0
	s_mov_b64 s[2:3], 0
	v_mov_b32_e32 v17, 0
	v_mov_b64_e32 v[0:1], v[8:9]
	v_mov_b64_e32 v[12:13], v[8:9]
.LBB53_15:                              ; =>This Inner Loop Header: Depth=1
	v_ashrrev_i32_e32 v11, 31, v10
	v_lshl_add_u64 v[18:19], v[10:11], 2, s[6:7]
	global_load_dword v11, v[18:19], off
	v_add_u32_e32 v16, -14, v14
	v_add_u32_e32 v18, -9, v14
	;; [unrolled: 1-line block ×3, first 2 shown]
	v_mov_b32_e32 v19, v17
	v_mov_b32_e32 v23, v17
	v_lshl_add_u64 v[26:27], v[16:17], 3, s[8:9]
	v_add_u32_e32 v16, -13, v14
	v_lshl_add_u64 v[18:19], v[18:19], 3, s[8:9]
	v_lshl_add_u64 v[22:23], v[22:23], 3, s[8:9]
	;; [unrolled: 1-line block ×3, first 2 shown]
	global_load_dwordx2 v[26:27], v[26:27], off
	s_nop 0
	global_load_dwordx2 v[32:33], v[18:19], off
	global_load_dwordx2 v[34:35], v[22:23], off
	;; [unrolled: 1-line block ×3, first 2 shown]
	v_mov_b32_e32 v25, v17
	v_mov_b32_e32 v15, v17
	v_lshl_add_u64 v[28:29], v[14:15], 3, s[8:9]
	v_add_u32_e32 v10, 8, v10
	v_cmp_ge_i32_e32 vcc, v10, v20
	s_or_b64 s[2:3], vcc, s[2:3]
	s_waitcnt vmcnt(4)
	v_subrev_u32_e32 v11, s12, v11
	v_lshl_add_u32 v24, v11, 2, v11
	v_add_u32_e32 v16, 1, v24
	v_lshl_add_u64 v[22:23], v[16:17], 3, s[10:11]
	v_add_u32_e32 v16, -8, v14
	v_lshl_add_u64 v[30:31], v[16:17], 3, s[8:9]
	v_add_u32_e32 v16, -3, v14
	;; [unrolled: 2-line block ×3, first 2 shown]
	v_lshl_add_u64 v[18:19], v[24:25], 3, s[10:11]
	v_lshl_add_u64 v[40:41], v[16:17], 3, s[8:9]
	v_add_u32_e32 v16, 2, v24
	global_load_dwordx2 v[18:19], v[18:19], off
	s_nop 0
	global_load_dwordx2 v[22:23], v[22:23], off
	s_waitcnt vmcnt(1)
	v_fmac_f64_e32 v[8:9], v[26:27], v[18:19]
	global_load_dwordx2 v[30:31], v[30:31], off
	s_nop 0
	global_load_dwordx2 v[42:43], v[38:39], off
	global_load_dwordx2 v[44:45], v[40:41], off
	v_lshl_add_u64 v[38:39], v[16:17], 3, s[10:11]
	v_add_u32_e32 v16, -7, v14
	v_lshl_add_u64 v[40:41], v[16:17], 3, s[8:9]
	v_add_u32_e32 v16, -2, v14
	;; [unrolled: 2-line block ×3, first 2 shown]
	v_lshl_add_u64 v[48:49], v[16:17], 3, s[8:9]
	v_add_u32_e32 v16, 3, v24
	global_load_dwordx2 v[38:39], v[38:39], off
	v_fmac_f64_e32 v[12:13], v[32:33], v[18:19]
	global_load_dwordx2 v[40:41], v[40:41], off
	s_nop 0
	global_load_dwordx2 v[50:51], v[46:47], off
	global_load_dwordx2 v[52:53], v[48:49], off
	v_lshl_add_u64 v[46:47], v[16:17], 3, s[10:11]
	v_add_u32_e32 v16, -6, v14
	v_lshl_add_u64 v[48:49], v[16:17], 3, s[8:9]
	v_add_u32_e32 v16, -1, v14
	;; [unrolled: 2-line block ×3, first 2 shown]
	v_lshl_add_u64 v[56:57], v[16:17], 3, s[8:9]
	v_add_u32_e32 v16, 4, v24
	global_load_dwordx2 v[46:47], v[46:47], off
	v_fmac_f64_e32 v[0:1], v[34:35], v[18:19]
	global_load_dwordx2 v[48:49], v[48:49], off
	s_nop 0
	global_load_dwordx2 v[24:25], v[54:55], off
	global_load_dwordx2 v[58:59], v[56:57], off
	v_lshl_add_u64 v[54:55], v[16:17], 3, s[10:11]
	v_add_u32_e32 v16, -5, v14
	v_lshl_add_u64 v[56:57], v[16:17], 3, s[8:9]
	global_load_dwordx2 v[54:55], v[54:55], off
	s_nop 0
	global_load_dwordx2 v[60:61], v[56:57], off
	global_load_dwordx2 v[62:63], v[28:29], off
	s_waitcnt vmcnt(14)
	v_fmac_f64_e32 v[8:9], v[36:37], v[22:23]
	v_add_u32_e32 v14, 0x78, v14
	s_waitcnt vmcnt(13)
	v_fmac_f64_e32 v[12:13], v[30:31], v[22:23]
	s_waitcnt vmcnt(12)
	v_fmac_f64_e32 v[0:1], v[42:43], v[22:23]
	;; [unrolled: 2-line block ×11, first 2 shown]
	s_andn2_b64 exec, exec, s[2:3]
	s_cbranch_execnz .LBB53_15
; %bb.16:
	s_or_b64 exec, exec, s[2:3]
.LBB53_17:
	s_or_b64 exec, exec, s[4:5]
.LBB53_18:
	v_mov_b32_dpp v10, v8 row_shr:1 row_mask:0xf bank_mask:0xf
	v_mov_b32_dpp v11, v9 row_shr:1 row_mask:0xf bank_mask:0xf
	;; [unrolled: 1-line block ×6, first 2 shown]
	v_add_f64 v[8:9], v[8:9], v[10:11]
	v_add_f64 v[12:13], v[12:13], v[14:15]
	;; [unrolled: 1-line block ×3, first 2 shown]
	v_mov_b32_dpp v10, v8 row_shr:2 row_mask:0xf bank_mask:0xf
	v_mov_b32_dpp v11, v9 row_shr:2 row_mask:0xf bank_mask:0xf
	;; [unrolled: 1-line block ×6, first 2 shown]
	v_add_f64 v[8:9], v[8:9], v[10:11]
	v_add_f64 v[12:13], v[12:13], v[14:15]
	;; [unrolled: 1-line block ×3, first 2 shown]
	v_mov_b32_dpp v10, v8 row_shr:4 row_mask:0xf bank_mask:0xe
	v_mov_b32_dpp v11, v9 row_shr:4 row_mask:0xf bank_mask:0xe
	;; [unrolled: 1-line block ×6, first 2 shown]
	v_cmp_eq_u32_e32 vcc, 7, v7
	s_and_b64 exec, exec, vcc
	s_cbranch_execz .LBB53_23
; %bb.19:
	s_load_dwordx2 s[0:1], s[0:1], 0x38
	v_add_f64 v[10:11], v[8:9], v[10:11]
	v_add_f64 v[8:9], v[12:13], v[14:15]
	;; [unrolled: 1-line block ×3, first 2 shown]
	v_cmp_eq_f64_e32 vcc, 0, v[4:5]
	s_and_saveexec_b64 s[2:3], vcc
	s_xor_b64 s[2:3], exec, s[2:3]
	s_cbranch_execz .LBB53_21
; %bb.20:
	v_lshl_add_u32 v6, v6, 1, v6
	v_ashrrev_i32_e32 v7, 31, v6
	v_mul_f64 v[4:5], v[2:3], v[10:11]
	s_waitcnt lgkmcnt(0)
	v_lshl_add_u64 v[10:11], v[6:7], 3, s[0:1]
	v_mul_f64 v[6:7], v[2:3], v[8:9]
	v_mul_f64 v[0:1], v[2:3], v[0:1]
	global_store_dwordx4 v[10:11], v[4:7], off
	global_store_dwordx2 v[10:11], v[0:1], off offset:16
                                        ; implicit-def: $vgpr6
                                        ; implicit-def: $vgpr2_vgpr3
                                        ; implicit-def: $vgpr10_vgpr11
                                        ; implicit-def: $vgpr4_vgpr5
                                        ; implicit-def: $vgpr8_vgpr9
                                        ; implicit-def: $vgpr0_vgpr1
.LBB53_21:
	s_andn2_saveexec_b64 s[2:3], s[2:3]
	s_cbranch_execz .LBB53_23
; %bb.22:
	v_lshl_add_u32 v6, v6, 1, v6
	v_ashrrev_i32_e32 v7, 31, v6
	s_waitcnt lgkmcnt(0)
	v_lshl_add_u64 v[16:17], v[6:7], 3, s[0:1]
	global_load_dwordx4 v[12:15], v[16:17], off
	global_load_dwordx2 v[18:19], v[16:17], off offset:16
	v_mul_f64 v[6:7], v[2:3], v[10:11]
	v_mul_f64 v[8:9], v[2:3], v[8:9]
	;; [unrolled: 1-line block ×3, first 2 shown]
	s_waitcnt vmcnt(1)
	v_fmac_f64_e32 v[6:7], v[4:5], v[12:13]
	v_fmac_f64_e32 v[8:9], v[4:5], v[14:15]
	s_waitcnt vmcnt(0)
	v_fmac_f64_e32 v[0:1], v[4:5], v[18:19]
	global_store_dwordx4 v[16:17], v[6:9], off
	global_store_dwordx2 v[16:17], v[0:1], off offset:16
.LBB53_23:
	s_endpgm
	.section	.rodata,"a",@progbits
	.p2align	6, 0x0
	.amdhsa_kernel _ZN9rocsparseL19gebsrmvn_3xn_kernelILj128ELj5ELj8EdEEvi20rocsparse_direction_NS_24const_host_device_scalarIT2_EEPKiS6_PKS3_S8_S4_PS3_21rocsparse_index_base_b
		.amdhsa_group_segment_fixed_size 0
		.amdhsa_private_segment_fixed_size 0
		.amdhsa_kernarg_size 72
		.amdhsa_user_sgpr_count 2
		.amdhsa_user_sgpr_dispatch_ptr 0
		.amdhsa_user_sgpr_queue_ptr 0
		.amdhsa_user_sgpr_kernarg_segment_ptr 1
		.amdhsa_user_sgpr_dispatch_id 0
		.amdhsa_user_sgpr_kernarg_preload_length 0
		.amdhsa_user_sgpr_kernarg_preload_offset 0
		.amdhsa_user_sgpr_private_segment_size 0
		.amdhsa_uses_dynamic_stack 0
		.amdhsa_enable_private_segment 0
		.amdhsa_system_sgpr_workgroup_id_x 1
		.amdhsa_system_sgpr_workgroup_id_y 0
		.amdhsa_system_sgpr_workgroup_id_z 0
		.amdhsa_system_sgpr_workgroup_info 0
		.amdhsa_system_vgpr_workitem_id 0
		.amdhsa_next_free_vgpr 66
		.amdhsa_next_free_sgpr 18
		.amdhsa_accum_offset 68
		.amdhsa_reserve_vcc 1
		.amdhsa_float_round_mode_32 0
		.amdhsa_float_round_mode_16_64 0
		.amdhsa_float_denorm_mode_32 3
		.amdhsa_float_denorm_mode_16_64 3
		.amdhsa_dx10_clamp 1
		.amdhsa_ieee_mode 1
		.amdhsa_fp16_overflow 0
		.amdhsa_tg_split 0
		.amdhsa_exception_fp_ieee_invalid_op 0
		.amdhsa_exception_fp_denorm_src 0
		.amdhsa_exception_fp_ieee_div_zero 0
		.amdhsa_exception_fp_ieee_overflow 0
		.amdhsa_exception_fp_ieee_underflow 0
		.amdhsa_exception_fp_ieee_inexact 0
		.amdhsa_exception_int_div_zero 0
	.end_amdhsa_kernel
	.section	.text._ZN9rocsparseL19gebsrmvn_3xn_kernelILj128ELj5ELj8EdEEvi20rocsparse_direction_NS_24const_host_device_scalarIT2_EEPKiS6_PKS3_S8_S4_PS3_21rocsparse_index_base_b,"axG",@progbits,_ZN9rocsparseL19gebsrmvn_3xn_kernelILj128ELj5ELj8EdEEvi20rocsparse_direction_NS_24const_host_device_scalarIT2_EEPKiS6_PKS3_S8_S4_PS3_21rocsparse_index_base_b,comdat
.Lfunc_end53:
	.size	_ZN9rocsparseL19gebsrmvn_3xn_kernelILj128ELj5ELj8EdEEvi20rocsparse_direction_NS_24const_host_device_scalarIT2_EEPKiS6_PKS3_S8_S4_PS3_21rocsparse_index_base_b, .Lfunc_end53-_ZN9rocsparseL19gebsrmvn_3xn_kernelILj128ELj5ELj8EdEEvi20rocsparse_direction_NS_24const_host_device_scalarIT2_EEPKiS6_PKS3_S8_S4_PS3_21rocsparse_index_base_b
                                        ; -- End function
	.section	.AMDGPU.csdata,"",@progbits
; Kernel info:
; codeLenInByte = 1988
; NumSgprs: 24
; NumVgprs: 66
; NumAgprs: 0
; TotalNumVgprs: 66
; ScratchSize: 0
; MemoryBound: 0
; FloatMode: 240
; IeeeMode: 1
; LDSByteSize: 0 bytes/workgroup (compile time only)
; SGPRBlocks: 2
; VGPRBlocks: 8
; NumSGPRsForWavesPerEU: 24
; NumVGPRsForWavesPerEU: 66
; AccumOffset: 68
; Occupancy: 7
; WaveLimiterHint : 1
; COMPUTE_PGM_RSRC2:SCRATCH_EN: 0
; COMPUTE_PGM_RSRC2:USER_SGPR: 2
; COMPUTE_PGM_RSRC2:TRAP_HANDLER: 0
; COMPUTE_PGM_RSRC2:TGID_X_EN: 1
; COMPUTE_PGM_RSRC2:TGID_Y_EN: 0
; COMPUTE_PGM_RSRC2:TGID_Z_EN: 0
; COMPUTE_PGM_RSRC2:TIDIG_COMP_CNT: 0
; COMPUTE_PGM_RSRC3_GFX90A:ACCUM_OFFSET: 16
; COMPUTE_PGM_RSRC3_GFX90A:TG_SPLIT: 0
	.section	.text._ZN9rocsparseL19gebsrmvn_3xn_kernelILj128ELj5ELj16EdEEvi20rocsparse_direction_NS_24const_host_device_scalarIT2_EEPKiS6_PKS3_S8_S4_PS3_21rocsparse_index_base_b,"axG",@progbits,_ZN9rocsparseL19gebsrmvn_3xn_kernelILj128ELj5ELj16EdEEvi20rocsparse_direction_NS_24const_host_device_scalarIT2_EEPKiS6_PKS3_S8_S4_PS3_21rocsparse_index_base_b,comdat
	.globl	_ZN9rocsparseL19gebsrmvn_3xn_kernelILj128ELj5ELj16EdEEvi20rocsparse_direction_NS_24const_host_device_scalarIT2_EEPKiS6_PKS3_S8_S4_PS3_21rocsparse_index_base_b ; -- Begin function _ZN9rocsparseL19gebsrmvn_3xn_kernelILj128ELj5ELj16EdEEvi20rocsparse_direction_NS_24const_host_device_scalarIT2_EEPKiS6_PKS3_S8_S4_PS3_21rocsparse_index_base_b
	.p2align	8
	.type	_ZN9rocsparseL19gebsrmvn_3xn_kernelILj128ELj5ELj16EdEEvi20rocsparse_direction_NS_24const_host_device_scalarIT2_EEPKiS6_PKS3_S8_S4_PS3_21rocsparse_index_base_b,@function
_ZN9rocsparseL19gebsrmvn_3xn_kernelILj128ELj5ELj16EdEEvi20rocsparse_direction_NS_24const_host_device_scalarIT2_EEPKiS6_PKS3_S8_S4_PS3_21rocsparse_index_base_b: ; @_ZN9rocsparseL19gebsrmvn_3xn_kernelILj128ELj5ELj16EdEEvi20rocsparse_direction_NS_24const_host_device_scalarIT2_EEPKiS6_PKS3_S8_S4_PS3_21rocsparse_index_base_b
; %bb.0:
	s_load_dwordx2 s[12:13], s[0:1], 0x40
	s_load_dwordx2 s[8:9], s[0:1], 0x8
	;; [unrolled: 1-line block ×3, first 2 shown]
	s_waitcnt lgkmcnt(0)
	s_bitcmp1_b32 s13, 0
	s_cselect_b64 s[10:11], -1, 0
	s_xor_b64 s[6:7], s[10:11], -1
	s_and_b64 vcc, exec, s[10:11]
	v_mov_b64_e32 v[2:3], s[8:9]
	s_cbranch_vccnz .LBB54_2
; %bb.1:
	v_mov_b64_e32 v[2:3], s[8:9]
	flat_load_dwordx2 v[2:3], v[2:3]
.LBB54_2:
	s_andn2_b64 vcc, exec, s[6:7]
	v_mov_b64_e32 v[4:5], s[4:5]
	s_cbranch_vccnz .LBB54_4
; %bb.3:
	v_mov_b64_e32 v[4:5], s[4:5]
	flat_load_dwordx2 v[4:5], v[4:5]
.LBB54_4:
	s_waitcnt vmcnt(0) lgkmcnt(0)
	v_cmp_neq_f64_e32 vcc, 0, v[2:3]
	v_cmp_neq_f64_e64 s[4:5], 1.0, v[4:5]
	s_or_b64 s[4:5], vcc, s[4:5]
	s_and_saveexec_b64 s[6:7], s[4:5]
	s_cbranch_execz .LBB54_23
; %bb.5:
	s_load_dwordx2 s[14:15], s[0:1], 0x0
	v_lshrrev_b32_e32 v1, 4, v0
	v_lshl_or_b32 v6, s2, 3, v1
	s_waitcnt lgkmcnt(0)
	v_cmp_gt_i32_e32 vcc, s14, v6
	s_and_b64 exec, exec, vcc
	s_cbranch_execz .LBB54_23
; %bb.6:
	s_load_dwordx8 s[4:11], s[0:1], 0x10
	v_ashrrev_i32_e32 v7, 31, v6
	s_cmp_lg_u32 s15, 0
	s_waitcnt lgkmcnt(0)
	v_lshl_add_u64 v[8:9], v[6:7], 2, s[4:5]
	global_load_dwordx2 v[8:9], v[8:9], off
	v_and_b32_e32 v7, 15, v0
	s_waitcnt vmcnt(0)
	v_subrev_u32_e32 v0, s12, v8
	v_subrev_u32_e32 v20, s12, v9
	v_add_u32_e32 v12, v0, v7
	v_cmp_lt_i32_e64 s[2:3], v12, v20
	s_cbranch_scc0 .LBB54_12
; %bb.7:
	v_mov_b64_e32 v[8:9], 0
	s_mov_b64 s[4:5], 0
	v_mov_b64_e32 v[0:1], v[8:9]
	v_mov_b64_e32 v[10:11], v[8:9]
	s_and_saveexec_b64 s[14:15], s[2:3]
	s_cbranch_execz .LBB54_11
; %bb.8:
	v_mad_u64_u32 v[14:15], s[16:17], v12, 15, 14
	v_mov_b64_e32 v[8:9], 0
	s_mov_b64 s[16:17], 0
	v_mov_b32_e32 v17, 0
	v_mov_b32_e32 v18, v12
	v_mov_b64_e32 v[0:1], v[8:9]
	v_mov_b64_e32 v[10:11], v[8:9]
.LBB54_9:                               ; =>This Inner Loop Header: Depth=1
	v_ashrrev_i32_e32 v19, 31, v18
	v_lshl_add_u64 v[22:23], v[18:19], 2, s[6:7]
	global_load_dword v13, v[22:23], off
	v_add_u32_e32 v16, -14, v14
	v_lshl_add_u64 v[24:25], v[16:17], 3, s[8:9]
	v_add_u32_e32 v16, -13, v14
	v_lshl_add_u64 v[28:29], v[16:17], 3, s[8:9]
	;; [unrolled: 2-line block ×4, first 2 shown]
	global_load_dwordx2 v[24:25], v[24:25], off
	v_mov_b32_e32 v23, v17
	global_load_dwordx2 v[28:29], v[28:29], off
	s_nop 0
	global_load_dwordx2 v[34:35], v[30:31], off
	global_load_dwordx2 v[36:37], v[32:33], off
	v_mov_b32_e32 v15, v17
	v_lshl_add_u64 v[26:27], v[14:15], 3, s[8:9]
	v_add_u32_e32 v18, 16, v18
	v_cmp_ge_i32_e32 vcc, v18, v20
	s_or_b64 s[16:17], vcc, s[16:17]
	s_waitcnt vmcnt(4)
	v_subrev_u32_e32 v13, s12, v13
	v_lshl_add_u32 v22, v13, 2, v13
	v_add_u32_e32 v16, 1, v22
	v_lshl_add_u64 v[32:33], v[16:17], 3, s[10:11]
	v_add_u32_e32 v16, -10, v14
	v_lshl_add_u64 v[38:39], v[16:17], 3, s[8:9]
	v_add_u32_e32 v16, -9, v14
	;; [unrolled: 2-line block ×3, first 2 shown]
	v_lshl_add_u64 v[30:31], v[22:23], 3, s[10:11]
	v_lshl_add_u64 v[42:43], v[16:17], 3, s[8:9]
	v_add_u32_e32 v16, 2, v22
	global_load_dwordx2 v[30:31], v[30:31], off
	s_nop 0
	global_load_dwordx2 v[32:33], v[32:33], off
	s_waitcnt vmcnt(1)
	v_fmac_f64_e32 v[8:9], v[24:25], v[30:31]
	global_load_dwordx2 v[38:39], v[38:39], off
	s_nop 0
	global_load_dwordx2 v[44:45], v[40:41], off
	global_load_dwordx2 v[46:47], v[42:43], off
	v_lshl_add_u64 v[40:41], v[16:17], 3, s[10:11]
	v_add_u32_e32 v16, -7, v14
	v_lshl_add_u64 v[42:43], v[16:17], 3, s[8:9]
	v_add_u32_e32 v16, -6, v14
	;; [unrolled: 2-line block ×3, first 2 shown]
	v_lshl_add_u64 v[50:51], v[16:17], 3, s[8:9]
	v_add_u32_e32 v16, 3, v22
	global_load_dwordx2 v[40:41], v[40:41], off
	v_fmac_f64_e32 v[10:11], v[28:29], v[30:31]
	global_load_dwordx2 v[42:43], v[42:43], off
	s_nop 0
	global_load_dwordx2 v[52:53], v[48:49], off
	global_load_dwordx2 v[54:55], v[50:51], off
	v_lshl_add_u64 v[48:49], v[16:17], 3, s[10:11]
	v_add_u32_e32 v16, -4, v14
	v_lshl_add_u64 v[50:51], v[16:17], 3, s[8:9]
	v_add_u32_e32 v16, -3, v14
	;; [unrolled: 2-line block ×3, first 2 shown]
	v_lshl_add_u64 v[58:59], v[16:17], 3, s[8:9]
	v_add_u32_e32 v16, 4, v22
	global_load_dwordx2 v[48:49], v[48:49], off
	v_fmac_f64_e32 v[0:1], v[34:35], v[30:31]
	global_load_dwordx2 v[50:51], v[50:51], off
	s_nop 0
	global_load_dwordx2 v[22:23], v[56:57], off
	global_load_dwordx2 v[60:61], v[58:59], off
	v_lshl_add_u64 v[56:57], v[16:17], 3, s[10:11]
	v_add_u32_e32 v16, -1, v14
	v_lshl_add_u64 v[58:59], v[16:17], 3, s[8:9]
	global_load_dwordx2 v[56:57], v[56:57], off
	s_nop 0
	global_load_dwordx2 v[62:63], v[58:59], off
	global_load_dwordx2 v[64:65], v[26:27], off
	s_waitcnt vmcnt(14)
	v_fmac_f64_e32 v[8:9], v[36:37], v[32:33]
	v_add_u32_e32 v14, 0xf0, v14
	s_waitcnt vmcnt(13)
	v_fmac_f64_e32 v[10:11], v[38:39], v[32:33]
	s_waitcnt vmcnt(12)
	v_fmac_f64_e32 v[0:1], v[44:45], v[32:33]
	s_waitcnt vmcnt(10)
	v_fmac_f64_e32 v[8:9], v[46:47], v[40:41]
	s_waitcnt vmcnt(9)
	v_fmac_f64_e32 v[10:11], v[42:43], v[40:41]
	s_waitcnt vmcnt(8)
	v_fmac_f64_e32 v[0:1], v[52:53], v[40:41]
	s_waitcnt vmcnt(6)
	v_fmac_f64_e32 v[8:9], v[54:55], v[48:49]
	s_waitcnt vmcnt(5)
	v_fmac_f64_e32 v[10:11], v[50:51], v[48:49]
	s_waitcnt vmcnt(4)
	v_fmac_f64_e32 v[0:1], v[22:23], v[48:49]
	s_waitcnt vmcnt(2)
	v_fmac_f64_e32 v[8:9], v[60:61], v[56:57]
	s_waitcnt vmcnt(1)
	v_fmac_f64_e32 v[10:11], v[62:63], v[56:57]
	s_waitcnt vmcnt(0)
	v_fmac_f64_e32 v[0:1], v[64:65], v[56:57]
	s_andn2_b64 exec, exec, s[16:17]
	s_cbranch_execnz .LBB54_9
; %bb.10:
	s_or_b64 exec, exec, s[16:17]
.LBB54_11:
	s_or_b64 exec, exec, s[14:15]
	s_andn2_b64 vcc, exec, s[4:5]
	s_cbranch_vccz .LBB54_13
	s_branch .LBB54_18
.LBB54_12:
                                        ; implicit-def: $vgpr8_vgpr9
                                        ; implicit-def: $vgpr0_vgpr1
                                        ; implicit-def: $vgpr10_vgpr11
.LBB54_13:
	v_mov_b64_e32 v[8:9], 0
	v_mov_b64_e32 v[0:1], v[8:9]
	;; [unrolled: 1-line block ×3, first 2 shown]
	s_and_saveexec_b64 s[4:5], s[2:3]
	s_cbranch_execz .LBB54_17
; %bb.14:
	v_mad_u64_u32 v[14:15], s[2:3], v12, 15, 14
	v_mov_b64_e32 v[8:9], 0
	s_mov_b64 s[2:3], 0
	v_mov_b32_e32 v17, 0
	v_mov_b64_e32 v[0:1], v[8:9]
	v_mov_b64_e32 v[10:11], v[8:9]
.LBB54_15:                              ; =>This Inner Loop Header: Depth=1
	v_ashrrev_i32_e32 v13, 31, v12
	v_lshl_add_u64 v[18:19], v[12:13], 2, s[6:7]
	global_load_dword v13, v[18:19], off
	v_add_u32_e32 v16, -14, v14
	v_add_u32_e32 v18, -9, v14
	;; [unrolled: 1-line block ×3, first 2 shown]
	v_mov_b32_e32 v19, v17
	v_mov_b32_e32 v23, v17
	v_lshl_add_u64 v[26:27], v[16:17], 3, s[8:9]
	v_add_u32_e32 v16, -13, v14
	v_lshl_add_u64 v[18:19], v[18:19], 3, s[8:9]
	v_lshl_add_u64 v[22:23], v[22:23], 3, s[8:9]
	;; [unrolled: 1-line block ×3, first 2 shown]
	global_load_dwordx2 v[26:27], v[26:27], off
	s_nop 0
	global_load_dwordx2 v[32:33], v[18:19], off
	global_load_dwordx2 v[34:35], v[22:23], off
	;; [unrolled: 1-line block ×3, first 2 shown]
	v_mov_b32_e32 v25, v17
	v_mov_b32_e32 v15, v17
	v_lshl_add_u64 v[28:29], v[14:15], 3, s[8:9]
	v_add_u32_e32 v12, 16, v12
	v_cmp_ge_i32_e32 vcc, v12, v20
	s_or_b64 s[2:3], vcc, s[2:3]
	s_waitcnt vmcnt(4)
	v_subrev_u32_e32 v13, s12, v13
	v_lshl_add_u32 v24, v13, 2, v13
	v_add_u32_e32 v16, 1, v24
	v_lshl_add_u64 v[22:23], v[16:17], 3, s[10:11]
	v_add_u32_e32 v16, -8, v14
	v_lshl_add_u64 v[30:31], v[16:17], 3, s[8:9]
	v_add_u32_e32 v16, -3, v14
	;; [unrolled: 2-line block ×3, first 2 shown]
	v_lshl_add_u64 v[18:19], v[24:25], 3, s[10:11]
	v_lshl_add_u64 v[40:41], v[16:17], 3, s[8:9]
	v_add_u32_e32 v16, 2, v24
	global_load_dwordx2 v[18:19], v[18:19], off
	s_nop 0
	global_load_dwordx2 v[22:23], v[22:23], off
	s_waitcnt vmcnt(1)
	v_fmac_f64_e32 v[8:9], v[26:27], v[18:19]
	global_load_dwordx2 v[30:31], v[30:31], off
	s_nop 0
	global_load_dwordx2 v[42:43], v[38:39], off
	global_load_dwordx2 v[44:45], v[40:41], off
	v_lshl_add_u64 v[38:39], v[16:17], 3, s[10:11]
	v_add_u32_e32 v16, -7, v14
	v_lshl_add_u64 v[40:41], v[16:17], 3, s[8:9]
	v_add_u32_e32 v16, -2, v14
	;; [unrolled: 2-line block ×3, first 2 shown]
	v_lshl_add_u64 v[48:49], v[16:17], 3, s[8:9]
	v_add_u32_e32 v16, 3, v24
	global_load_dwordx2 v[38:39], v[38:39], off
	v_fmac_f64_e32 v[10:11], v[32:33], v[18:19]
	global_load_dwordx2 v[40:41], v[40:41], off
	s_nop 0
	global_load_dwordx2 v[50:51], v[46:47], off
	global_load_dwordx2 v[52:53], v[48:49], off
	v_lshl_add_u64 v[46:47], v[16:17], 3, s[10:11]
	v_add_u32_e32 v16, -6, v14
	v_lshl_add_u64 v[48:49], v[16:17], 3, s[8:9]
	v_add_u32_e32 v16, -1, v14
	;; [unrolled: 2-line block ×3, first 2 shown]
	v_lshl_add_u64 v[56:57], v[16:17], 3, s[8:9]
	v_add_u32_e32 v16, 4, v24
	global_load_dwordx2 v[46:47], v[46:47], off
	v_fmac_f64_e32 v[0:1], v[34:35], v[18:19]
	global_load_dwordx2 v[48:49], v[48:49], off
	s_nop 0
	global_load_dwordx2 v[24:25], v[54:55], off
	global_load_dwordx2 v[58:59], v[56:57], off
	v_lshl_add_u64 v[54:55], v[16:17], 3, s[10:11]
	v_add_u32_e32 v16, -5, v14
	v_lshl_add_u64 v[56:57], v[16:17], 3, s[8:9]
	global_load_dwordx2 v[54:55], v[54:55], off
	s_nop 0
	global_load_dwordx2 v[60:61], v[56:57], off
	global_load_dwordx2 v[62:63], v[28:29], off
	s_waitcnt vmcnt(14)
	v_fmac_f64_e32 v[8:9], v[36:37], v[22:23]
	v_add_u32_e32 v14, 0xf0, v14
	s_waitcnt vmcnt(13)
	v_fmac_f64_e32 v[10:11], v[30:31], v[22:23]
	s_waitcnt vmcnt(12)
	v_fmac_f64_e32 v[0:1], v[42:43], v[22:23]
	;; [unrolled: 2-line block ×11, first 2 shown]
	s_andn2_b64 exec, exec, s[2:3]
	s_cbranch_execnz .LBB54_15
; %bb.16:
	s_or_b64 exec, exec, s[2:3]
.LBB54_17:
	s_or_b64 exec, exec, s[4:5]
.LBB54_18:
	v_mov_b32_dpp v14, v10 row_shr:1 row_mask:0xf bank_mask:0xf
	v_mov_b32_dpp v15, v11 row_shr:1 row_mask:0xf bank_mask:0xf
	v_add_f64 v[10:11], v[10:11], v[14:15]
	v_mov_b32_dpp v12, v8 row_shr:1 row_mask:0xf bank_mask:0xf
	v_mov_b32_dpp v13, v9 row_shr:1 row_mask:0xf bank_mask:0xf
	;; [unrolled: 1-line block ×4, first 2 shown]
	v_add_f64 v[10:11], v[10:11], v[14:15]
	v_add_f64 v[8:9], v[8:9], v[12:13]
	v_cmp_eq_u32_e32 vcc, 15, v7
	v_mov_b32_dpp v14, v10 row_shr:4 row_mask:0xf bank_mask:0xe
	v_mov_b32_dpp v15, v11 row_shr:4 row_mask:0xf bank_mask:0xe
	v_add_f64 v[14:15], v[10:11], v[14:15]
	v_mov_b32_dpp v10, v0 row_shr:1 row_mask:0xf bank_mask:0xf
	v_mov_b32_dpp v11, v1 row_shr:1 row_mask:0xf bank_mask:0xf
	v_add_f64 v[0:1], v[0:1], v[10:11]
	v_mov_b32_dpp v12, v8 row_shr:2 row_mask:0xf bank_mask:0xf
	v_mov_b32_dpp v13, v9 row_shr:2 row_mask:0xf bank_mask:0xf
	;; [unrolled: 1-line block ×4, first 2 shown]
	v_add_f64 v[8:9], v[8:9], v[12:13]
	v_add_f64 v[0:1], v[0:1], v[10:11]
	v_mov_b32_dpp v16, v14 row_shr:8 row_mask:0xf bank_mask:0xc
	v_mov_b32_dpp v12, v8 row_shr:4 row_mask:0xf bank_mask:0xe
	;; [unrolled: 1-line block ×5, first 2 shown]
	v_add_f64 v[8:9], v[8:9], v[12:13]
	v_add_f64 v[0:1], v[0:1], v[10:11]
	v_mov_b32_dpp v17, v15 row_shr:8 row_mask:0xf bank_mask:0xc
	v_mov_b32_dpp v12, v8 row_shr:8 row_mask:0xf bank_mask:0xc
	v_mov_b32_dpp v13, v9 row_shr:8 row_mask:0xf bank_mask:0xc
	v_mov_b32_dpp v18, v0 row_shr:8 row_mask:0xf bank_mask:0xc
	v_mov_b32_dpp v19, v1 row_shr:8 row_mask:0xf bank_mask:0xc
	s_and_b64 exec, exec, vcc
	s_cbranch_execz .LBB54_23
; %bb.19:
	s_load_dwordx2 s[0:1], s[0:1], 0x38
	v_add_f64 v[10:11], v[8:9], v[12:13]
	v_add_f64 v[8:9], v[14:15], v[16:17]
	;; [unrolled: 1-line block ×3, first 2 shown]
	v_cmp_eq_f64_e32 vcc, 0, v[4:5]
	s_and_saveexec_b64 s[2:3], vcc
	s_xor_b64 s[2:3], exec, s[2:3]
	s_cbranch_execz .LBB54_21
; %bb.20:
	v_lshl_add_u32 v6, v6, 1, v6
	v_ashrrev_i32_e32 v7, 31, v6
	v_mul_f64 v[4:5], v[2:3], v[10:11]
	s_waitcnt lgkmcnt(0)
	v_lshl_add_u64 v[10:11], v[6:7], 3, s[0:1]
	v_mul_f64 v[6:7], v[2:3], v[8:9]
	v_mul_f64 v[0:1], v[2:3], v[0:1]
	global_store_dwordx4 v[10:11], v[4:7], off
	global_store_dwordx2 v[10:11], v[0:1], off offset:16
                                        ; implicit-def: $vgpr6
                                        ; implicit-def: $vgpr2_vgpr3
                                        ; implicit-def: $vgpr10_vgpr11
                                        ; implicit-def: $vgpr4_vgpr5
                                        ; implicit-def: $vgpr8_vgpr9
                                        ; implicit-def: $vgpr0_vgpr1
.LBB54_21:
	s_andn2_saveexec_b64 s[2:3], s[2:3]
	s_cbranch_execz .LBB54_23
; %bb.22:
	v_lshl_add_u32 v6, v6, 1, v6
	v_ashrrev_i32_e32 v7, 31, v6
	s_waitcnt lgkmcnt(0)
	v_lshl_add_u64 v[16:17], v[6:7], 3, s[0:1]
	global_load_dwordx4 v[12:15], v[16:17], off
	global_load_dwordx2 v[18:19], v[16:17], off offset:16
	v_mul_f64 v[6:7], v[2:3], v[10:11]
	v_mul_f64 v[8:9], v[2:3], v[8:9]
	;; [unrolled: 1-line block ×3, first 2 shown]
	s_waitcnt vmcnt(1)
	v_fmac_f64_e32 v[6:7], v[4:5], v[12:13]
	v_fmac_f64_e32 v[8:9], v[4:5], v[14:15]
	s_waitcnt vmcnt(0)
	v_fmac_f64_e32 v[0:1], v[4:5], v[18:19]
	global_store_dwordx4 v[16:17], v[6:9], off
	global_store_dwordx2 v[16:17], v[0:1], off offset:16
.LBB54_23:
	s_endpgm
	.section	.rodata,"a",@progbits
	.p2align	6, 0x0
	.amdhsa_kernel _ZN9rocsparseL19gebsrmvn_3xn_kernelILj128ELj5ELj16EdEEvi20rocsparse_direction_NS_24const_host_device_scalarIT2_EEPKiS6_PKS3_S8_S4_PS3_21rocsparse_index_base_b
		.amdhsa_group_segment_fixed_size 0
		.amdhsa_private_segment_fixed_size 0
		.amdhsa_kernarg_size 72
		.amdhsa_user_sgpr_count 2
		.amdhsa_user_sgpr_dispatch_ptr 0
		.amdhsa_user_sgpr_queue_ptr 0
		.amdhsa_user_sgpr_kernarg_segment_ptr 1
		.amdhsa_user_sgpr_dispatch_id 0
		.amdhsa_user_sgpr_kernarg_preload_length 0
		.amdhsa_user_sgpr_kernarg_preload_offset 0
		.amdhsa_user_sgpr_private_segment_size 0
		.amdhsa_uses_dynamic_stack 0
		.amdhsa_enable_private_segment 0
		.amdhsa_system_sgpr_workgroup_id_x 1
		.amdhsa_system_sgpr_workgroup_id_y 0
		.amdhsa_system_sgpr_workgroup_id_z 0
		.amdhsa_system_sgpr_workgroup_info 0
		.amdhsa_system_vgpr_workitem_id 0
		.amdhsa_next_free_vgpr 66
		.amdhsa_next_free_sgpr 18
		.amdhsa_accum_offset 68
		.amdhsa_reserve_vcc 1
		.amdhsa_float_round_mode_32 0
		.amdhsa_float_round_mode_16_64 0
		.amdhsa_float_denorm_mode_32 3
		.amdhsa_float_denorm_mode_16_64 3
		.amdhsa_dx10_clamp 1
		.amdhsa_ieee_mode 1
		.amdhsa_fp16_overflow 0
		.amdhsa_tg_split 0
		.amdhsa_exception_fp_ieee_invalid_op 0
		.amdhsa_exception_fp_denorm_src 0
		.amdhsa_exception_fp_ieee_div_zero 0
		.amdhsa_exception_fp_ieee_overflow 0
		.amdhsa_exception_fp_ieee_underflow 0
		.amdhsa_exception_fp_ieee_inexact 0
		.amdhsa_exception_int_div_zero 0
	.end_amdhsa_kernel
	.section	.text._ZN9rocsparseL19gebsrmvn_3xn_kernelILj128ELj5ELj16EdEEvi20rocsparse_direction_NS_24const_host_device_scalarIT2_EEPKiS6_PKS3_S8_S4_PS3_21rocsparse_index_base_b,"axG",@progbits,_ZN9rocsparseL19gebsrmvn_3xn_kernelILj128ELj5ELj16EdEEvi20rocsparse_direction_NS_24const_host_device_scalarIT2_EEPKiS6_PKS3_S8_S4_PS3_21rocsparse_index_base_b,comdat
.Lfunc_end54:
	.size	_ZN9rocsparseL19gebsrmvn_3xn_kernelILj128ELj5ELj16EdEEvi20rocsparse_direction_NS_24const_host_device_scalarIT2_EEPKiS6_PKS3_S8_S4_PS3_21rocsparse_index_base_b, .Lfunc_end54-_ZN9rocsparseL19gebsrmvn_3xn_kernelILj128ELj5ELj16EdEEvi20rocsparse_direction_NS_24const_host_device_scalarIT2_EEPKiS6_PKS3_S8_S4_PS3_21rocsparse_index_base_b
                                        ; -- End function
	.section	.AMDGPU.csdata,"",@progbits
; Kernel info:
; codeLenInByte = 2060
; NumSgprs: 24
; NumVgprs: 66
; NumAgprs: 0
; TotalNumVgprs: 66
; ScratchSize: 0
; MemoryBound: 0
; FloatMode: 240
; IeeeMode: 1
; LDSByteSize: 0 bytes/workgroup (compile time only)
; SGPRBlocks: 2
; VGPRBlocks: 8
; NumSGPRsForWavesPerEU: 24
; NumVGPRsForWavesPerEU: 66
; AccumOffset: 68
; Occupancy: 7
; WaveLimiterHint : 1
; COMPUTE_PGM_RSRC2:SCRATCH_EN: 0
; COMPUTE_PGM_RSRC2:USER_SGPR: 2
; COMPUTE_PGM_RSRC2:TRAP_HANDLER: 0
; COMPUTE_PGM_RSRC2:TGID_X_EN: 1
; COMPUTE_PGM_RSRC2:TGID_Y_EN: 0
; COMPUTE_PGM_RSRC2:TGID_Z_EN: 0
; COMPUTE_PGM_RSRC2:TIDIG_COMP_CNT: 0
; COMPUTE_PGM_RSRC3_GFX90A:ACCUM_OFFSET: 16
; COMPUTE_PGM_RSRC3_GFX90A:TG_SPLIT: 0
	.section	.text._ZN9rocsparseL19gebsrmvn_3xn_kernelILj128ELj5ELj32EdEEvi20rocsparse_direction_NS_24const_host_device_scalarIT2_EEPKiS6_PKS3_S8_S4_PS3_21rocsparse_index_base_b,"axG",@progbits,_ZN9rocsparseL19gebsrmvn_3xn_kernelILj128ELj5ELj32EdEEvi20rocsparse_direction_NS_24const_host_device_scalarIT2_EEPKiS6_PKS3_S8_S4_PS3_21rocsparse_index_base_b,comdat
	.globl	_ZN9rocsparseL19gebsrmvn_3xn_kernelILj128ELj5ELj32EdEEvi20rocsparse_direction_NS_24const_host_device_scalarIT2_EEPKiS6_PKS3_S8_S4_PS3_21rocsparse_index_base_b ; -- Begin function _ZN9rocsparseL19gebsrmvn_3xn_kernelILj128ELj5ELj32EdEEvi20rocsparse_direction_NS_24const_host_device_scalarIT2_EEPKiS6_PKS3_S8_S4_PS3_21rocsparse_index_base_b
	.p2align	8
	.type	_ZN9rocsparseL19gebsrmvn_3xn_kernelILj128ELj5ELj32EdEEvi20rocsparse_direction_NS_24const_host_device_scalarIT2_EEPKiS6_PKS3_S8_S4_PS3_21rocsparse_index_base_b,@function
_ZN9rocsparseL19gebsrmvn_3xn_kernelILj128ELj5ELj32EdEEvi20rocsparse_direction_NS_24const_host_device_scalarIT2_EEPKiS6_PKS3_S8_S4_PS3_21rocsparse_index_base_b: ; @_ZN9rocsparseL19gebsrmvn_3xn_kernelILj128ELj5ELj32EdEEvi20rocsparse_direction_NS_24const_host_device_scalarIT2_EEPKiS6_PKS3_S8_S4_PS3_21rocsparse_index_base_b
; %bb.0:
	s_load_dwordx2 s[12:13], s[0:1], 0x40
	s_load_dwordx2 s[8:9], s[0:1], 0x8
	;; [unrolled: 1-line block ×3, first 2 shown]
	s_waitcnt lgkmcnt(0)
	s_bitcmp1_b32 s13, 0
	s_cselect_b64 s[10:11], -1, 0
	s_xor_b64 s[6:7], s[10:11], -1
	s_and_b64 vcc, exec, s[10:11]
	v_mov_b64_e32 v[2:3], s[8:9]
	s_cbranch_vccnz .LBB55_2
; %bb.1:
	v_mov_b64_e32 v[2:3], s[8:9]
	flat_load_dwordx2 v[2:3], v[2:3]
.LBB55_2:
	s_andn2_b64 vcc, exec, s[6:7]
	v_mov_b64_e32 v[4:5], s[4:5]
	s_cbranch_vccnz .LBB55_4
; %bb.3:
	v_mov_b64_e32 v[4:5], s[4:5]
	flat_load_dwordx2 v[4:5], v[4:5]
.LBB55_4:
	s_waitcnt vmcnt(0) lgkmcnt(0)
	v_cmp_neq_f64_e32 vcc, 0, v[2:3]
	v_cmp_neq_f64_e64 s[4:5], 1.0, v[4:5]
	s_or_b64 s[4:5], vcc, s[4:5]
	s_and_saveexec_b64 s[6:7], s[4:5]
	s_cbranch_execz .LBB55_23
; %bb.5:
	s_load_dwordx2 s[14:15], s[0:1], 0x0
	v_lshrrev_b32_e32 v1, 5, v0
	v_lshl_or_b32 v6, s2, 2, v1
	s_waitcnt lgkmcnt(0)
	v_cmp_gt_i32_e32 vcc, s14, v6
	s_and_b64 exec, exec, vcc
	s_cbranch_execz .LBB55_23
; %bb.6:
	s_load_dwordx8 s[4:11], s[0:1], 0x10
	v_ashrrev_i32_e32 v7, 31, v6
	s_cmp_lg_u32 s15, 0
	s_waitcnt lgkmcnt(0)
	v_lshl_add_u64 v[8:9], v[6:7], 2, s[4:5]
	global_load_dwordx2 v[8:9], v[8:9], off
	v_and_b32_e32 v7, 31, v0
	s_waitcnt vmcnt(0)
	v_subrev_u32_e32 v0, s12, v8
	v_subrev_u32_e32 v20, s12, v9
	v_add_u32_e32 v12, v0, v7
	v_cmp_lt_i32_e64 s[2:3], v12, v20
	s_cbranch_scc0 .LBB55_12
; %bb.7:
	v_mov_b64_e32 v[8:9], 0
	s_mov_b64 s[4:5], 0
	v_mov_b64_e32 v[0:1], v[8:9]
	v_mov_b64_e32 v[10:11], v[8:9]
	s_and_saveexec_b64 s[14:15], s[2:3]
	s_cbranch_execz .LBB55_11
; %bb.8:
	v_mad_u64_u32 v[14:15], s[16:17], v12, 15, 14
	v_mov_b64_e32 v[8:9], 0
	s_mov_b64 s[16:17], 0
	v_mov_b32_e32 v17, 0
	v_mov_b32_e32 v18, v12
	v_mov_b64_e32 v[0:1], v[8:9]
	v_mov_b64_e32 v[10:11], v[8:9]
.LBB55_9:                               ; =>This Inner Loop Header: Depth=1
	v_ashrrev_i32_e32 v19, 31, v18
	v_lshl_add_u64 v[22:23], v[18:19], 2, s[6:7]
	global_load_dword v13, v[22:23], off
	v_add_u32_e32 v16, -14, v14
	v_lshl_add_u64 v[24:25], v[16:17], 3, s[8:9]
	v_add_u32_e32 v16, -13, v14
	v_lshl_add_u64 v[28:29], v[16:17], 3, s[8:9]
	;; [unrolled: 2-line block ×4, first 2 shown]
	global_load_dwordx2 v[24:25], v[24:25], off
	v_mov_b32_e32 v23, v17
	global_load_dwordx2 v[28:29], v[28:29], off
	s_nop 0
	global_load_dwordx2 v[34:35], v[30:31], off
	global_load_dwordx2 v[36:37], v[32:33], off
	v_mov_b32_e32 v15, v17
	v_lshl_add_u64 v[26:27], v[14:15], 3, s[8:9]
	v_add_u32_e32 v18, 32, v18
	v_cmp_ge_i32_e32 vcc, v18, v20
	s_or_b64 s[16:17], vcc, s[16:17]
	s_waitcnt vmcnt(4)
	v_subrev_u32_e32 v13, s12, v13
	v_lshl_add_u32 v22, v13, 2, v13
	v_add_u32_e32 v16, 1, v22
	v_lshl_add_u64 v[32:33], v[16:17], 3, s[10:11]
	v_add_u32_e32 v16, -10, v14
	v_lshl_add_u64 v[38:39], v[16:17], 3, s[8:9]
	v_add_u32_e32 v16, -9, v14
	;; [unrolled: 2-line block ×3, first 2 shown]
	v_lshl_add_u64 v[30:31], v[22:23], 3, s[10:11]
	v_lshl_add_u64 v[42:43], v[16:17], 3, s[8:9]
	v_add_u32_e32 v16, 2, v22
	global_load_dwordx2 v[30:31], v[30:31], off
	s_nop 0
	global_load_dwordx2 v[32:33], v[32:33], off
	s_waitcnt vmcnt(1)
	v_fmac_f64_e32 v[8:9], v[24:25], v[30:31]
	global_load_dwordx2 v[38:39], v[38:39], off
	s_nop 0
	global_load_dwordx2 v[44:45], v[40:41], off
	global_load_dwordx2 v[46:47], v[42:43], off
	v_lshl_add_u64 v[40:41], v[16:17], 3, s[10:11]
	v_add_u32_e32 v16, -7, v14
	v_lshl_add_u64 v[42:43], v[16:17], 3, s[8:9]
	v_add_u32_e32 v16, -6, v14
	;; [unrolled: 2-line block ×3, first 2 shown]
	v_lshl_add_u64 v[50:51], v[16:17], 3, s[8:9]
	v_add_u32_e32 v16, 3, v22
	global_load_dwordx2 v[40:41], v[40:41], off
	v_fmac_f64_e32 v[10:11], v[28:29], v[30:31]
	global_load_dwordx2 v[42:43], v[42:43], off
	s_nop 0
	global_load_dwordx2 v[52:53], v[48:49], off
	global_load_dwordx2 v[54:55], v[50:51], off
	v_lshl_add_u64 v[48:49], v[16:17], 3, s[10:11]
	v_add_u32_e32 v16, -4, v14
	v_lshl_add_u64 v[50:51], v[16:17], 3, s[8:9]
	v_add_u32_e32 v16, -3, v14
	;; [unrolled: 2-line block ×3, first 2 shown]
	v_lshl_add_u64 v[58:59], v[16:17], 3, s[8:9]
	v_add_u32_e32 v16, 4, v22
	global_load_dwordx2 v[48:49], v[48:49], off
	v_fmac_f64_e32 v[0:1], v[34:35], v[30:31]
	global_load_dwordx2 v[50:51], v[50:51], off
	s_nop 0
	global_load_dwordx2 v[22:23], v[56:57], off
	global_load_dwordx2 v[60:61], v[58:59], off
	v_lshl_add_u64 v[56:57], v[16:17], 3, s[10:11]
	v_add_u32_e32 v16, -1, v14
	v_lshl_add_u64 v[58:59], v[16:17], 3, s[8:9]
	global_load_dwordx2 v[56:57], v[56:57], off
	s_nop 0
	global_load_dwordx2 v[62:63], v[58:59], off
	global_load_dwordx2 v[64:65], v[26:27], off
	s_waitcnt vmcnt(14)
	v_fmac_f64_e32 v[8:9], v[36:37], v[32:33]
	v_add_u32_e32 v14, 0x1e0, v14
	s_waitcnt vmcnt(13)
	v_fmac_f64_e32 v[10:11], v[38:39], v[32:33]
	s_waitcnt vmcnt(12)
	v_fmac_f64_e32 v[0:1], v[44:45], v[32:33]
	;; [unrolled: 2-line block ×11, first 2 shown]
	s_andn2_b64 exec, exec, s[16:17]
	s_cbranch_execnz .LBB55_9
; %bb.10:
	s_or_b64 exec, exec, s[16:17]
.LBB55_11:
	s_or_b64 exec, exec, s[14:15]
	s_andn2_b64 vcc, exec, s[4:5]
	s_cbranch_vccz .LBB55_13
	s_branch .LBB55_18
.LBB55_12:
                                        ; implicit-def: $vgpr8_vgpr9
                                        ; implicit-def: $vgpr0_vgpr1
                                        ; implicit-def: $vgpr10_vgpr11
.LBB55_13:
	v_mov_b64_e32 v[8:9], 0
	v_mov_b64_e32 v[0:1], v[8:9]
	;; [unrolled: 1-line block ×3, first 2 shown]
	s_and_saveexec_b64 s[4:5], s[2:3]
	s_cbranch_execz .LBB55_17
; %bb.14:
	v_mad_u64_u32 v[14:15], s[2:3], v12, 15, 14
	v_mov_b64_e32 v[8:9], 0
	s_mov_b64 s[2:3], 0
	v_mov_b32_e32 v17, 0
	v_mov_b64_e32 v[0:1], v[8:9]
	v_mov_b64_e32 v[10:11], v[8:9]
.LBB55_15:                              ; =>This Inner Loop Header: Depth=1
	v_ashrrev_i32_e32 v13, 31, v12
	v_lshl_add_u64 v[18:19], v[12:13], 2, s[6:7]
	global_load_dword v13, v[18:19], off
	v_add_u32_e32 v16, -14, v14
	v_add_u32_e32 v18, -9, v14
	;; [unrolled: 1-line block ×3, first 2 shown]
	v_mov_b32_e32 v19, v17
	v_mov_b32_e32 v23, v17
	v_lshl_add_u64 v[26:27], v[16:17], 3, s[8:9]
	v_add_u32_e32 v16, -13, v14
	v_lshl_add_u64 v[18:19], v[18:19], 3, s[8:9]
	v_lshl_add_u64 v[22:23], v[22:23], 3, s[8:9]
	;; [unrolled: 1-line block ×3, first 2 shown]
	global_load_dwordx2 v[26:27], v[26:27], off
	s_nop 0
	global_load_dwordx2 v[32:33], v[18:19], off
	global_load_dwordx2 v[34:35], v[22:23], off
	;; [unrolled: 1-line block ×3, first 2 shown]
	v_mov_b32_e32 v25, v17
	v_mov_b32_e32 v15, v17
	v_lshl_add_u64 v[28:29], v[14:15], 3, s[8:9]
	v_add_u32_e32 v12, 32, v12
	v_cmp_ge_i32_e32 vcc, v12, v20
	s_or_b64 s[2:3], vcc, s[2:3]
	s_waitcnt vmcnt(4)
	v_subrev_u32_e32 v13, s12, v13
	v_lshl_add_u32 v24, v13, 2, v13
	v_add_u32_e32 v16, 1, v24
	v_lshl_add_u64 v[22:23], v[16:17], 3, s[10:11]
	v_add_u32_e32 v16, -8, v14
	v_lshl_add_u64 v[30:31], v[16:17], 3, s[8:9]
	v_add_u32_e32 v16, -3, v14
	;; [unrolled: 2-line block ×3, first 2 shown]
	v_lshl_add_u64 v[18:19], v[24:25], 3, s[10:11]
	v_lshl_add_u64 v[40:41], v[16:17], 3, s[8:9]
	v_add_u32_e32 v16, 2, v24
	global_load_dwordx2 v[18:19], v[18:19], off
	s_nop 0
	global_load_dwordx2 v[22:23], v[22:23], off
	s_waitcnt vmcnt(1)
	v_fmac_f64_e32 v[8:9], v[26:27], v[18:19]
	global_load_dwordx2 v[30:31], v[30:31], off
	s_nop 0
	global_load_dwordx2 v[42:43], v[38:39], off
	global_load_dwordx2 v[44:45], v[40:41], off
	v_lshl_add_u64 v[38:39], v[16:17], 3, s[10:11]
	v_add_u32_e32 v16, -7, v14
	v_lshl_add_u64 v[40:41], v[16:17], 3, s[8:9]
	v_add_u32_e32 v16, -2, v14
	;; [unrolled: 2-line block ×3, first 2 shown]
	v_lshl_add_u64 v[48:49], v[16:17], 3, s[8:9]
	v_add_u32_e32 v16, 3, v24
	global_load_dwordx2 v[38:39], v[38:39], off
	v_fmac_f64_e32 v[10:11], v[32:33], v[18:19]
	global_load_dwordx2 v[40:41], v[40:41], off
	s_nop 0
	global_load_dwordx2 v[50:51], v[46:47], off
	global_load_dwordx2 v[52:53], v[48:49], off
	v_lshl_add_u64 v[46:47], v[16:17], 3, s[10:11]
	v_add_u32_e32 v16, -6, v14
	v_lshl_add_u64 v[48:49], v[16:17], 3, s[8:9]
	v_add_u32_e32 v16, -1, v14
	;; [unrolled: 2-line block ×3, first 2 shown]
	v_lshl_add_u64 v[56:57], v[16:17], 3, s[8:9]
	v_add_u32_e32 v16, 4, v24
	global_load_dwordx2 v[46:47], v[46:47], off
	v_fmac_f64_e32 v[0:1], v[34:35], v[18:19]
	global_load_dwordx2 v[48:49], v[48:49], off
	s_nop 0
	global_load_dwordx2 v[24:25], v[54:55], off
	global_load_dwordx2 v[58:59], v[56:57], off
	v_lshl_add_u64 v[54:55], v[16:17], 3, s[10:11]
	v_add_u32_e32 v16, -5, v14
	v_lshl_add_u64 v[56:57], v[16:17], 3, s[8:9]
	global_load_dwordx2 v[54:55], v[54:55], off
	s_nop 0
	global_load_dwordx2 v[60:61], v[56:57], off
	global_load_dwordx2 v[62:63], v[28:29], off
	s_waitcnt vmcnt(14)
	v_fmac_f64_e32 v[8:9], v[36:37], v[22:23]
	v_add_u32_e32 v14, 0x1e0, v14
	s_waitcnt vmcnt(13)
	v_fmac_f64_e32 v[10:11], v[30:31], v[22:23]
	s_waitcnt vmcnt(12)
	v_fmac_f64_e32 v[0:1], v[42:43], v[22:23]
	;; [unrolled: 2-line block ×11, first 2 shown]
	s_andn2_b64 exec, exec, s[2:3]
	s_cbranch_execnz .LBB55_15
; %bb.16:
	s_or_b64 exec, exec, s[2:3]
.LBB55_17:
	s_or_b64 exec, exec, s[4:5]
.LBB55_18:
	v_mov_b32_dpp v14, v10 row_shr:1 row_mask:0xf bank_mask:0xf
	v_mov_b32_dpp v15, v11 row_shr:1 row_mask:0xf bank_mask:0xf
	v_add_f64 v[10:11], v[10:11], v[14:15]
	v_mov_b32_dpp v12, v8 row_shr:1 row_mask:0xf bank_mask:0xf
	v_mov_b32_dpp v13, v9 row_shr:1 row_mask:0xf bank_mask:0xf
	;; [unrolled: 1-line block ×4, first 2 shown]
	v_add_f64 v[10:11], v[10:11], v[14:15]
	v_add_f64 v[8:9], v[8:9], v[12:13]
	v_cmp_eq_u32_e32 vcc, 31, v7
	v_mov_b32_dpp v14, v10 row_shr:4 row_mask:0xf bank_mask:0xe
	v_mov_b32_dpp v15, v11 row_shr:4 row_mask:0xf bank_mask:0xe
	v_add_f64 v[10:11], v[10:11], v[14:15]
	v_mov_b32_dpp v12, v8 row_shr:2 row_mask:0xf bank_mask:0xf
	v_mov_b32_dpp v13, v9 row_shr:2 row_mask:0xf bank_mask:0xf
	;; [unrolled: 1-line block ×4, first 2 shown]
	v_add_f64 v[14:15], v[10:11], v[14:15]
	v_mov_b32_dpp v10, v0 row_shr:1 row_mask:0xf bank_mask:0xf
	v_mov_b32_dpp v11, v1 row_shr:1 row_mask:0xf bank_mask:0xf
	v_add_f64 v[0:1], v[0:1], v[10:11]
	v_add_f64 v[8:9], v[8:9], v[12:13]
	v_mov_b32_dpp v16, v14 row_bcast:15 row_mask:0xa bank_mask:0xf
	v_mov_b32_dpp v10, v0 row_shr:2 row_mask:0xf bank_mask:0xf
	v_mov_b32_dpp v11, v1 row_shr:2 row_mask:0xf bank_mask:0xf
	v_add_f64 v[0:1], v[0:1], v[10:11]
	v_mov_b32_dpp v12, v8 row_shr:4 row_mask:0xf bank_mask:0xe
	v_mov_b32_dpp v13, v9 row_shr:4 row_mask:0xf bank_mask:0xe
	;; [unrolled: 1-line block ×4, first 2 shown]
	v_add_f64 v[8:9], v[8:9], v[12:13]
	v_add_f64 v[0:1], v[0:1], v[10:11]
	v_mov_b32_dpp v17, v15 row_bcast:15 row_mask:0xa bank_mask:0xf
	v_mov_b32_dpp v12, v8 row_shr:8 row_mask:0xf bank_mask:0xc
	v_mov_b32_dpp v13, v9 row_shr:8 row_mask:0xf bank_mask:0xc
	;; [unrolled: 1-line block ×4, first 2 shown]
	v_add_f64 v[8:9], v[8:9], v[12:13]
	v_add_f64 v[0:1], v[0:1], v[10:11]
	s_nop 0
	v_mov_b32_dpp v12, v8 row_bcast:15 row_mask:0xa bank_mask:0xf
	v_mov_b32_dpp v13, v9 row_bcast:15 row_mask:0xa bank_mask:0xf
	;; [unrolled: 1-line block ×4, first 2 shown]
	s_and_b64 exec, exec, vcc
	s_cbranch_execz .LBB55_23
; %bb.19:
	s_load_dwordx2 s[0:1], s[0:1], 0x38
	v_add_f64 v[10:11], v[8:9], v[12:13]
	v_add_f64 v[8:9], v[14:15], v[16:17]
	;; [unrolled: 1-line block ×3, first 2 shown]
	v_cmp_eq_f64_e32 vcc, 0, v[4:5]
	s_and_saveexec_b64 s[2:3], vcc
	s_xor_b64 s[2:3], exec, s[2:3]
	s_cbranch_execz .LBB55_21
; %bb.20:
	v_lshl_add_u32 v6, v6, 1, v6
	v_ashrrev_i32_e32 v7, 31, v6
	v_mul_f64 v[4:5], v[2:3], v[10:11]
	s_waitcnt lgkmcnt(0)
	v_lshl_add_u64 v[10:11], v[6:7], 3, s[0:1]
	v_mul_f64 v[6:7], v[2:3], v[8:9]
	v_mul_f64 v[0:1], v[2:3], v[0:1]
	global_store_dwordx4 v[10:11], v[4:7], off
	global_store_dwordx2 v[10:11], v[0:1], off offset:16
                                        ; implicit-def: $vgpr6
                                        ; implicit-def: $vgpr2_vgpr3
                                        ; implicit-def: $vgpr10_vgpr11
                                        ; implicit-def: $vgpr4_vgpr5
                                        ; implicit-def: $vgpr8_vgpr9
                                        ; implicit-def: $vgpr0_vgpr1
.LBB55_21:
	s_andn2_saveexec_b64 s[2:3], s[2:3]
	s_cbranch_execz .LBB55_23
; %bb.22:
	v_lshl_add_u32 v6, v6, 1, v6
	v_ashrrev_i32_e32 v7, 31, v6
	s_waitcnt lgkmcnt(0)
	v_lshl_add_u64 v[16:17], v[6:7], 3, s[0:1]
	global_load_dwordx4 v[12:15], v[16:17], off
	global_load_dwordx2 v[18:19], v[16:17], off offset:16
	v_mul_f64 v[6:7], v[2:3], v[10:11]
	v_mul_f64 v[8:9], v[2:3], v[8:9]
	;; [unrolled: 1-line block ×3, first 2 shown]
	s_waitcnt vmcnt(1)
	v_fmac_f64_e32 v[6:7], v[4:5], v[12:13]
	v_fmac_f64_e32 v[8:9], v[4:5], v[14:15]
	s_waitcnt vmcnt(0)
	v_fmac_f64_e32 v[0:1], v[4:5], v[18:19]
	global_store_dwordx4 v[16:17], v[6:9], off
	global_store_dwordx2 v[16:17], v[0:1], off offset:16
.LBB55_23:
	s_endpgm
	.section	.rodata,"a",@progbits
	.p2align	6, 0x0
	.amdhsa_kernel _ZN9rocsparseL19gebsrmvn_3xn_kernelILj128ELj5ELj32EdEEvi20rocsparse_direction_NS_24const_host_device_scalarIT2_EEPKiS6_PKS3_S8_S4_PS3_21rocsparse_index_base_b
		.amdhsa_group_segment_fixed_size 0
		.amdhsa_private_segment_fixed_size 0
		.amdhsa_kernarg_size 72
		.amdhsa_user_sgpr_count 2
		.amdhsa_user_sgpr_dispatch_ptr 0
		.amdhsa_user_sgpr_queue_ptr 0
		.amdhsa_user_sgpr_kernarg_segment_ptr 1
		.amdhsa_user_sgpr_dispatch_id 0
		.amdhsa_user_sgpr_kernarg_preload_length 0
		.amdhsa_user_sgpr_kernarg_preload_offset 0
		.amdhsa_user_sgpr_private_segment_size 0
		.amdhsa_uses_dynamic_stack 0
		.amdhsa_enable_private_segment 0
		.amdhsa_system_sgpr_workgroup_id_x 1
		.amdhsa_system_sgpr_workgroup_id_y 0
		.amdhsa_system_sgpr_workgroup_id_z 0
		.amdhsa_system_sgpr_workgroup_info 0
		.amdhsa_system_vgpr_workitem_id 0
		.amdhsa_next_free_vgpr 66
		.amdhsa_next_free_sgpr 18
		.amdhsa_accum_offset 68
		.amdhsa_reserve_vcc 1
		.amdhsa_float_round_mode_32 0
		.amdhsa_float_round_mode_16_64 0
		.amdhsa_float_denorm_mode_32 3
		.amdhsa_float_denorm_mode_16_64 3
		.amdhsa_dx10_clamp 1
		.amdhsa_ieee_mode 1
		.amdhsa_fp16_overflow 0
		.amdhsa_tg_split 0
		.amdhsa_exception_fp_ieee_invalid_op 0
		.amdhsa_exception_fp_denorm_src 0
		.amdhsa_exception_fp_ieee_div_zero 0
		.amdhsa_exception_fp_ieee_overflow 0
		.amdhsa_exception_fp_ieee_underflow 0
		.amdhsa_exception_fp_ieee_inexact 0
		.amdhsa_exception_int_div_zero 0
	.end_amdhsa_kernel
	.section	.text._ZN9rocsparseL19gebsrmvn_3xn_kernelILj128ELj5ELj32EdEEvi20rocsparse_direction_NS_24const_host_device_scalarIT2_EEPKiS6_PKS3_S8_S4_PS3_21rocsparse_index_base_b,"axG",@progbits,_ZN9rocsparseL19gebsrmvn_3xn_kernelILj128ELj5ELj32EdEEvi20rocsparse_direction_NS_24const_host_device_scalarIT2_EEPKiS6_PKS3_S8_S4_PS3_21rocsparse_index_base_b,comdat
.Lfunc_end55:
	.size	_ZN9rocsparseL19gebsrmvn_3xn_kernelILj128ELj5ELj32EdEEvi20rocsparse_direction_NS_24const_host_device_scalarIT2_EEPKiS6_PKS3_S8_S4_PS3_21rocsparse_index_base_b, .Lfunc_end55-_ZN9rocsparseL19gebsrmvn_3xn_kernelILj128ELj5ELj32EdEEvi20rocsparse_direction_NS_24const_host_device_scalarIT2_EEPKiS6_PKS3_S8_S4_PS3_21rocsparse_index_base_b
                                        ; -- End function
	.section	.AMDGPU.csdata,"",@progbits
; Kernel info:
; codeLenInByte = 2136
; NumSgprs: 24
; NumVgprs: 66
; NumAgprs: 0
; TotalNumVgprs: 66
; ScratchSize: 0
; MemoryBound: 0
; FloatMode: 240
; IeeeMode: 1
; LDSByteSize: 0 bytes/workgroup (compile time only)
; SGPRBlocks: 2
; VGPRBlocks: 8
; NumSGPRsForWavesPerEU: 24
; NumVGPRsForWavesPerEU: 66
; AccumOffset: 68
; Occupancy: 7
; WaveLimiterHint : 1
; COMPUTE_PGM_RSRC2:SCRATCH_EN: 0
; COMPUTE_PGM_RSRC2:USER_SGPR: 2
; COMPUTE_PGM_RSRC2:TRAP_HANDLER: 0
; COMPUTE_PGM_RSRC2:TGID_X_EN: 1
; COMPUTE_PGM_RSRC2:TGID_Y_EN: 0
; COMPUTE_PGM_RSRC2:TGID_Z_EN: 0
; COMPUTE_PGM_RSRC2:TIDIG_COMP_CNT: 0
; COMPUTE_PGM_RSRC3_GFX90A:ACCUM_OFFSET: 16
; COMPUTE_PGM_RSRC3_GFX90A:TG_SPLIT: 0
	.section	.text._ZN9rocsparseL19gebsrmvn_3xn_kernelILj128ELj5ELj64EdEEvi20rocsparse_direction_NS_24const_host_device_scalarIT2_EEPKiS6_PKS3_S8_S4_PS3_21rocsparse_index_base_b,"axG",@progbits,_ZN9rocsparseL19gebsrmvn_3xn_kernelILj128ELj5ELj64EdEEvi20rocsparse_direction_NS_24const_host_device_scalarIT2_EEPKiS6_PKS3_S8_S4_PS3_21rocsparse_index_base_b,comdat
	.globl	_ZN9rocsparseL19gebsrmvn_3xn_kernelILj128ELj5ELj64EdEEvi20rocsparse_direction_NS_24const_host_device_scalarIT2_EEPKiS6_PKS3_S8_S4_PS3_21rocsparse_index_base_b ; -- Begin function _ZN9rocsparseL19gebsrmvn_3xn_kernelILj128ELj5ELj64EdEEvi20rocsparse_direction_NS_24const_host_device_scalarIT2_EEPKiS6_PKS3_S8_S4_PS3_21rocsparse_index_base_b
	.p2align	8
	.type	_ZN9rocsparseL19gebsrmvn_3xn_kernelILj128ELj5ELj64EdEEvi20rocsparse_direction_NS_24const_host_device_scalarIT2_EEPKiS6_PKS3_S8_S4_PS3_21rocsparse_index_base_b,@function
_ZN9rocsparseL19gebsrmvn_3xn_kernelILj128ELj5ELj64EdEEvi20rocsparse_direction_NS_24const_host_device_scalarIT2_EEPKiS6_PKS3_S8_S4_PS3_21rocsparse_index_base_b: ; @_ZN9rocsparseL19gebsrmvn_3xn_kernelILj128ELj5ELj64EdEEvi20rocsparse_direction_NS_24const_host_device_scalarIT2_EEPKiS6_PKS3_S8_S4_PS3_21rocsparse_index_base_b
; %bb.0:
	s_load_dwordx2 s[12:13], s[0:1], 0x40
	s_load_dwordx2 s[8:9], s[0:1], 0x8
	;; [unrolled: 1-line block ×3, first 2 shown]
	s_waitcnt lgkmcnt(0)
	s_bitcmp1_b32 s13, 0
	s_cselect_b64 s[10:11], -1, 0
	s_xor_b64 s[6:7], s[10:11], -1
	s_and_b64 vcc, exec, s[10:11]
	v_mov_b64_e32 v[2:3], s[8:9]
	s_cbranch_vccnz .LBB56_2
; %bb.1:
	v_mov_b64_e32 v[2:3], s[8:9]
	flat_load_dwordx2 v[2:3], v[2:3]
.LBB56_2:
	s_andn2_b64 vcc, exec, s[6:7]
	v_mov_b64_e32 v[4:5], s[4:5]
	s_cbranch_vccnz .LBB56_4
; %bb.3:
	v_mov_b64_e32 v[4:5], s[4:5]
	flat_load_dwordx2 v[4:5], v[4:5]
.LBB56_4:
	s_waitcnt vmcnt(0) lgkmcnt(0)
	v_cmp_neq_f64_e32 vcc, 0, v[2:3]
	v_cmp_neq_f64_e64 s[4:5], 1.0, v[4:5]
	s_or_b64 s[4:5], vcc, s[4:5]
	s_and_saveexec_b64 s[6:7], s[4:5]
	s_cbranch_execz .LBB56_23
; %bb.5:
	s_load_dwordx2 s[14:15], s[0:1], 0x0
	v_lshrrev_b32_e32 v1, 6, v0
	v_lshl_or_b32 v6, s2, 1, v1
	s_waitcnt lgkmcnt(0)
	v_cmp_gt_i32_e32 vcc, s14, v6
	s_and_b64 exec, exec, vcc
	s_cbranch_execz .LBB56_23
; %bb.6:
	s_load_dwordx8 s[4:11], s[0:1], 0x10
	v_ashrrev_i32_e32 v7, 31, v6
	s_cmp_lg_u32 s15, 0
	s_waitcnt lgkmcnt(0)
	v_lshl_add_u64 v[8:9], v[6:7], 2, s[4:5]
	global_load_dwordx2 v[8:9], v[8:9], off
	v_and_b32_e32 v7, 63, v0
	s_waitcnt vmcnt(0)
	v_subrev_u32_e32 v0, s12, v8
	v_subrev_u32_e32 v20, s12, v9
	v_add_u32_e32 v12, v0, v7
	v_cmp_lt_i32_e64 s[2:3], v12, v20
	s_cbranch_scc0 .LBB56_12
; %bb.7:
	v_mov_b64_e32 v[10:11], 0
	s_mov_b64 s[4:5], 0
	v_mov_b64_e32 v[0:1], v[10:11]
	v_mov_b64_e32 v[8:9], v[10:11]
	s_and_saveexec_b64 s[14:15], s[2:3]
	s_cbranch_execz .LBB56_11
; %bb.8:
	v_mad_u64_u32 v[14:15], s[16:17], v12, 15, 14
	v_mov_b64_e32 v[10:11], 0
	s_mov_b64 s[16:17], 0
	v_mov_b32_e32 v17, 0
	v_mov_b32_e32 v18, v12
	v_mov_b64_e32 v[0:1], v[10:11]
	v_mov_b64_e32 v[8:9], v[10:11]
.LBB56_9:                               ; =>This Inner Loop Header: Depth=1
	v_ashrrev_i32_e32 v19, 31, v18
	v_lshl_add_u64 v[22:23], v[18:19], 2, s[6:7]
	global_load_dword v13, v[22:23], off
	v_add_u32_e32 v16, -14, v14
	v_lshl_add_u64 v[24:25], v[16:17], 3, s[8:9]
	v_add_u32_e32 v16, -13, v14
	v_lshl_add_u64 v[28:29], v[16:17], 3, s[8:9]
	;; [unrolled: 2-line block ×4, first 2 shown]
	global_load_dwordx2 v[24:25], v[24:25], off
	v_mov_b32_e32 v23, v17
	global_load_dwordx2 v[28:29], v[28:29], off
	s_nop 0
	global_load_dwordx2 v[34:35], v[30:31], off
	global_load_dwordx2 v[36:37], v[32:33], off
	v_mov_b32_e32 v15, v17
	v_lshl_add_u64 v[26:27], v[14:15], 3, s[8:9]
	v_add_u32_e32 v18, 64, v18
	v_cmp_ge_i32_e32 vcc, v18, v20
	s_or_b64 s[16:17], vcc, s[16:17]
	s_waitcnt vmcnt(4)
	v_subrev_u32_e32 v13, s12, v13
	v_lshl_add_u32 v22, v13, 2, v13
	v_add_u32_e32 v16, 1, v22
	v_lshl_add_u64 v[32:33], v[16:17], 3, s[10:11]
	v_add_u32_e32 v16, -10, v14
	v_lshl_add_u64 v[38:39], v[16:17], 3, s[8:9]
	v_add_u32_e32 v16, -9, v14
	;; [unrolled: 2-line block ×3, first 2 shown]
	v_lshl_add_u64 v[30:31], v[22:23], 3, s[10:11]
	v_lshl_add_u64 v[42:43], v[16:17], 3, s[8:9]
	v_add_u32_e32 v16, 2, v22
	global_load_dwordx2 v[30:31], v[30:31], off
	s_nop 0
	global_load_dwordx2 v[32:33], v[32:33], off
	s_waitcnt vmcnt(1)
	v_fmac_f64_e32 v[10:11], v[24:25], v[30:31]
	global_load_dwordx2 v[38:39], v[38:39], off
	s_nop 0
	global_load_dwordx2 v[44:45], v[40:41], off
	global_load_dwordx2 v[46:47], v[42:43], off
	v_lshl_add_u64 v[40:41], v[16:17], 3, s[10:11]
	v_add_u32_e32 v16, -7, v14
	v_lshl_add_u64 v[42:43], v[16:17], 3, s[8:9]
	v_add_u32_e32 v16, -6, v14
	;; [unrolled: 2-line block ×3, first 2 shown]
	v_lshl_add_u64 v[50:51], v[16:17], 3, s[8:9]
	v_add_u32_e32 v16, 3, v22
	global_load_dwordx2 v[40:41], v[40:41], off
	v_fmac_f64_e32 v[8:9], v[28:29], v[30:31]
	global_load_dwordx2 v[42:43], v[42:43], off
	s_nop 0
	global_load_dwordx2 v[52:53], v[48:49], off
	global_load_dwordx2 v[54:55], v[50:51], off
	v_lshl_add_u64 v[48:49], v[16:17], 3, s[10:11]
	v_add_u32_e32 v16, -4, v14
	v_lshl_add_u64 v[50:51], v[16:17], 3, s[8:9]
	v_add_u32_e32 v16, -3, v14
	;; [unrolled: 2-line block ×3, first 2 shown]
	v_lshl_add_u64 v[58:59], v[16:17], 3, s[8:9]
	v_add_u32_e32 v16, 4, v22
	global_load_dwordx2 v[48:49], v[48:49], off
	v_fmac_f64_e32 v[0:1], v[34:35], v[30:31]
	global_load_dwordx2 v[50:51], v[50:51], off
	s_nop 0
	global_load_dwordx2 v[22:23], v[56:57], off
	global_load_dwordx2 v[60:61], v[58:59], off
	v_lshl_add_u64 v[56:57], v[16:17], 3, s[10:11]
	v_add_u32_e32 v16, -1, v14
	v_lshl_add_u64 v[58:59], v[16:17], 3, s[8:9]
	global_load_dwordx2 v[56:57], v[56:57], off
	s_nop 0
	global_load_dwordx2 v[62:63], v[58:59], off
	global_load_dwordx2 v[64:65], v[26:27], off
	s_waitcnt vmcnt(14)
	v_fmac_f64_e32 v[10:11], v[36:37], v[32:33]
	v_add_u32_e32 v14, 0x3c0, v14
	s_waitcnt vmcnt(13)
	v_fmac_f64_e32 v[8:9], v[38:39], v[32:33]
	s_waitcnt vmcnt(12)
	v_fmac_f64_e32 v[0:1], v[44:45], v[32:33]
	;; [unrolled: 2-line block ×11, first 2 shown]
	s_andn2_b64 exec, exec, s[16:17]
	s_cbranch_execnz .LBB56_9
; %bb.10:
	s_or_b64 exec, exec, s[16:17]
.LBB56_11:
	s_or_b64 exec, exec, s[14:15]
	s_andn2_b64 vcc, exec, s[4:5]
	s_cbranch_vccz .LBB56_13
	s_branch .LBB56_18
.LBB56_12:
                                        ; implicit-def: $vgpr10_vgpr11
                                        ; implicit-def: $vgpr0_vgpr1
                                        ; implicit-def: $vgpr8_vgpr9
.LBB56_13:
	v_mov_b64_e32 v[10:11], 0
	v_mov_b64_e32 v[0:1], v[10:11]
	v_mov_b64_e32 v[8:9], v[10:11]
	s_and_saveexec_b64 s[4:5], s[2:3]
	s_cbranch_execz .LBB56_17
; %bb.14:
	v_mad_u64_u32 v[14:15], s[2:3], v12, 15, 14
	v_mov_b64_e32 v[10:11], 0
	s_mov_b64 s[2:3], 0
	v_mov_b32_e32 v17, 0
	v_mov_b64_e32 v[0:1], v[10:11]
	v_mov_b64_e32 v[8:9], v[10:11]
.LBB56_15:                              ; =>This Inner Loop Header: Depth=1
	v_ashrrev_i32_e32 v13, 31, v12
	v_lshl_add_u64 v[18:19], v[12:13], 2, s[6:7]
	global_load_dword v13, v[18:19], off
	v_add_u32_e32 v16, -14, v14
	v_add_u32_e32 v18, -9, v14
	;; [unrolled: 1-line block ×3, first 2 shown]
	v_mov_b32_e32 v19, v17
	v_mov_b32_e32 v23, v17
	v_lshl_add_u64 v[26:27], v[16:17], 3, s[8:9]
	v_add_u32_e32 v16, -13, v14
	v_lshl_add_u64 v[18:19], v[18:19], 3, s[8:9]
	v_lshl_add_u64 v[22:23], v[22:23], 3, s[8:9]
	;; [unrolled: 1-line block ×3, first 2 shown]
	global_load_dwordx2 v[26:27], v[26:27], off
	s_nop 0
	global_load_dwordx2 v[32:33], v[18:19], off
	global_load_dwordx2 v[34:35], v[22:23], off
	;; [unrolled: 1-line block ×3, first 2 shown]
	v_mov_b32_e32 v25, v17
	v_mov_b32_e32 v15, v17
	v_lshl_add_u64 v[28:29], v[14:15], 3, s[8:9]
	v_add_u32_e32 v12, 64, v12
	v_cmp_ge_i32_e32 vcc, v12, v20
	s_or_b64 s[2:3], vcc, s[2:3]
	s_waitcnt vmcnt(4)
	v_subrev_u32_e32 v13, s12, v13
	v_lshl_add_u32 v24, v13, 2, v13
	v_add_u32_e32 v16, 1, v24
	v_lshl_add_u64 v[22:23], v[16:17], 3, s[10:11]
	v_add_u32_e32 v16, -8, v14
	v_lshl_add_u64 v[30:31], v[16:17], 3, s[8:9]
	v_add_u32_e32 v16, -3, v14
	;; [unrolled: 2-line block ×3, first 2 shown]
	v_lshl_add_u64 v[18:19], v[24:25], 3, s[10:11]
	v_lshl_add_u64 v[40:41], v[16:17], 3, s[8:9]
	v_add_u32_e32 v16, 2, v24
	global_load_dwordx2 v[18:19], v[18:19], off
	s_nop 0
	global_load_dwordx2 v[22:23], v[22:23], off
	s_waitcnt vmcnt(1)
	v_fmac_f64_e32 v[10:11], v[26:27], v[18:19]
	global_load_dwordx2 v[30:31], v[30:31], off
	s_nop 0
	global_load_dwordx2 v[42:43], v[38:39], off
	global_load_dwordx2 v[44:45], v[40:41], off
	v_lshl_add_u64 v[38:39], v[16:17], 3, s[10:11]
	v_add_u32_e32 v16, -7, v14
	v_lshl_add_u64 v[40:41], v[16:17], 3, s[8:9]
	v_add_u32_e32 v16, -2, v14
	;; [unrolled: 2-line block ×3, first 2 shown]
	v_lshl_add_u64 v[48:49], v[16:17], 3, s[8:9]
	v_add_u32_e32 v16, 3, v24
	global_load_dwordx2 v[38:39], v[38:39], off
	v_fmac_f64_e32 v[8:9], v[32:33], v[18:19]
	global_load_dwordx2 v[40:41], v[40:41], off
	s_nop 0
	global_load_dwordx2 v[50:51], v[46:47], off
	global_load_dwordx2 v[52:53], v[48:49], off
	v_lshl_add_u64 v[46:47], v[16:17], 3, s[10:11]
	v_add_u32_e32 v16, -6, v14
	v_lshl_add_u64 v[48:49], v[16:17], 3, s[8:9]
	v_add_u32_e32 v16, -1, v14
	;; [unrolled: 2-line block ×3, first 2 shown]
	v_lshl_add_u64 v[56:57], v[16:17], 3, s[8:9]
	v_add_u32_e32 v16, 4, v24
	global_load_dwordx2 v[46:47], v[46:47], off
	v_fmac_f64_e32 v[0:1], v[34:35], v[18:19]
	global_load_dwordx2 v[48:49], v[48:49], off
	s_nop 0
	global_load_dwordx2 v[24:25], v[54:55], off
	global_load_dwordx2 v[58:59], v[56:57], off
	v_lshl_add_u64 v[54:55], v[16:17], 3, s[10:11]
	v_add_u32_e32 v16, -5, v14
	v_lshl_add_u64 v[56:57], v[16:17], 3, s[8:9]
	global_load_dwordx2 v[54:55], v[54:55], off
	s_nop 0
	global_load_dwordx2 v[60:61], v[56:57], off
	global_load_dwordx2 v[62:63], v[28:29], off
	s_waitcnt vmcnt(14)
	v_fmac_f64_e32 v[10:11], v[36:37], v[22:23]
	v_add_u32_e32 v14, 0x3c0, v14
	s_waitcnt vmcnt(13)
	v_fmac_f64_e32 v[8:9], v[30:31], v[22:23]
	s_waitcnt vmcnt(12)
	v_fmac_f64_e32 v[0:1], v[42:43], v[22:23]
	;; [unrolled: 2-line block ×11, first 2 shown]
	s_andn2_b64 exec, exec, s[2:3]
	s_cbranch_execnz .LBB56_15
; %bb.16:
	s_or_b64 exec, exec, s[2:3]
.LBB56_17:
	s_or_b64 exec, exec, s[4:5]
.LBB56_18:
	v_mov_b32_dpp v12, v10 row_shr:1 row_mask:0xf bank_mask:0xf
	v_mov_b32_dpp v13, v11 row_shr:1 row_mask:0xf bank_mask:0xf
	v_mov_b32_dpp v14, v8 row_shr:1 row_mask:0xf bank_mask:0xf
	v_mov_b32_dpp v15, v9 row_shr:1 row_mask:0xf bank_mask:0xf
	v_mov_b32_dpp v16, v0 row_shr:1 row_mask:0xf bank_mask:0xf
	v_mov_b32_dpp v17, v1 row_shr:1 row_mask:0xf bank_mask:0xf
	v_add_f64 v[10:11], v[10:11], v[12:13]
	v_add_f64 v[8:9], v[8:9], v[14:15]
	v_add_f64 v[0:1], v[0:1], v[16:17]
	v_mov_b32_dpp v12, v10 row_shr:2 row_mask:0xf bank_mask:0xf
	v_mov_b32_dpp v13, v11 row_shr:2 row_mask:0xf bank_mask:0xf
	v_mov_b32_dpp v14, v8 row_shr:2 row_mask:0xf bank_mask:0xf
	v_mov_b32_dpp v15, v9 row_shr:2 row_mask:0xf bank_mask:0xf
	v_mov_b32_dpp v16, v0 row_shr:2 row_mask:0xf bank_mask:0xf
	v_mov_b32_dpp v17, v1 row_shr:2 row_mask:0xf bank_mask:0xf
	v_add_f64 v[10:11], v[10:11], v[12:13]
	v_add_f64 v[8:9], v[8:9], v[14:15]
	v_add_f64 v[0:1], v[0:1], v[16:17]
	;; [unrolled: 9-line block ×4, first 2 shown]
	v_mov_b32_dpp v12, v10 row_bcast:15 row_mask:0xa bank_mask:0xf
	v_mov_b32_dpp v13, v11 row_bcast:15 row_mask:0xa bank_mask:0xf
	;; [unrolled: 1-line block ×6, first 2 shown]
	v_add_f64 v[10:11], v[10:11], v[12:13]
	v_add_f64 v[8:9], v[8:9], v[14:15]
	;; [unrolled: 1-line block ×3, first 2 shown]
	v_mov_b32_dpp v12, v10 row_bcast:31 row_mask:0xc bank_mask:0xf
	v_mov_b32_dpp v13, v11 row_bcast:31 row_mask:0xc bank_mask:0xf
	;; [unrolled: 1-line block ×6, first 2 shown]
	v_cmp_eq_u32_e32 vcc, 63, v7
	s_and_b64 exec, exec, vcc
	s_cbranch_execz .LBB56_23
; %bb.19:
	s_load_dwordx2 s[0:1], s[0:1], 0x38
	v_add_f64 v[10:11], v[10:11], v[12:13]
	v_add_f64 v[8:9], v[8:9], v[14:15]
	;; [unrolled: 1-line block ×3, first 2 shown]
	v_cmp_eq_f64_e32 vcc, 0, v[4:5]
	s_and_saveexec_b64 s[2:3], vcc
	s_xor_b64 s[2:3], exec, s[2:3]
	s_cbranch_execz .LBB56_21
; %bb.20:
	v_lshl_add_u32 v6, v6, 1, v6
	v_ashrrev_i32_e32 v7, 31, v6
	v_mul_f64 v[4:5], v[2:3], v[10:11]
	s_waitcnt lgkmcnt(0)
	v_lshl_add_u64 v[10:11], v[6:7], 3, s[0:1]
	v_mul_f64 v[6:7], v[2:3], v[8:9]
	v_mul_f64 v[0:1], v[2:3], v[0:1]
	global_store_dwordx4 v[10:11], v[4:7], off
	global_store_dwordx2 v[10:11], v[0:1], off offset:16
                                        ; implicit-def: $vgpr6
                                        ; implicit-def: $vgpr2_vgpr3
                                        ; implicit-def: $vgpr10_vgpr11
                                        ; implicit-def: $vgpr4_vgpr5
                                        ; implicit-def: $vgpr8_vgpr9
                                        ; implicit-def: $vgpr0_vgpr1
.LBB56_21:
	s_andn2_saveexec_b64 s[2:3], s[2:3]
	s_cbranch_execz .LBB56_23
; %bb.22:
	v_lshl_add_u32 v6, v6, 1, v6
	v_ashrrev_i32_e32 v7, 31, v6
	s_waitcnt lgkmcnt(0)
	v_lshl_add_u64 v[16:17], v[6:7], 3, s[0:1]
	global_load_dwordx4 v[12:15], v[16:17], off
	global_load_dwordx2 v[18:19], v[16:17], off offset:16
	v_mul_f64 v[6:7], v[2:3], v[10:11]
	v_mul_f64 v[8:9], v[2:3], v[8:9]
	;; [unrolled: 1-line block ×3, first 2 shown]
	s_waitcnt vmcnt(1)
	v_fmac_f64_e32 v[6:7], v[4:5], v[12:13]
	v_fmac_f64_e32 v[8:9], v[4:5], v[14:15]
	s_waitcnt vmcnt(0)
	v_fmac_f64_e32 v[0:1], v[4:5], v[18:19]
	global_store_dwordx4 v[16:17], v[6:9], off
	global_store_dwordx2 v[16:17], v[0:1], off offset:16
.LBB56_23:
	s_endpgm
	.section	.rodata,"a",@progbits
	.p2align	6, 0x0
	.amdhsa_kernel _ZN9rocsparseL19gebsrmvn_3xn_kernelILj128ELj5ELj64EdEEvi20rocsparse_direction_NS_24const_host_device_scalarIT2_EEPKiS6_PKS3_S8_S4_PS3_21rocsparse_index_base_b
		.amdhsa_group_segment_fixed_size 0
		.amdhsa_private_segment_fixed_size 0
		.amdhsa_kernarg_size 72
		.amdhsa_user_sgpr_count 2
		.amdhsa_user_sgpr_dispatch_ptr 0
		.amdhsa_user_sgpr_queue_ptr 0
		.amdhsa_user_sgpr_kernarg_segment_ptr 1
		.amdhsa_user_sgpr_dispatch_id 0
		.amdhsa_user_sgpr_kernarg_preload_length 0
		.amdhsa_user_sgpr_kernarg_preload_offset 0
		.amdhsa_user_sgpr_private_segment_size 0
		.amdhsa_uses_dynamic_stack 0
		.amdhsa_enable_private_segment 0
		.amdhsa_system_sgpr_workgroup_id_x 1
		.amdhsa_system_sgpr_workgroup_id_y 0
		.amdhsa_system_sgpr_workgroup_id_z 0
		.amdhsa_system_sgpr_workgroup_info 0
		.amdhsa_system_vgpr_workitem_id 0
		.amdhsa_next_free_vgpr 66
		.amdhsa_next_free_sgpr 18
		.amdhsa_accum_offset 68
		.amdhsa_reserve_vcc 1
		.amdhsa_float_round_mode_32 0
		.amdhsa_float_round_mode_16_64 0
		.amdhsa_float_denorm_mode_32 3
		.amdhsa_float_denorm_mode_16_64 3
		.amdhsa_dx10_clamp 1
		.amdhsa_ieee_mode 1
		.amdhsa_fp16_overflow 0
		.amdhsa_tg_split 0
		.amdhsa_exception_fp_ieee_invalid_op 0
		.amdhsa_exception_fp_denorm_src 0
		.amdhsa_exception_fp_ieee_div_zero 0
		.amdhsa_exception_fp_ieee_overflow 0
		.amdhsa_exception_fp_ieee_underflow 0
		.amdhsa_exception_fp_ieee_inexact 0
		.amdhsa_exception_int_div_zero 0
	.end_amdhsa_kernel
	.section	.text._ZN9rocsparseL19gebsrmvn_3xn_kernelILj128ELj5ELj64EdEEvi20rocsparse_direction_NS_24const_host_device_scalarIT2_EEPKiS6_PKS3_S8_S4_PS3_21rocsparse_index_base_b,"axG",@progbits,_ZN9rocsparseL19gebsrmvn_3xn_kernelILj128ELj5ELj64EdEEvi20rocsparse_direction_NS_24const_host_device_scalarIT2_EEPKiS6_PKS3_S8_S4_PS3_21rocsparse_index_base_b,comdat
.Lfunc_end56:
	.size	_ZN9rocsparseL19gebsrmvn_3xn_kernelILj128ELj5ELj64EdEEvi20rocsparse_direction_NS_24const_host_device_scalarIT2_EEPKiS6_PKS3_S8_S4_PS3_21rocsparse_index_base_b, .Lfunc_end56-_ZN9rocsparseL19gebsrmvn_3xn_kernelILj128ELj5ELj64EdEEvi20rocsparse_direction_NS_24const_host_device_scalarIT2_EEPKiS6_PKS3_S8_S4_PS3_21rocsparse_index_base_b
                                        ; -- End function
	.section	.AMDGPU.csdata,"",@progbits
; Kernel info:
; codeLenInByte = 2204
; NumSgprs: 24
; NumVgprs: 66
; NumAgprs: 0
; TotalNumVgprs: 66
; ScratchSize: 0
; MemoryBound: 0
; FloatMode: 240
; IeeeMode: 1
; LDSByteSize: 0 bytes/workgroup (compile time only)
; SGPRBlocks: 2
; VGPRBlocks: 8
; NumSGPRsForWavesPerEU: 24
; NumVGPRsForWavesPerEU: 66
; AccumOffset: 68
; Occupancy: 7
; WaveLimiterHint : 1
; COMPUTE_PGM_RSRC2:SCRATCH_EN: 0
; COMPUTE_PGM_RSRC2:USER_SGPR: 2
; COMPUTE_PGM_RSRC2:TRAP_HANDLER: 0
; COMPUTE_PGM_RSRC2:TGID_X_EN: 1
; COMPUTE_PGM_RSRC2:TGID_Y_EN: 0
; COMPUTE_PGM_RSRC2:TGID_Z_EN: 0
; COMPUTE_PGM_RSRC2:TIDIG_COMP_CNT: 0
; COMPUTE_PGM_RSRC3_GFX90A:ACCUM_OFFSET: 16
; COMPUTE_PGM_RSRC3_GFX90A:TG_SPLIT: 0
	.section	.text._ZN9rocsparseL19gebsrmvn_3xn_kernelILj128ELj6ELj4EdEEvi20rocsparse_direction_NS_24const_host_device_scalarIT2_EEPKiS6_PKS3_S8_S4_PS3_21rocsparse_index_base_b,"axG",@progbits,_ZN9rocsparseL19gebsrmvn_3xn_kernelILj128ELj6ELj4EdEEvi20rocsparse_direction_NS_24const_host_device_scalarIT2_EEPKiS6_PKS3_S8_S4_PS3_21rocsparse_index_base_b,comdat
	.globl	_ZN9rocsparseL19gebsrmvn_3xn_kernelILj128ELj6ELj4EdEEvi20rocsparse_direction_NS_24const_host_device_scalarIT2_EEPKiS6_PKS3_S8_S4_PS3_21rocsparse_index_base_b ; -- Begin function _ZN9rocsparseL19gebsrmvn_3xn_kernelILj128ELj6ELj4EdEEvi20rocsparse_direction_NS_24const_host_device_scalarIT2_EEPKiS6_PKS3_S8_S4_PS3_21rocsparse_index_base_b
	.p2align	8
	.type	_ZN9rocsparseL19gebsrmvn_3xn_kernelILj128ELj6ELj4EdEEvi20rocsparse_direction_NS_24const_host_device_scalarIT2_EEPKiS6_PKS3_S8_S4_PS3_21rocsparse_index_base_b,@function
_ZN9rocsparseL19gebsrmvn_3xn_kernelILj128ELj6ELj4EdEEvi20rocsparse_direction_NS_24const_host_device_scalarIT2_EEPKiS6_PKS3_S8_S4_PS3_21rocsparse_index_base_b: ; @_ZN9rocsparseL19gebsrmvn_3xn_kernelILj128ELj6ELj4EdEEvi20rocsparse_direction_NS_24const_host_device_scalarIT2_EEPKiS6_PKS3_S8_S4_PS3_21rocsparse_index_base_b
; %bb.0:
	s_load_dwordx2 s[12:13], s[0:1], 0x40
	s_load_dwordx2 s[8:9], s[0:1], 0x8
	;; [unrolled: 1-line block ×3, first 2 shown]
	s_waitcnt lgkmcnt(0)
	s_bitcmp1_b32 s13, 0
	s_cselect_b64 s[10:11], -1, 0
	s_xor_b64 s[6:7], s[10:11], -1
	s_and_b64 vcc, exec, s[10:11]
	v_mov_b64_e32 v[2:3], s[8:9]
	s_cbranch_vccnz .LBB57_2
; %bb.1:
	v_mov_b64_e32 v[2:3], s[8:9]
	flat_load_dwordx2 v[2:3], v[2:3]
.LBB57_2:
	s_andn2_b64 vcc, exec, s[6:7]
	v_mov_b64_e32 v[4:5], s[4:5]
	s_cbranch_vccnz .LBB57_4
; %bb.3:
	v_mov_b64_e32 v[4:5], s[4:5]
	flat_load_dwordx2 v[4:5], v[4:5]
.LBB57_4:
	s_waitcnt vmcnt(0) lgkmcnt(0)
	v_cmp_neq_f64_e32 vcc, 0, v[2:3]
	v_cmp_neq_f64_e64 s[4:5], 1.0, v[4:5]
	s_or_b64 s[4:5], vcc, s[4:5]
	s_and_saveexec_b64 s[6:7], s[4:5]
	s_cbranch_execz .LBB57_23
; %bb.5:
	s_load_dwordx2 s[14:15], s[0:1], 0x0
	v_lshrrev_b32_e32 v1, 2, v0
	v_lshl_or_b32 v6, s2, 5, v1
	s_waitcnt lgkmcnt(0)
	v_cmp_gt_i32_e32 vcc, s14, v6
	s_and_b64 exec, exec, vcc
	s_cbranch_execz .LBB57_23
; %bb.6:
	s_load_dwordx8 s[4:11], s[0:1], 0x10
	v_ashrrev_i32_e32 v7, 31, v6
	s_cmp_lg_u32 s15, 0
	s_waitcnt lgkmcnt(0)
	v_lshl_add_u64 v[8:9], v[6:7], 2, s[4:5]
	global_load_dwordx2 v[8:9], v[8:9], off
	v_and_b32_e32 v7, 3, v0
	s_waitcnt vmcnt(0)
	v_subrev_u32_e32 v0, s12, v8
	v_subrev_u32_e32 v20, s12, v9
	v_add_u32_e32 v10, v0, v7
	v_cmp_lt_i32_e64 s[2:3], v10, v20
	s_cbranch_scc0 .LBB57_12
; %bb.7:
	v_mov_b64_e32 v[0:1], 0
	s_mov_b64 s[4:5], 0
	v_mov_b64_e32 v[8:9], v[0:1]
	v_mov_b64_e32 v[12:13], v[0:1]
	s_and_saveexec_b64 s[14:15], s[2:3]
	s_cbranch_execz .LBB57_11
; %bb.8:
	v_mad_u64_u32 v[14:15], s[16:17], v10, 18, 17
	v_mov_b64_e32 v[0:1], 0
	s_mov_b64 s[16:17], 0
	v_mov_b32_e32 v17, 0
	v_mov_b32_e32 v18, v10
	v_mov_b64_e32 v[8:9], v[0:1]
	v_mov_b64_e32 v[12:13], v[0:1]
.LBB57_9:                               ; =>This Inner Loop Header: Depth=1
	v_ashrrev_i32_e32 v19, 31, v18
	v_subrev_u32_e32 v16, 17, v14
	v_lshl_add_u64 v[26:27], v[18:19], 2, s[6:7]
	v_lshl_add_u64 v[28:29], v[16:17], 3, s[8:9]
	global_load_dword v11, v[26:27], off
	global_load_dwordx4 v[22:25], v[28:29], off
	v_add_u32_e32 v16, -15, v14
	v_mov_b32_e32 v15, v17
	v_lshl_add_u64 v[26:27], v[16:17], 3, s[8:9]
	v_add_u32_e32 v16, -14, v14
	v_lshl_add_u64 v[30:31], v[14:15], 3, s[8:9]
	v_lshl_add_u64 v[28:29], v[16:17], 3, s[8:9]
	v_add_u32_e32 v16, -13, v14
	global_load_dwordx2 v[38:39], v[30:31], off
	global_load_dwordx2 v[42:43], v[28:29], off
	;; [unrolled: 1-line block ×3, first 2 shown]
	v_lshl_add_u64 v[26:27], v[16:17], 3, s[8:9]
	v_add_u32_e32 v16, -12, v14
	v_lshl_add_u64 v[28:29], v[16:17], 3, s[8:9]
	v_add_u32_e32 v16, -11, v14
	v_mov_b32_e32 v35, v17
	global_load_dwordx2 v[44:45], v[26:27], off
	global_load_dwordx2 v[46:47], v[28:29], off
	v_lshl_add_u64 v[26:27], v[16:17], 3, s[8:9]
	global_load_dwordx2 v[48:49], v[26:27], off
	v_add_u32_e32 v18, 4, v18
	v_cmp_ge_i32_e32 vcc, v18, v20
	s_or_b64 s[16:17], vcc, s[16:17]
	s_waitcnt vmcnt(7)
	v_subrev_u32_e32 v11, s12, v11
	v_mul_lo_u32 v34, v11, 6
	v_lshl_add_u64 v[26:27], v[34:35], 3, s[10:11]
	global_load_dwordx4 v[26:29], v[26:27], off
	v_add_u32_e32 v16, 2, v34
	v_lshl_add_u64 v[30:31], v[16:17], 3, s[10:11]
	global_load_dwordx4 v[30:33], v[30:31], off
	v_add_u32_e32 v16, -10, v14
	v_lshl_add_u64 v[36:37], v[16:17], 3, s[8:9]
	v_add_u32_e32 v16, -9, v14
	v_lshl_add_u64 v[50:51], v[16:17], 3, s[8:9]
	v_add_u32_e32 v16, -8, v14
	global_load_dwordx2 v[52:53], v[36:37], off
	s_waitcnt vmcnt(2)
	v_fmac_f64_e32 v[0:1], v[22:23], v[26:27]
	global_load_dwordx2 v[50:51], v[50:51], off
	v_lshl_add_u64 v[36:37], v[16:17], 3, s[8:9]
	v_add_u32_e32 v16, -7, v14
	v_lshl_add_u64 v[54:55], v[16:17], 3, s[8:9]
	v_add_u32_e32 v16, -6, v14
	global_load_dwordx2 v[56:57], v[36:37], off
	global_load_dwordx2 v[58:59], v[54:55], off
	v_lshl_add_u64 v[36:37], v[16:17], 3, s[8:9]
	v_add_u32_e32 v16, -5, v14
	v_lshl_add_u64 v[54:55], v[16:17], 3, s[8:9]
	v_add_u32_e32 v16, 4, v34
	v_lshl_add_u64 v[34:35], v[16:17], 3, s[10:11]
	v_add_u32_e32 v16, -4, v14
	v_lshl_add_u64 v[22:23], v[16:17], 3, s[8:9]
	v_add_u32_e32 v16, -3, v14
	v_fmac_f64_e32 v[12:13], v[24:25], v[26:27]
	v_lshl_add_u64 v[24:25], v[16:17], 3, s[8:9]
	v_add_u32_e32 v16, -2, v14
	v_fmac_f64_e32 v[8:9], v[40:41], v[26:27]
	v_lshl_add_u64 v[26:27], v[16:17], 3, s[8:9]
	v_add_u32_e32 v16, -1, v14
	global_load_dwordx2 v[60:61], v[36:37], off
	global_load_dwordx2 v[62:63], v[54:55], off
	v_fmac_f64_e32 v[0:1], v[42:43], v[28:29]
	global_load_dwordx4 v[34:37], v[34:35], off
	v_fmac_f64_e32 v[12:13], v[44:45], v[28:29]
	global_load_dwordx2 v[22:23], v[22:23], off
	s_nop 0
	global_load_dwordx2 v[40:41], v[24:25], off
	global_load_dwordx2 v[54:55], v[26:27], off
	v_lshl_add_u64 v[24:25], v[16:17], 3, s[8:9]
	global_load_dwordx2 v[24:25], v[24:25], off
	v_fmac_f64_e32 v[8:9], v[46:47], v[28:29]
	s_waitcnt vmcnt(11)
	v_fmac_f64_e32 v[0:1], v[48:49], v[30:31]
	s_waitcnt vmcnt(10)
	v_fmac_f64_e32 v[12:13], v[52:53], v[30:31]
	v_add_u32_e32 v14, 0x48, v14
	s_waitcnt vmcnt(9)
	v_fmac_f64_e32 v[8:9], v[50:51], v[30:31]
	s_waitcnt vmcnt(8)
	v_fmac_f64_e32 v[0:1], v[56:57], v[32:33]
	;; [unrolled: 2-line block ×8, first 2 shown]
	v_fmac_f64_e32 v[8:9], v[38:39], v[36:37]
	s_waitcnt vmcnt(0)
	v_fmac_f64_e32 v[12:13], v[24:25], v[36:37]
	s_andn2_b64 exec, exec, s[16:17]
	s_cbranch_execnz .LBB57_9
; %bb.10:
	s_or_b64 exec, exec, s[16:17]
.LBB57_11:
	s_or_b64 exec, exec, s[14:15]
	s_andn2_b64 vcc, exec, s[4:5]
	s_cbranch_vccz .LBB57_13
	s_branch .LBB57_18
.LBB57_12:
                                        ; implicit-def: $vgpr0_vgpr1
                                        ; implicit-def: $vgpr8_vgpr9
                                        ; implicit-def: $vgpr12_vgpr13
.LBB57_13:
	v_mov_b64_e32 v[0:1], 0
	v_mov_b64_e32 v[8:9], v[0:1]
	;; [unrolled: 1-line block ×3, first 2 shown]
	s_and_saveexec_b64 s[4:5], s[2:3]
	s_cbranch_execz .LBB57_17
; %bb.14:
	v_mad_u64_u32 v[14:15], s[2:3], v10, 18, 17
	v_mov_b64_e32 v[0:1], 0
	s_mov_b64 s[2:3], 0
	v_mov_b32_e32 v17, 0
	v_mov_b64_e32 v[8:9], v[0:1]
	v_mov_b64_e32 v[12:13], v[0:1]
.LBB57_15:                              ; =>This Inner Loop Header: Depth=1
	v_ashrrev_i32_e32 v11, 31, v10
	v_subrev_u32_e32 v16, 17, v14
	v_add_u32_e32 v22, -5, v14
	v_mov_b32_e32 v23, v17
	v_lshl_add_u64 v[26:27], v[10:11], 2, s[6:7]
	v_lshl_add_u64 v[28:29], v[16:17], 3, s[8:9]
	v_lshl_add_u64 v[30:31], v[22:23], 3, s[8:9]
	global_load_dword v11, v[26:27], off
	global_load_dwordx4 v[22:25], v[28:29], off
	v_add_u32_e32 v18, -11, v14
	v_mov_b32_e32 v19, v17
	v_mov_b32_e32 v15, v17
	v_add_u32_e32 v16, -10, v14
	v_mov_b32_e32 v35, v17
	v_lshl_add_u64 v[18:19], v[18:19], 3, s[8:9]
	v_lshl_add_u64 v[32:33], v[14:15], 3, s[8:9]
	;; [unrolled: 1-line block ×3, first 2 shown]
	v_add_u32_e32 v16, -4, v14
	global_load_dwordx2 v[38:39], v[32:33], off
	global_load_dwordx2 v[40:41], v[18:19], off
	;; [unrolled: 1-line block ×3, first 2 shown]
	v_lshl_add_u64 v[18:19], v[16:17], 3, s[8:9]
	global_load_dwordx2 v[44:45], v[26:27], off
	global_load_dwordx2 v[46:47], v[18:19], off
	v_add_u32_e32 v16, -15, v14
	v_lshl_add_u64 v[18:19], v[16:17], 3, s[8:9]
	global_load_dwordx2 v[18:19], v[18:19], off
	v_add_u32_e32 v10, 4, v10
	v_cmp_ge_i32_e32 vcc, v10, v20
	s_or_b64 s[2:3], vcc, s[2:3]
	s_waitcnt vmcnt(7)
	v_subrev_u32_e32 v11, s12, v11
	v_mul_lo_u32 v34, v11, 6
	v_lshl_add_u64 v[26:27], v[34:35], 3, s[10:11]
	global_load_dwordx4 v[26:29], v[26:27], off
	v_add_u32_e32 v16, 2, v34
	v_lshl_add_u64 v[30:31], v[16:17], 3, s[10:11]
	global_load_dwordx4 v[30:33], v[30:31], off
	v_add_u32_e32 v16, -9, v14
	v_lshl_add_u64 v[36:37], v[16:17], 3, s[8:9]
	v_add_u32_e32 v16, -3, v14
	v_lshl_add_u64 v[48:49], v[16:17], 3, s[8:9]
	v_add_u32_e32 v16, -14, v14
	global_load_dwordx2 v[50:51], v[36:37], off
	s_waitcnt vmcnt(2)
	v_fmac_f64_e32 v[0:1], v[22:23], v[26:27]
	global_load_dwordx2 v[48:49], v[48:49], off
	v_lshl_add_u64 v[36:37], v[16:17], 3, s[8:9]
	v_add_u32_e32 v16, -8, v14
	v_lshl_add_u64 v[52:53], v[16:17], 3, s[8:9]
	v_add_u32_e32 v16, -2, v14
	global_load_dwordx2 v[54:55], v[36:37], off
	global_load_dwordx2 v[56:57], v[52:53], off
	v_lshl_add_u64 v[36:37], v[16:17], 3, s[8:9]
	v_add_u32_e32 v16, -13, v14
	v_lshl_add_u64 v[52:53], v[16:17], 3, s[8:9]
	v_add_u32_e32 v16, 4, v34
	v_lshl_add_u64 v[34:35], v[16:17], 3, s[10:11]
	v_add_u32_e32 v16, -7, v14
	v_lshl_add_u64 v[22:23], v[16:17], 3, s[8:9]
	v_add_u32_e32 v16, -1, v14
	v_fmac_f64_e32 v[0:1], v[24:25], v[28:29]
	v_lshl_add_u64 v[24:25], v[16:17], 3, s[8:9]
	v_add_u32_e32 v16, -12, v14
	v_fmac_f64_e32 v[12:13], v[40:41], v[26:27]
	v_lshl_add_u64 v[40:41], v[16:17], 3, s[8:9]
	v_add_u32_e32 v16, -6, v14
	global_load_dwordx2 v[58:59], v[36:37], off
	global_load_dwordx2 v[60:61], v[52:53], off
	v_fmac_f64_e32 v[8:9], v[42:43], v[26:27]
	global_load_dwordx4 v[34:37], v[34:35], off
	v_fmac_f64_e32 v[12:13], v[44:45], v[28:29]
	global_load_dwordx2 v[22:23], v[22:23], off
	s_nop 0
	global_load_dwordx2 v[52:53], v[24:25], off
	global_load_dwordx2 v[62:63], v[40:41], off
	v_lshl_add_u64 v[24:25], v[16:17], 3, s[8:9]
	global_load_dwordx2 v[24:25], v[24:25], off
	v_fmac_f64_e32 v[8:9], v[46:47], v[28:29]
	s_waitcnt vmcnt(11)
	v_fmac_f64_e32 v[0:1], v[18:19], v[30:31]
	s_waitcnt vmcnt(10)
	v_fmac_f64_e32 v[12:13], v[50:51], v[30:31]
	v_add_u32_e32 v14, 0x48, v14
	s_waitcnt vmcnt(9)
	v_fmac_f64_e32 v[8:9], v[48:49], v[30:31]
	s_waitcnt vmcnt(8)
	v_fmac_f64_e32 v[0:1], v[54:55], v[32:33]
	;; [unrolled: 2-line block ×8, first 2 shown]
	v_fmac_f64_e32 v[8:9], v[38:39], v[36:37]
	s_waitcnt vmcnt(0)
	v_fmac_f64_e32 v[12:13], v[24:25], v[36:37]
	s_andn2_b64 exec, exec, s[2:3]
	s_cbranch_execnz .LBB57_15
; %bb.16:
	s_or_b64 exec, exec, s[2:3]
.LBB57_17:
	s_or_b64 exec, exec, s[4:5]
.LBB57_18:
	v_mov_b32_dpp v10, v0 row_shr:1 row_mask:0xf bank_mask:0xf
	v_mov_b32_dpp v11, v1 row_shr:1 row_mask:0xf bank_mask:0xf
	;; [unrolled: 1-line block ×6, first 2 shown]
	v_add_f64 v[0:1], v[0:1], v[10:11]
	v_add_f64 v[12:13], v[12:13], v[14:15]
	;; [unrolled: 1-line block ×3, first 2 shown]
	v_mov_b32_dpp v10, v0 row_shr:2 row_mask:0xf bank_mask:0xf
	v_mov_b32_dpp v11, v1 row_shr:2 row_mask:0xf bank_mask:0xf
	;; [unrolled: 1-line block ×6, first 2 shown]
	v_cmp_eq_u32_e32 vcc, 3, v7
	s_and_b64 exec, exec, vcc
	s_cbranch_execz .LBB57_23
; %bb.19:
	s_load_dwordx2 s[0:1], s[0:1], 0x38
	v_add_f64 v[10:11], v[0:1], v[10:11]
	v_add_f64 v[8:9], v[12:13], v[14:15]
	;; [unrolled: 1-line block ×3, first 2 shown]
	v_cmp_eq_f64_e32 vcc, 0, v[4:5]
	s_and_saveexec_b64 s[2:3], vcc
	s_xor_b64 s[2:3], exec, s[2:3]
	s_cbranch_execz .LBB57_21
; %bb.20:
	v_lshl_add_u32 v6, v6, 1, v6
	v_ashrrev_i32_e32 v7, 31, v6
	v_mul_f64 v[4:5], v[2:3], v[10:11]
	s_waitcnt lgkmcnt(0)
	v_lshl_add_u64 v[10:11], v[6:7], 3, s[0:1]
	v_mul_f64 v[6:7], v[2:3], v[8:9]
	v_mul_f64 v[0:1], v[2:3], v[0:1]
	global_store_dwordx4 v[10:11], v[4:7], off
	global_store_dwordx2 v[10:11], v[0:1], off offset:16
                                        ; implicit-def: $vgpr6
                                        ; implicit-def: $vgpr2_vgpr3
                                        ; implicit-def: $vgpr10_vgpr11
                                        ; implicit-def: $vgpr4_vgpr5
                                        ; implicit-def: $vgpr8_vgpr9
                                        ; implicit-def: $vgpr0_vgpr1
.LBB57_21:
	s_andn2_saveexec_b64 s[2:3], s[2:3]
	s_cbranch_execz .LBB57_23
; %bb.22:
	v_lshl_add_u32 v6, v6, 1, v6
	v_ashrrev_i32_e32 v7, 31, v6
	s_waitcnt lgkmcnt(0)
	v_lshl_add_u64 v[16:17], v[6:7], 3, s[0:1]
	global_load_dwordx4 v[12:15], v[16:17], off
	global_load_dwordx2 v[18:19], v[16:17], off offset:16
	v_mul_f64 v[6:7], v[2:3], v[10:11]
	v_mul_f64 v[8:9], v[2:3], v[8:9]
	;; [unrolled: 1-line block ×3, first 2 shown]
	s_waitcnt vmcnt(1)
	v_fmac_f64_e32 v[6:7], v[4:5], v[12:13]
	v_fmac_f64_e32 v[8:9], v[4:5], v[14:15]
	s_waitcnt vmcnt(0)
	v_fmac_f64_e32 v[0:1], v[4:5], v[18:19]
	global_store_dwordx4 v[16:17], v[6:9], off
	global_store_dwordx2 v[16:17], v[0:1], off offset:16
.LBB57_23:
	s_endpgm
	.section	.rodata,"a",@progbits
	.p2align	6, 0x0
	.amdhsa_kernel _ZN9rocsparseL19gebsrmvn_3xn_kernelILj128ELj6ELj4EdEEvi20rocsparse_direction_NS_24const_host_device_scalarIT2_EEPKiS6_PKS3_S8_S4_PS3_21rocsparse_index_base_b
		.amdhsa_group_segment_fixed_size 0
		.amdhsa_private_segment_fixed_size 0
		.amdhsa_kernarg_size 72
		.amdhsa_user_sgpr_count 2
		.amdhsa_user_sgpr_dispatch_ptr 0
		.amdhsa_user_sgpr_queue_ptr 0
		.amdhsa_user_sgpr_kernarg_segment_ptr 1
		.amdhsa_user_sgpr_dispatch_id 0
		.amdhsa_user_sgpr_kernarg_preload_length 0
		.amdhsa_user_sgpr_kernarg_preload_offset 0
		.amdhsa_user_sgpr_private_segment_size 0
		.amdhsa_uses_dynamic_stack 0
		.amdhsa_enable_private_segment 0
		.amdhsa_system_sgpr_workgroup_id_x 1
		.amdhsa_system_sgpr_workgroup_id_y 0
		.amdhsa_system_sgpr_workgroup_id_z 0
		.amdhsa_system_sgpr_workgroup_info 0
		.amdhsa_system_vgpr_workitem_id 0
		.amdhsa_next_free_vgpr 64
		.amdhsa_next_free_sgpr 18
		.amdhsa_accum_offset 64
		.amdhsa_reserve_vcc 1
		.amdhsa_float_round_mode_32 0
		.amdhsa_float_round_mode_16_64 0
		.amdhsa_float_denorm_mode_32 3
		.amdhsa_float_denorm_mode_16_64 3
		.amdhsa_dx10_clamp 1
		.amdhsa_ieee_mode 1
		.amdhsa_fp16_overflow 0
		.amdhsa_tg_split 0
		.amdhsa_exception_fp_ieee_invalid_op 0
		.amdhsa_exception_fp_denorm_src 0
		.amdhsa_exception_fp_ieee_div_zero 0
		.amdhsa_exception_fp_ieee_overflow 0
		.amdhsa_exception_fp_ieee_underflow 0
		.amdhsa_exception_fp_ieee_inexact 0
		.amdhsa_exception_int_div_zero 0
	.end_amdhsa_kernel
	.section	.text._ZN9rocsparseL19gebsrmvn_3xn_kernelILj128ELj6ELj4EdEEvi20rocsparse_direction_NS_24const_host_device_scalarIT2_EEPKiS6_PKS3_S8_S4_PS3_21rocsparse_index_base_b,"axG",@progbits,_ZN9rocsparseL19gebsrmvn_3xn_kernelILj128ELj6ELj4EdEEvi20rocsparse_direction_NS_24const_host_device_scalarIT2_EEPKiS6_PKS3_S8_S4_PS3_21rocsparse_index_base_b,comdat
.Lfunc_end57:
	.size	_ZN9rocsparseL19gebsrmvn_3xn_kernelILj128ELj6ELj4EdEEvi20rocsparse_direction_NS_24const_host_device_scalarIT2_EEPKiS6_PKS3_S8_S4_PS3_21rocsparse_index_base_b, .Lfunc_end57-_ZN9rocsparseL19gebsrmvn_3xn_kernelILj128ELj6ELj4EdEEvi20rocsparse_direction_NS_24const_host_device_scalarIT2_EEPKiS6_PKS3_S8_S4_PS3_21rocsparse_index_base_b
                                        ; -- End function
	.section	.AMDGPU.csdata,"",@progbits
; Kernel info:
; codeLenInByte = 1892
; NumSgprs: 24
; NumVgprs: 64
; NumAgprs: 0
; TotalNumVgprs: 64
; ScratchSize: 0
; MemoryBound: 0
; FloatMode: 240
; IeeeMode: 1
; LDSByteSize: 0 bytes/workgroup (compile time only)
; SGPRBlocks: 2
; VGPRBlocks: 7
; NumSGPRsForWavesPerEU: 24
; NumVGPRsForWavesPerEU: 64
; AccumOffset: 64
; Occupancy: 8
; WaveLimiterHint : 1
; COMPUTE_PGM_RSRC2:SCRATCH_EN: 0
; COMPUTE_PGM_RSRC2:USER_SGPR: 2
; COMPUTE_PGM_RSRC2:TRAP_HANDLER: 0
; COMPUTE_PGM_RSRC2:TGID_X_EN: 1
; COMPUTE_PGM_RSRC2:TGID_Y_EN: 0
; COMPUTE_PGM_RSRC2:TGID_Z_EN: 0
; COMPUTE_PGM_RSRC2:TIDIG_COMP_CNT: 0
; COMPUTE_PGM_RSRC3_GFX90A:ACCUM_OFFSET: 15
; COMPUTE_PGM_RSRC3_GFX90A:TG_SPLIT: 0
	.section	.text._ZN9rocsparseL19gebsrmvn_3xn_kernelILj128ELj6ELj8EdEEvi20rocsparse_direction_NS_24const_host_device_scalarIT2_EEPKiS6_PKS3_S8_S4_PS3_21rocsparse_index_base_b,"axG",@progbits,_ZN9rocsparseL19gebsrmvn_3xn_kernelILj128ELj6ELj8EdEEvi20rocsparse_direction_NS_24const_host_device_scalarIT2_EEPKiS6_PKS3_S8_S4_PS3_21rocsparse_index_base_b,comdat
	.globl	_ZN9rocsparseL19gebsrmvn_3xn_kernelILj128ELj6ELj8EdEEvi20rocsparse_direction_NS_24const_host_device_scalarIT2_EEPKiS6_PKS3_S8_S4_PS3_21rocsparse_index_base_b ; -- Begin function _ZN9rocsparseL19gebsrmvn_3xn_kernelILj128ELj6ELj8EdEEvi20rocsparse_direction_NS_24const_host_device_scalarIT2_EEPKiS6_PKS3_S8_S4_PS3_21rocsparse_index_base_b
	.p2align	8
	.type	_ZN9rocsparseL19gebsrmvn_3xn_kernelILj128ELj6ELj8EdEEvi20rocsparse_direction_NS_24const_host_device_scalarIT2_EEPKiS6_PKS3_S8_S4_PS3_21rocsparse_index_base_b,@function
_ZN9rocsparseL19gebsrmvn_3xn_kernelILj128ELj6ELj8EdEEvi20rocsparse_direction_NS_24const_host_device_scalarIT2_EEPKiS6_PKS3_S8_S4_PS3_21rocsparse_index_base_b: ; @_ZN9rocsparseL19gebsrmvn_3xn_kernelILj128ELj6ELj8EdEEvi20rocsparse_direction_NS_24const_host_device_scalarIT2_EEPKiS6_PKS3_S8_S4_PS3_21rocsparse_index_base_b
; %bb.0:
	s_load_dwordx2 s[12:13], s[0:1], 0x40
	s_load_dwordx2 s[8:9], s[0:1], 0x8
	s_load_dwordx2 s[4:5], s[0:1], 0x30
	s_waitcnt lgkmcnt(0)
	s_bitcmp1_b32 s13, 0
	s_cselect_b64 s[10:11], -1, 0
	s_xor_b64 s[6:7], s[10:11], -1
	s_and_b64 vcc, exec, s[10:11]
	v_mov_b64_e32 v[2:3], s[8:9]
	s_cbranch_vccnz .LBB58_2
; %bb.1:
	v_mov_b64_e32 v[2:3], s[8:9]
	flat_load_dwordx2 v[2:3], v[2:3]
.LBB58_2:
	s_andn2_b64 vcc, exec, s[6:7]
	v_mov_b64_e32 v[4:5], s[4:5]
	s_cbranch_vccnz .LBB58_4
; %bb.3:
	v_mov_b64_e32 v[4:5], s[4:5]
	flat_load_dwordx2 v[4:5], v[4:5]
.LBB58_4:
	s_waitcnt vmcnt(0) lgkmcnt(0)
	v_cmp_neq_f64_e32 vcc, 0, v[2:3]
	v_cmp_neq_f64_e64 s[4:5], 1.0, v[4:5]
	s_or_b64 s[4:5], vcc, s[4:5]
	s_and_saveexec_b64 s[6:7], s[4:5]
	s_cbranch_execz .LBB58_23
; %bb.5:
	s_load_dwordx2 s[14:15], s[0:1], 0x0
	v_lshrrev_b32_e32 v1, 3, v0
	v_lshl_or_b32 v6, s2, 4, v1
	s_waitcnt lgkmcnt(0)
	v_cmp_gt_i32_e32 vcc, s14, v6
	s_and_b64 exec, exec, vcc
	s_cbranch_execz .LBB58_23
; %bb.6:
	s_load_dwordx8 s[4:11], s[0:1], 0x10
	v_ashrrev_i32_e32 v7, 31, v6
	s_cmp_lg_u32 s15, 0
	s_waitcnt lgkmcnt(0)
	v_lshl_add_u64 v[8:9], v[6:7], 2, s[4:5]
	global_load_dwordx2 v[8:9], v[8:9], off
	v_and_b32_e32 v7, 7, v0
	s_waitcnt vmcnt(0)
	v_subrev_u32_e32 v0, s12, v8
	v_subrev_u32_e32 v20, s12, v9
	v_add_u32_e32 v10, v0, v7
	v_cmp_lt_i32_e64 s[2:3], v10, v20
	s_cbranch_scc0 .LBB58_12
; %bb.7:
	v_mov_b64_e32 v[8:9], 0
	s_mov_b64 s[4:5], 0
	v_mov_b64_e32 v[0:1], v[8:9]
	v_mov_b64_e32 v[12:13], v[8:9]
	s_and_saveexec_b64 s[14:15], s[2:3]
	s_cbranch_execz .LBB58_11
; %bb.8:
	v_mad_u64_u32 v[14:15], s[16:17], v10, 18, 17
	v_mov_b64_e32 v[8:9], 0
	s_mov_b64 s[16:17], 0
	v_mov_b32_e32 v17, 0
	v_mov_b32_e32 v18, v10
	v_mov_b64_e32 v[0:1], v[8:9]
	v_mov_b64_e32 v[12:13], v[8:9]
.LBB58_9:                               ; =>This Inner Loop Header: Depth=1
	v_ashrrev_i32_e32 v19, 31, v18
	v_subrev_u32_e32 v16, 17, v14
	v_lshl_add_u64 v[26:27], v[18:19], 2, s[6:7]
	v_lshl_add_u64 v[28:29], v[16:17], 3, s[8:9]
	global_load_dword v11, v[26:27], off
	global_load_dwordx4 v[22:25], v[28:29], off
	v_add_u32_e32 v16, -15, v14
	v_mov_b32_e32 v15, v17
	v_lshl_add_u64 v[26:27], v[16:17], 3, s[8:9]
	v_add_u32_e32 v16, -14, v14
	v_lshl_add_u64 v[30:31], v[14:15], 3, s[8:9]
	v_lshl_add_u64 v[28:29], v[16:17], 3, s[8:9]
	v_add_u32_e32 v16, -13, v14
	global_load_dwordx2 v[38:39], v[30:31], off
	global_load_dwordx2 v[42:43], v[28:29], off
	;; [unrolled: 1-line block ×3, first 2 shown]
	v_lshl_add_u64 v[26:27], v[16:17], 3, s[8:9]
	v_add_u32_e32 v16, -12, v14
	v_lshl_add_u64 v[28:29], v[16:17], 3, s[8:9]
	v_add_u32_e32 v16, -11, v14
	v_mov_b32_e32 v35, v17
	global_load_dwordx2 v[44:45], v[26:27], off
	global_load_dwordx2 v[46:47], v[28:29], off
	v_lshl_add_u64 v[26:27], v[16:17], 3, s[8:9]
	global_load_dwordx2 v[48:49], v[26:27], off
	v_add_u32_e32 v18, 8, v18
	v_cmp_ge_i32_e32 vcc, v18, v20
	s_or_b64 s[16:17], vcc, s[16:17]
	s_waitcnt vmcnt(7)
	v_subrev_u32_e32 v11, s12, v11
	v_mul_lo_u32 v34, v11, 6
	v_lshl_add_u64 v[26:27], v[34:35], 3, s[10:11]
	global_load_dwordx4 v[26:29], v[26:27], off
	v_add_u32_e32 v16, 2, v34
	v_lshl_add_u64 v[30:31], v[16:17], 3, s[10:11]
	global_load_dwordx4 v[30:33], v[30:31], off
	v_add_u32_e32 v16, -10, v14
	v_lshl_add_u64 v[36:37], v[16:17], 3, s[8:9]
	v_add_u32_e32 v16, -9, v14
	v_lshl_add_u64 v[50:51], v[16:17], 3, s[8:9]
	v_add_u32_e32 v16, -8, v14
	global_load_dwordx2 v[52:53], v[36:37], off
	s_waitcnt vmcnt(2)
	v_fmac_f64_e32 v[8:9], v[22:23], v[26:27]
	global_load_dwordx2 v[50:51], v[50:51], off
	v_lshl_add_u64 v[36:37], v[16:17], 3, s[8:9]
	v_add_u32_e32 v16, -7, v14
	v_lshl_add_u64 v[54:55], v[16:17], 3, s[8:9]
	v_add_u32_e32 v16, -6, v14
	global_load_dwordx2 v[56:57], v[36:37], off
	global_load_dwordx2 v[58:59], v[54:55], off
	v_lshl_add_u64 v[36:37], v[16:17], 3, s[8:9]
	v_add_u32_e32 v16, -5, v14
	v_lshl_add_u64 v[54:55], v[16:17], 3, s[8:9]
	v_add_u32_e32 v16, 4, v34
	v_lshl_add_u64 v[34:35], v[16:17], 3, s[10:11]
	v_add_u32_e32 v16, -4, v14
	v_lshl_add_u64 v[22:23], v[16:17], 3, s[8:9]
	v_add_u32_e32 v16, -3, v14
	v_fmac_f64_e32 v[12:13], v[24:25], v[26:27]
	v_lshl_add_u64 v[24:25], v[16:17], 3, s[8:9]
	v_add_u32_e32 v16, -2, v14
	v_fmac_f64_e32 v[0:1], v[40:41], v[26:27]
	v_lshl_add_u64 v[26:27], v[16:17], 3, s[8:9]
	v_add_u32_e32 v16, -1, v14
	global_load_dwordx2 v[60:61], v[36:37], off
	global_load_dwordx2 v[62:63], v[54:55], off
	v_fmac_f64_e32 v[8:9], v[42:43], v[28:29]
	global_load_dwordx4 v[34:37], v[34:35], off
	v_fmac_f64_e32 v[12:13], v[44:45], v[28:29]
	global_load_dwordx2 v[22:23], v[22:23], off
	s_nop 0
	global_load_dwordx2 v[40:41], v[24:25], off
	global_load_dwordx2 v[54:55], v[26:27], off
	v_lshl_add_u64 v[24:25], v[16:17], 3, s[8:9]
	global_load_dwordx2 v[24:25], v[24:25], off
	v_fmac_f64_e32 v[0:1], v[46:47], v[28:29]
	s_waitcnt vmcnt(11)
	v_fmac_f64_e32 v[8:9], v[48:49], v[30:31]
	s_waitcnt vmcnt(10)
	v_fmac_f64_e32 v[12:13], v[52:53], v[30:31]
	v_add_u32_e32 v14, 0x90, v14
	s_waitcnt vmcnt(9)
	v_fmac_f64_e32 v[0:1], v[50:51], v[30:31]
	s_waitcnt vmcnt(8)
	v_fmac_f64_e32 v[8:9], v[56:57], v[32:33]
	;; [unrolled: 2-line block ×8, first 2 shown]
	v_fmac_f64_e32 v[0:1], v[38:39], v[36:37]
	s_waitcnt vmcnt(0)
	v_fmac_f64_e32 v[12:13], v[24:25], v[36:37]
	s_andn2_b64 exec, exec, s[16:17]
	s_cbranch_execnz .LBB58_9
; %bb.10:
	s_or_b64 exec, exec, s[16:17]
.LBB58_11:
	s_or_b64 exec, exec, s[14:15]
	s_andn2_b64 vcc, exec, s[4:5]
	s_cbranch_vccz .LBB58_13
	s_branch .LBB58_18
.LBB58_12:
                                        ; implicit-def: $vgpr8_vgpr9
                                        ; implicit-def: $vgpr0_vgpr1
                                        ; implicit-def: $vgpr12_vgpr13
.LBB58_13:
	v_mov_b64_e32 v[8:9], 0
	v_mov_b64_e32 v[0:1], v[8:9]
	;; [unrolled: 1-line block ×3, first 2 shown]
	s_and_saveexec_b64 s[4:5], s[2:3]
	s_cbranch_execz .LBB58_17
; %bb.14:
	v_mad_u64_u32 v[14:15], s[2:3], v10, 18, 17
	v_mov_b64_e32 v[8:9], 0
	s_mov_b64 s[2:3], 0
	v_mov_b32_e32 v17, 0
	v_mov_b64_e32 v[0:1], v[8:9]
	v_mov_b64_e32 v[12:13], v[8:9]
.LBB58_15:                              ; =>This Inner Loop Header: Depth=1
	v_ashrrev_i32_e32 v11, 31, v10
	v_subrev_u32_e32 v16, 17, v14
	v_add_u32_e32 v22, -5, v14
	v_mov_b32_e32 v23, v17
	v_lshl_add_u64 v[26:27], v[10:11], 2, s[6:7]
	v_lshl_add_u64 v[28:29], v[16:17], 3, s[8:9]
	v_lshl_add_u64 v[30:31], v[22:23], 3, s[8:9]
	global_load_dword v11, v[26:27], off
	global_load_dwordx4 v[22:25], v[28:29], off
	v_add_u32_e32 v18, -11, v14
	v_mov_b32_e32 v19, v17
	v_mov_b32_e32 v15, v17
	v_add_u32_e32 v16, -10, v14
	v_mov_b32_e32 v35, v17
	v_lshl_add_u64 v[18:19], v[18:19], 3, s[8:9]
	v_lshl_add_u64 v[32:33], v[14:15], 3, s[8:9]
	;; [unrolled: 1-line block ×3, first 2 shown]
	v_add_u32_e32 v16, -4, v14
	global_load_dwordx2 v[38:39], v[32:33], off
	global_load_dwordx2 v[40:41], v[18:19], off
	;; [unrolled: 1-line block ×3, first 2 shown]
	v_lshl_add_u64 v[18:19], v[16:17], 3, s[8:9]
	global_load_dwordx2 v[44:45], v[26:27], off
	global_load_dwordx2 v[46:47], v[18:19], off
	v_add_u32_e32 v16, -15, v14
	v_lshl_add_u64 v[18:19], v[16:17], 3, s[8:9]
	global_load_dwordx2 v[18:19], v[18:19], off
	v_add_u32_e32 v10, 8, v10
	v_cmp_ge_i32_e32 vcc, v10, v20
	s_or_b64 s[2:3], vcc, s[2:3]
	s_waitcnt vmcnt(7)
	v_subrev_u32_e32 v11, s12, v11
	v_mul_lo_u32 v34, v11, 6
	v_lshl_add_u64 v[26:27], v[34:35], 3, s[10:11]
	global_load_dwordx4 v[26:29], v[26:27], off
	v_add_u32_e32 v16, 2, v34
	v_lshl_add_u64 v[30:31], v[16:17], 3, s[10:11]
	global_load_dwordx4 v[30:33], v[30:31], off
	v_add_u32_e32 v16, -9, v14
	v_lshl_add_u64 v[36:37], v[16:17], 3, s[8:9]
	v_add_u32_e32 v16, -3, v14
	v_lshl_add_u64 v[48:49], v[16:17], 3, s[8:9]
	v_add_u32_e32 v16, -14, v14
	global_load_dwordx2 v[50:51], v[36:37], off
	s_waitcnt vmcnt(2)
	v_fmac_f64_e32 v[8:9], v[22:23], v[26:27]
	global_load_dwordx2 v[48:49], v[48:49], off
	v_lshl_add_u64 v[36:37], v[16:17], 3, s[8:9]
	v_add_u32_e32 v16, -8, v14
	v_lshl_add_u64 v[52:53], v[16:17], 3, s[8:9]
	v_add_u32_e32 v16, -2, v14
	global_load_dwordx2 v[54:55], v[36:37], off
	global_load_dwordx2 v[56:57], v[52:53], off
	v_lshl_add_u64 v[36:37], v[16:17], 3, s[8:9]
	v_add_u32_e32 v16, -13, v14
	v_lshl_add_u64 v[52:53], v[16:17], 3, s[8:9]
	v_add_u32_e32 v16, 4, v34
	v_lshl_add_u64 v[34:35], v[16:17], 3, s[10:11]
	v_add_u32_e32 v16, -7, v14
	v_lshl_add_u64 v[22:23], v[16:17], 3, s[8:9]
	v_add_u32_e32 v16, -1, v14
	v_fmac_f64_e32 v[8:9], v[24:25], v[28:29]
	v_lshl_add_u64 v[24:25], v[16:17], 3, s[8:9]
	v_add_u32_e32 v16, -12, v14
	v_fmac_f64_e32 v[12:13], v[40:41], v[26:27]
	v_lshl_add_u64 v[40:41], v[16:17], 3, s[8:9]
	v_add_u32_e32 v16, -6, v14
	global_load_dwordx2 v[58:59], v[36:37], off
	global_load_dwordx2 v[60:61], v[52:53], off
	v_fmac_f64_e32 v[0:1], v[42:43], v[26:27]
	global_load_dwordx4 v[34:37], v[34:35], off
	v_fmac_f64_e32 v[12:13], v[44:45], v[28:29]
	global_load_dwordx2 v[22:23], v[22:23], off
	s_nop 0
	global_load_dwordx2 v[52:53], v[24:25], off
	global_load_dwordx2 v[62:63], v[40:41], off
	v_lshl_add_u64 v[24:25], v[16:17], 3, s[8:9]
	global_load_dwordx2 v[24:25], v[24:25], off
	v_fmac_f64_e32 v[0:1], v[46:47], v[28:29]
	s_waitcnt vmcnt(11)
	v_fmac_f64_e32 v[8:9], v[18:19], v[30:31]
	s_waitcnt vmcnt(10)
	v_fmac_f64_e32 v[12:13], v[50:51], v[30:31]
	v_add_u32_e32 v14, 0x90, v14
	s_waitcnt vmcnt(9)
	v_fmac_f64_e32 v[0:1], v[48:49], v[30:31]
	s_waitcnt vmcnt(8)
	v_fmac_f64_e32 v[8:9], v[54:55], v[32:33]
	;; [unrolled: 2-line block ×8, first 2 shown]
	v_fmac_f64_e32 v[0:1], v[38:39], v[36:37]
	s_waitcnt vmcnt(0)
	v_fmac_f64_e32 v[12:13], v[24:25], v[36:37]
	s_andn2_b64 exec, exec, s[2:3]
	s_cbranch_execnz .LBB58_15
; %bb.16:
	s_or_b64 exec, exec, s[2:3]
.LBB58_17:
	s_or_b64 exec, exec, s[4:5]
.LBB58_18:
	v_mov_b32_dpp v10, v8 row_shr:1 row_mask:0xf bank_mask:0xf
	v_mov_b32_dpp v11, v9 row_shr:1 row_mask:0xf bank_mask:0xf
	;; [unrolled: 1-line block ×6, first 2 shown]
	v_add_f64 v[8:9], v[8:9], v[10:11]
	v_add_f64 v[12:13], v[12:13], v[14:15]
	v_add_f64 v[0:1], v[0:1], v[16:17]
	v_mov_b32_dpp v10, v8 row_shr:2 row_mask:0xf bank_mask:0xf
	v_mov_b32_dpp v11, v9 row_shr:2 row_mask:0xf bank_mask:0xf
	;; [unrolled: 1-line block ×6, first 2 shown]
	v_add_f64 v[8:9], v[8:9], v[10:11]
	v_add_f64 v[12:13], v[12:13], v[14:15]
	;; [unrolled: 1-line block ×3, first 2 shown]
	v_mov_b32_dpp v10, v8 row_shr:4 row_mask:0xf bank_mask:0xe
	v_mov_b32_dpp v11, v9 row_shr:4 row_mask:0xf bank_mask:0xe
	;; [unrolled: 1-line block ×6, first 2 shown]
	v_cmp_eq_u32_e32 vcc, 7, v7
	s_and_b64 exec, exec, vcc
	s_cbranch_execz .LBB58_23
; %bb.19:
	s_load_dwordx2 s[0:1], s[0:1], 0x38
	v_add_f64 v[10:11], v[8:9], v[10:11]
	v_add_f64 v[8:9], v[12:13], v[14:15]
	;; [unrolled: 1-line block ×3, first 2 shown]
	v_cmp_eq_f64_e32 vcc, 0, v[4:5]
	s_and_saveexec_b64 s[2:3], vcc
	s_xor_b64 s[2:3], exec, s[2:3]
	s_cbranch_execz .LBB58_21
; %bb.20:
	v_lshl_add_u32 v6, v6, 1, v6
	v_ashrrev_i32_e32 v7, 31, v6
	v_mul_f64 v[4:5], v[2:3], v[10:11]
	s_waitcnt lgkmcnt(0)
	v_lshl_add_u64 v[10:11], v[6:7], 3, s[0:1]
	v_mul_f64 v[6:7], v[2:3], v[8:9]
	v_mul_f64 v[0:1], v[2:3], v[0:1]
	global_store_dwordx4 v[10:11], v[4:7], off
	global_store_dwordx2 v[10:11], v[0:1], off offset:16
                                        ; implicit-def: $vgpr6
                                        ; implicit-def: $vgpr2_vgpr3
                                        ; implicit-def: $vgpr10_vgpr11
                                        ; implicit-def: $vgpr4_vgpr5
                                        ; implicit-def: $vgpr8_vgpr9
                                        ; implicit-def: $vgpr0_vgpr1
.LBB58_21:
	s_andn2_saveexec_b64 s[2:3], s[2:3]
	s_cbranch_execz .LBB58_23
; %bb.22:
	v_lshl_add_u32 v6, v6, 1, v6
	v_ashrrev_i32_e32 v7, 31, v6
	s_waitcnt lgkmcnt(0)
	v_lshl_add_u64 v[16:17], v[6:7], 3, s[0:1]
	global_load_dwordx4 v[12:15], v[16:17], off
	global_load_dwordx2 v[18:19], v[16:17], off offset:16
	v_mul_f64 v[6:7], v[2:3], v[10:11]
	v_mul_f64 v[8:9], v[2:3], v[8:9]
	;; [unrolled: 1-line block ×3, first 2 shown]
	s_waitcnt vmcnt(1)
	v_fmac_f64_e32 v[6:7], v[4:5], v[12:13]
	v_fmac_f64_e32 v[8:9], v[4:5], v[14:15]
	s_waitcnt vmcnt(0)
	v_fmac_f64_e32 v[0:1], v[4:5], v[18:19]
	global_store_dwordx4 v[16:17], v[6:9], off
	global_store_dwordx2 v[16:17], v[0:1], off offset:16
.LBB58_23:
	s_endpgm
	.section	.rodata,"a",@progbits
	.p2align	6, 0x0
	.amdhsa_kernel _ZN9rocsparseL19gebsrmvn_3xn_kernelILj128ELj6ELj8EdEEvi20rocsparse_direction_NS_24const_host_device_scalarIT2_EEPKiS6_PKS3_S8_S4_PS3_21rocsparse_index_base_b
		.amdhsa_group_segment_fixed_size 0
		.amdhsa_private_segment_fixed_size 0
		.amdhsa_kernarg_size 72
		.amdhsa_user_sgpr_count 2
		.amdhsa_user_sgpr_dispatch_ptr 0
		.amdhsa_user_sgpr_queue_ptr 0
		.amdhsa_user_sgpr_kernarg_segment_ptr 1
		.amdhsa_user_sgpr_dispatch_id 0
		.amdhsa_user_sgpr_kernarg_preload_length 0
		.amdhsa_user_sgpr_kernarg_preload_offset 0
		.amdhsa_user_sgpr_private_segment_size 0
		.amdhsa_uses_dynamic_stack 0
		.amdhsa_enable_private_segment 0
		.amdhsa_system_sgpr_workgroup_id_x 1
		.amdhsa_system_sgpr_workgroup_id_y 0
		.amdhsa_system_sgpr_workgroup_id_z 0
		.amdhsa_system_sgpr_workgroup_info 0
		.amdhsa_system_vgpr_workitem_id 0
		.amdhsa_next_free_vgpr 64
		.amdhsa_next_free_sgpr 18
		.amdhsa_accum_offset 64
		.amdhsa_reserve_vcc 1
		.amdhsa_float_round_mode_32 0
		.amdhsa_float_round_mode_16_64 0
		.amdhsa_float_denorm_mode_32 3
		.amdhsa_float_denorm_mode_16_64 3
		.amdhsa_dx10_clamp 1
		.amdhsa_ieee_mode 1
		.amdhsa_fp16_overflow 0
		.amdhsa_tg_split 0
		.amdhsa_exception_fp_ieee_invalid_op 0
		.amdhsa_exception_fp_denorm_src 0
		.amdhsa_exception_fp_ieee_div_zero 0
		.amdhsa_exception_fp_ieee_overflow 0
		.amdhsa_exception_fp_ieee_underflow 0
		.amdhsa_exception_fp_ieee_inexact 0
		.amdhsa_exception_int_div_zero 0
	.end_amdhsa_kernel
	.section	.text._ZN9rocsparseL19gebsrmvn_3xn_kernelILj128ELj6ELj8EdEEvi20rocsparse_direction_NS_24const_host_device_scalarIT2_EEPKiS6_PKS3_S8_S4_PS3_21rocsparse_index_base_b,"axG",@progbits,_ZN9rocsparseL19gebsrmvn_3xn_kernelILj128ELj6ELj8EdEEvi20rocsparse_direction_NS_24const_host_device_scalarIT2_EEPKiS6_PKS3_S8_S4_PS3_21rocsparse_index_base_b,comdat
.Lfunc_end58:
	.size	_ZN9rocsparseL19gebsrmvn_3xn_kernelILj128ELj6ELj8EdEEvi20rocsparse_direction_NS_24const_host_device_scalarIT2_EEPKiS6_PKS3_S8_S4_PS3_21rocsparse_index_base_b, .Lfunc_end58-_ZN9rocsparseL19gebsrmvn_3xn_kernelILj128ELj6ELj8EdEEvi20rocsparse_direction_NS_24const_host_device_scalarIT2_EEPKiS6_PKS3_S8_S4_PS3_21rocsparse_index_base_b
                                        ; -- End function
	.section	.AMDGPU.csdata,"",@progbits
; Kernel info:
; codeLenInByte = 1964
; NumSgprs: 24
; NumVgprs: 64
; NumAgprs: 0
; TotalNumVgprs: 64
; ScratchSize: 0
; MemoryBound: 0
; FloatMode: 240
; IeeeMode: 1
; LDSByteSize: 0 bytes/workgroup (compile time only)
; SGPRBlocks: 2
; VGPRBlocks: 7
; NumSGPRsForWavesPerEU: 24
; NumVGPRsForWavesPerEU: 64
; AccumOffset: 64
; Occupancy: 8
; WaveLimiterHint : 1
; COMPUTE_PGM_RSRC2:SCRATCH_EN: 0
; COMPUTE_PGM_RSRC2:USER_SGPR: 2
; COMPUTE_PGM_RSRC2:TRAP_HANDLER: 0
; COMPUTE_PGM_RSRC2:TGID_X_EN: 1
; COMPUTE_PGM_RSRC2:TGID_Y_EN: 0
; COMPUTE_PGM_RSRC2:TGID_Z_EN: 0
; COMPUTE_PGM_RSRC2:TIDIG_COMP_CNT: 0
; COMPUTE_PGM_RSRC3_GFX90A:ACCUM_OFFSET: 15
; COMPUTE_PGM_RSRC3_GFX90A:TG_SPLIT: 0
	.section	.text._ZN9rocsparseL19gebsrmvn_3xn_kernelILj128ELj6ELj16EdEEvi20rocsparse_direction_NS_24const_host_device_scalarIT2_EEPKiS6_PKS3_S8_S4_PS3_21rocsparse_index_base_b,"axG",@progbits,_ZN9rocsparseL19gebsrmvn_3xn_kernelILj128ELj6ELj16EdEEvi20rocsparse_direction_NS_24const_host_device_scalarIT2_EEPKiS6_PKS3_S8_S4_PS3_21rocsparse_index_base_b,comdat
	.globl	_ZN9rocsparseL19gebsrmvn_3xn_kernelILj128ELj6ELj16EdEEvi20rocsparse_direction_NS_24const_host_device_scalarIT2_EEPKiS6_PKS3_S8_S4_PS3_21rocsparse_index_base_b ; -- Begin function _ZN9rocsparseL19gebsrmvn_3xn_kernelILj128ELj6ELj16EdEEvi20rocsparse_direction_NS_24const_host_device_scalarIT2_EEPKiS6_PKS3_S8_S4_PS3_21rocsparse_index_base_b
	.p2align	8
	.type	_ZN9rocsparseL19gebsrmvn_3xn_kernelILj128ELj6ELj16EdEEvi20rocsparse_direction_NS_24const_host_device_scalarIT2_EEPKiS6_PKS3_S8_S4_PS3_21rocsparse_index_base_b,@function
_ZN9rocsparseL19gebsrmvn_3xn_kernelILj128ELj6ELj16EdEEvi20rocsparse_direction_NS_24const_host_device_scalarIT2_EEPKiS6_PKS3_S8_S4_PS3_21rocsparse_index_base_b: ; @_ZN9rocsparseL19gebsrmvn_3xn_kernelILj128ELj6ELj16EdEEvi20rocsparse_direction_NS_24const_host_device_scalarIT2_EEPKiS6_PKS3_S8_S4_PS3_21rocsparse_index_base_b
; %bb.0:
	s_load_dwordx2 s[12:13], s[0:1], 0x40
	s_load_dwordx2 s[8:9], s[0:1], 0x8
	;; [unrolled: 1-line block ×3, first 2 shown]
	s_waitcnt lgkmcnt(0)
	s_bitcmp1_b32 s13, 0
	s_cselect_b64 s[10:11], -1, 0
	s_xor_b64 s[6:7], s[10:11], -1
	s_and_b64 vcc, exec, s[10:11]
	v_mov_b64_e32 v[2:3], s[8:9]
	s_cbranch_vccnz .LBB59_2
; %bb.1:
	v_mov_b64_e32 v[2:3], s[8:9]
	flat_load_dwordx2 v[2:3], v[2:3]
.LBB59_2:
	s_andn2_b64 vcc, exec, s[6:7]
	v_mov_b64_e32 v[4:5], s[4:5]
	s_cbranch_vccnz .LBB59_4
; %bb.3:
	v_mov_b64_e32 v[4:5], s[4:5]
	flat_load_dwordx2 v[4:5], v[4:5]
.LBB59_4:
	s_waitcnt vmcnt(0) lgkmcnt(0)
	v_cmp_neq_f64_e32 vcc, 0, v[2:3]
	v_cmp_neq_f64_e64 s[4:5], 1.0, v[4:5]
	s_or_b64 s[4:5], vcc, s[4:5]
	s_and_saveexec_b64 s[6:7], s[4:5]
	s_cbranch_execz .LBB59_23
; %bb.5:
	s_load_dwordx2 s[14:15], s[0:1], 0x0
	v_lshrrev_b32_e32 v1, 4, v0
	v_lshl_or_b32 v6, s2, 3, v1
	s_waitcnt lgkmcnt(0)
	v_cmp_gt_i32_e32 vcc, s14, v6
	s_and_b64 exec, exec, vcc
	s_cbranch_execz .LBB59_23
; %bb.6:
	s_load_dwordx8 s[4:11], s[0:1], 0x10
	v_ashrrev_i32_e32 v7, 31, v6
	s_cmp_lg_u32 s15, 0
	s_waitcnt lgkmcnt(0)
	v_lshl_add_u64 v[8:9], v[6:7], 2, s[4:5]
	global_load_dwordx2 v[8:9], v[8:9], off
	v_and_b32_e32 v7, 15, v0
	s_waitcnt vmcnt(0)
	v_subrev_u32_e32 v0, s12, v8
	v_subrev_u32_e32 v20, s12, v9
	v_add_u32_e32 v12, v0, v7
	v_cmp_lt_i32_e64 s[2:3], v12, v20
	s_cbranch_scc0 .LBB59_12
; %bb.7:
	v_mov_b64_e32 v[8:9], 0
	s_mov_b64 s[4:5], 0
	v_mov_b64_e32 v[0:1], v[8:9]
	v_mov_b64_e32 v[10:11], v[8:9]
	s_and_saveexec_b64 s[14:15], s[2:3]
	s_cbranch_execz .LBB59_11
; %bb.8:
	v_mad_u64_u32 v[14:15], s[16:17], v12, 18, 17
	v_mov_b64_e32 v[8:9], 0
	s_mov_b64 s[16:17], 0
	v_mov_b32_e32 v17, 0
	v_mov_b32_e32 v18, v12
	v_mov_b64_e32 v[0:1], v[8:9]
	v_mov_b64_e32 v[10:11], v[8:9]
.LBB59_9:                               ; =>This Inner Loop Header: Depth=1
	v_ashrrev_i32_e32 v19, 31, v18
	v_subrev_u32_e32 v16, 17, v14
	v_lshl_add_u64 v[26:27], v[18:19], 2, s[6:7]
	v_lshl_add_u64 v[28:29], v[16:17], 3, s[8:9]
	global_load_dword v13, v[26:27], off
	global_load_dwordx4 v[22:25], v[28:29], off
	v_add_u32_e32 v16, -15, v14
	v_mov_b32_e32 v15, v17
	v_lshl_add_u64 v[26:27], v[16:17], 3, s[8:9]
	v_add_u32_e32 v16, -14, v14
	v_lshl_add_u64 v[30:31], v[14:15], 3, s[8:9]
	v_lshl_add_u64 v[28:29], v[16:17], 3, s[8:9]
	v_add_u32_e32 v16, -13, v14
	global_load_dwordx2 v[38:39], v[30:31], off
	global_load_dwordx2 v[42:43], v[28:29], off
	;; [unrolled: 1-line block ×3, first 2 shown]
	v_lshl_add_u64 v[26:27], v[16:17], 3, s[8:9]
	v_add_u32_e32 v16, -12, v14
	v_lshl_add_u64 v[28:29], v[16:17], 3, s[8:9]
	v_add_u32_e32 v16, -11, v14
	v_mov_b32_e32 v35, v17
	global_load_dwordx2 v[44:45], v[26:27], off
	global_load_dwordx2 v[46:47], v[28:29], off
	v_lshl_add_u64 v[26:27], v[16:17], 3, s[8:9]
	global_load_dwordx2 v[48:49], v[26:27], off
	v_add_u32_e32 v18, 16, v18
	v_cmp_ge_i32_e32 vcc, v18, v20
	s_or_b64 s[16:17], vcc, s[16:17]
	s_waitcnt vmcnt(7)
	v_subrev_u32_e32 v13, s12, v13
	v_mul_lo_u32 v34, v13, 6
	v_lshl_add_u64 v[26:27], v[34:35], 3, s[10:11]
	global_load_dwordx4 v[26:29], v[26:27], off
	v_add_u32_e32 v16, 2, v34
	v_lshl_add_u64 v[30:31], v[16:17], 3, s[10:11]
	global_load_dwordx4 v[30:33], v[30:31], off
	v_add_u32_e32 v16, -10, v14
	v_lshl_add_u64 v[36:37], v[16:17], 3, s[8:9]
	v_add_u32_e32 v16, -9, v14
	v_lshl_add_u64 v[50:51], v[16:17], 3, s[8:9]
	v_add_u32_e32 v16, -8, v14
	global_load_dwordx2 v[52:53], v[36:37], off
	s_waitcnt vmcnt(2)
	v_fmac_f64_e32 v[8:9], v[22:23], v[26:27]
	global_load_dwordx2 v[50:51], v[50:51], off
	v_lshl_add_u64 v[36:37], v[16:17], 3, s[8:9]
	v_add_u32_e32 v16, -7, v14
	v_lshl_add_u64 v[54:55], v[16:17], 3, s[8:9]
	v_add_u32_e32 v16, -6, v14
	global_load_dwordx2 v[56:57], v[36:37], off
	global_load_dwordx2 v[58:59], v[54:55], off
	v_lshl_add_u64 v[36:37], v[16:17], 3, s[8:9]
	v_add_u32_e32 v16, -5, v14
	v_lshl_add_u64 v[54:55], v[16:17], 3, s[8:9]
	v_add_u32_e32 v16, 4, v34
	v_lshl_add_u64 v[34:35], v[16:17], 3, s[10:11]
	v_add_u32_e32 v16, -4, v14
	v_lshl_add_u64 v[22:23], v[16:17], 3, s[8:9]
	v_add_u32_e32 v16, -3, v14
	v_fmac_f64_e32 v[10:11], v[24:25], v[26:27]
	v_lshl_add_u64 v[24:25], v[16:17], 3, s[8:9]
	v_add_u32_e32 v16, -2, v14
	v_fmac_f64_e32 v[0:1], v[40:41], v[26:27]
	v_lshl_add_u64 v[26:27], v[16:17], 3, s[8:9]
	v_add_u32_e32 v16, -1, v14
	global_load_dwordx2 v[60:61], v[36:37], off
	global_load_dwordx2 v[62:63], v[54:55], off
	v_fmac_f64_e32 v[8:9], v[42:43], v[28:29]
	global_load_dwordx4 v[34:37], v[34:35], off
	v_fmac_f64_e32 v[10:11], v[44:45], v[28:29]
	global_load_dwordx2 v[22:23], v[22:23], off
	s_nop 0
	global_load_dwordx2 v[40:41], v[24:25], off
	global_load_dwordx2 v[54:55], v[26:27], off
	v_lshl_add_u64 v[24:25], v[16:17], 3, s[8:9]
	global_load_dwordx2 v[24:25], v[24:25], off
	v_fmac_f64_e32 v[0:1], v[46:47], v[28:29]
	s_waitcnt vmcnt(11)
	v_fmac_f64_e32 v[8:9], v[48:49], v[30:31]
	s_waitcnt vmcnt(10)
	v_fmac_f64_e32 v[10:11], v[52:53], v[30:31]
	v_add_u32_e32 v14, 0x120, v14
	s_waitcnt vmcnt(9)
	v_fmac_f64_e32 v[0:1], v[50:51], v[30:31]
	s_waitcnt vmcnt(8)
	v_fmac_f64_e32 v[8:9], v[56:57], v[32:33]
	;; [unrolled: 2-line block ×8, first 2 shown]
	v_fmac_f64_e32 v[0:1], v[38:39], v[36:37]
	s_waitcnt vmcnt(0)
	v_fmac_f64_e32 v[10:11], v[24:25], v[36:37]
	s_andn2_b64 exec, exec, s[16:17]
	s_cbranch_execnz .LBB59_9
; %bb.10:
	s_or_b64 exec, exec, s[16:17]
.LBB59_11:
	s_or_b64 exec, exec, s[14:15]
	s_andn2_b64 vcc, exec, s[4:5]
	s_cbranch_vccz .LBB59_13
	s_branch .LBB59_18
.LBB59_12:
                                        ; implicit-def: $vgpr8_vgpr9
                                        ; implicit-def: $vgpr0_vgpr1
                                        ; implicit-def: $vgpr10_vgpr11
.LBB59_13:
	v_mov_b64_e32 v[8:9], 0
	v_mov_b64_e32 v[0:1], v[8:9]
	;; [unrolled: 1-line block ×3, first 2 shown]
	s_and_saveexec_b64 s[4:5], s[2:3]
	s_cbranch_execz .LBB59_17
; %bb.14:
	v_mad_u64_u32 v[14:15], s[2:3], v12, 18, 17
	v_mov_b64_e32 v[8:9], 0
	s_mov_b64 s[2:3], 0
	v_mov_b32_e32 v17, 0
	v_mov_b64_e32 v[0:1], v[8:9]
	v_mov_b64_e32 v[10:11], v[8:9]
.LBB59_15:                              ; =>This Inner Loop Header: Depth=1
	v_ashrrev_i32_e32 v13, 31, v12
	v_subrev_u32_e32 v16, 17, v14
	v_add_u32_e32 v22, -5, v14
	v_mov_b32_e32 v23, v17
	v_lshl_add_u64 v[26:27], v[12:13], 2, s[6:7]
	v_lshl_add_u64 v[28:29], v[16:17], 3, s[8:9]
	;; [unrolled: 1-line block ×3, first 2 shown]
	global_load_dword v13, v[26:27], off
	global_load_dwordx4 v[22:25], v[28:29], off
	v_add_u32_e32 v18, -11, v14
	v_mov_b32_e32 v19, v17
	v_mov_b32_e32 v15, v17
	v_add_u32_e32 v16, -10, v14
	v_mov_b32_e32 v35, v17
	v_lshl_add_u64 v[18:19], v[18:19], 3, s[8:9]
	v_lshl_add_u64 v[32:33], v[14:15], 3, s[8:9]
	;; [unrolled: 1-line block ×3, first 2 shown]
	v_add_u32_e32 v16, -4, v14
	global_load_dwordx2 v[38:39], v[32:33], off
	global_load_dwordx2 v[40:41], v[18:19], off
	;; [unrolled: 1-line block ×3, first 2 shown]
	v_lshl_add_u64 v[18:19], v[16:17], 3, s[8:9]
	global_load_dwordx2 v[44:45], v[26:27], off
	global_load_dwordx2 v[46:47], v[18:19], off
	v_add_u32_e32 v16, -15, v14
	v_lshl_add_u64 v[18:19], v[16:17], 3, s[8:9]
	global_load_dwordx2 v[18:19], v[18:19], off
	v_add_u32_e32 v12, 16, v12
	v_cmp_ge_i32_e32 vcc, v12, v20
	s_or_b64 s[2:3], vcc, s[2:3]
	s_waitcnt vmcnt(7)
	v_subrev_u32_e32 v13, s12, v13
	v_mul_lo_u32 v34, v13, 6
	v_lshl_add_u64 v[26:27], v[34:35], 3, s[10:11]
	global_load_dwordx4 v[26:29], v[26:27], off
	v_add_u32_e32 v16, 2, v34
	v_lshl_add_u64 v[30:31], v[16:17], 3, s[10:11]
	global_load_dwordx4 v[30:33], v[30:31], off
	v_add_u32_e32 v16, -9, v14
	v_lshl_add_u64 v[36:37], v[16:17], 3, s[8:9]
	v_add_u32_e32 v16, -3, v14
	v_lshl_add_u64 v[48:49], v[16:17], 3, s[8:9]
	v_add_u32_e32 v16, -14, v14
	global_load_dwordx2 v[50:51], v[36:37], off
	s_waitcnt vmcnt(2)
	v_fmac_f64_e32 v[8:9], v[22:23], v[26:27]
	global_load_dwordx2 v[48:49], v[48:49], off
	v_lshl_add_u64 v[36:37], v[16:17], 3, s[8:9]
	v_add_u32_e32 v16, -8, v14
	v_lshl_add_u64 v[52:53], v[16:17], 3, s[8:9]
	v_add_u32_e32 v16, -2, v14
	global_load_dwordx2 v[54:55], v[36:37], off
	global_load_dwordx2 v[56:57], v[52:53], off
	v_lshl_add_u64 v[36:37], v[16:17], 3, s[8:9]
	v_add_u32_e32 v16, -13, v14
	v_lshl_add_u64 v[52:53], v[16:17], 3, s[8:9]
	v_add_u32_e32 v16, 4, v34
	v_lshl_add_u64 v[34:35], v[16:17], 3, s[10:11]
	v_add_u32_e32 v16, -7, v14
	v_lshl_add_u64 v[22:23], v[16:17], 3, s[8:9]
	v_add_u32_e32 v16, -1, v14
	v_fmac_f64_e32 v[8:9], v[24:25], v[28:29]
	v_lshl_add_u64 v[24:25], v[16:17], 3, s[8:9]
	v_add_u32_e32 v16, -12, v14
	v_fmac_f64_e32 v[10:11], v[40:41], v[26:27]
	v_lshl_add_u64 v[40:41], v[16:17], 3, s[8:9]
	v_add_u32_e32 v16, -6, v14
	global_load_dwordx2 v[58:59], v[36:37], off
	global_load_dwordx2 v[60:61], v[52:53], off
	v_fmac_f64_e32 v[0:1], v[42:43], v[26:27]
	global_load_dwordx4 v[34:37], v[34:35], off
	v_fmac_f64_e32 v[10:11], v[44:45], v[28:29]
	global_load_dwordx2 v[22:23], v[22:23], off
	s_nop 0
	global_load_dwordx2 v[52:53], v[24:25], off
	global_load_dwordx2 v[62:63], v[40:41], off
	v_lshl_add_u64 v[24:25], v[16:17], 3, s[8:9]
	global_load_dwordx2 v[24:25], v[24:25], off
	v_fmac_f64_e32 v[0:1], v[46:47], v[28:29]
	s_waitcnt vmcnt(11)
	v_fmac_f64_e32 v[8:9], v[18:19], v[30:31]
	s_waitcnt vmcnt(10)
	v_fmac_f64_e32 v[10:11], v[50:51], v[30:31]
	v_add_u32_e32 v14, 0x120, v14
	s_waitcnt vmcnt(9)
	v_fmac_f64_e32 v[0:1], v[48:49], v[30:31]
	s_waitcnt vmcnt(8)
	v_fmac_f64_e32 v[8:9], v[54:55], v[32:33]
	;; [unrolled: 2-line block ×8, first 2 shown]
	v_fmac_f64_e32 v[0:1], v[38:39], v[36:37]
	s_waitcnt vmcnt(0)
	v_fmac_f64_e32 v[10:11], v[24:25], v[36:37]
	s_andn2_b64 exec, exec, s[2:3]
	s_cbranch_execnz .LBB59_15
; %bb.16:
	s_or_b64 exec, exec, s[2:3]
.LBB59_17:
	s_or_b64 exec, exec, s[4:5]
.LBB59_18:
	v_mov_b32_dpp v14, v10 row_shr:1 row_mask:0xf bank_mask:0xf
	v_mov_b32_dpp v15, v11 row_shr:1 row_mask:0xf bank_mask:0xf
	v_add_f64 v[10:11], v[10:11], v[14:15]
	v_mov_b32_dpp v12, v8 row_shr:1 row_mask:0xf bank_mask:0xf
	v_mov_b32_dpp v13, v9 row_shr:1 row_mask:0xf bank_mask:0xf
	;; [unrolled: 1-line block ×4, first 2 shown]
	v_add_f64 v[10:11], v[10:11], v[14:15]
	v_add_f64 v[8:9], v[8:9], v[12:13]
	v_cmp_eq_u32_e32 vcc, 15, v7
	v_mov_b32_dpp v14, v10 row_shr:4 row_mask:0xf bank_mask:0xe
	v_mov_b32_dpp v15, v11 row_shr:4 row_mask:0xf bank_mask:0xe
	v_add_f64 v[14:15], v[10:11], v[14:15]
	v_mov_b32_dpp v10, v0 row_shr:1 row_mask:0xf bank_mask:0xf
	v_mov_b32_dpp v11, v1 row_shr:1 row_mask:0xf bank_mask:0xf
	v_add_f64 v[0:1], v[0:1], v[10:11]
	v_mov_b32_dpp v12, v8 row_shr:2 row_mask:0xf bank_mask:0xf
	v_mov_b32_dpp v13, v9 row_shr:2 row_mask:0xf bank_mask:0xf
	;; [unrolled: 1-line block ×4, first 2 shown]
	v_add_f64 v[8:9], v[8:9], v[12:13]
	v_add_f64 v[0:1], v[0:1], v[10:11]
	v_mov_b32_dpp v16, v14 row_shr:8 row_mask:0xf bank_mask:0xc
	v_mov_b32_dpp v12, v8 row_shr:4 row_mask:0xf bank_mask:0xe
	;; [unrolled: 1-line block ×5, first 2 shown]
	v_add_f64 v[8:9], v[8:9], v[12:13]
	v_add_f64 v[0:1], v[0:1], v[10:11]
	v_mov_b32_dpp v17, v15 row_shr:8 row_mask:0xf bank_mask:0xc
	v_mov_b32_dpp v12, v8 row_shr:8 row_mask:0xf bank_mask:0xc
	;; [unrolled: 1-line block ×5, first 2 shown]
	s_and_b64 exec, exec, vcc
	s_cbranch_execz .LBB59_23
; %bb.19:
	s_load_dwordx2 s[0:1], s[0:1], 0x38
	v_add_f64 v[10:11], v[8:9], v[12:13]
	v_add_f64 v[8:9], v[14:15], v[16:17]
	;; [unrolled: 1-line block ×3, first 2 shown]
	v_cmp_eq_f64_e32 vcc, 0, v[4:5]
	s_and_saveexec_b64 s[2:3], vcc
	s_xor_b64 s[2:3], exec, s[2:3]
	s_cbranch_execz .LBB59_21
; %bb.20:
	v_lshl_add_u32 v6, v6, 1, v6
	v_ashrrev_i32_e32 v7, 31, v6
	v_mul_f64 v[4:5], v[2:3], v[10:11]
	s_waitcnt lgkmcnt(0)
	v_lshl_add_u64 v[10:11], v[6:7], 3, s[0:1]
	v_mul_f64 v[6:7], v[2:3], v[8:9]
	v_mul_f64 v[0:1], v[2:3], v[0:1]
	global_store_dwordx4 v[10:11], v[4:7], off
	global_store_dwordx2 v[10:11], v[0:1], off offset:16
                                        ; implicit-def: $vgpr6
                                        ; implicit-def: $vgpr2_vgpr3
                                        ; implicit-def: $vgpr10_vgpr11
                                        ; implicit-def: $vgpr4_vgpr5
                                        ; implicit-def: $vgpr8_vgpr9
                                        ; implicit-def: $vgpr0_vgpr1
.LBB59_21:
	s_andn2_saveexec_b64 s[2:3], s[2:3]
	s_cbranch_execz .LBB59_23
; %bb.22:
	v_lshl_add_u32 v6, v6, 1, v6
	v_ashrrev_i32_e32 v7, 31, v6
	s_waitcnt lgkmcnt(0)
	v_lshl_add_u64 v[16:17], v[6:7], 3, s[0:1]
	global_load_dwordx4 v[12:15], v[16:17], off
	global_load_dwordx2 v[18:19], v[16:17], off offset:16
	v_mul_f64 v[6:7], v[2:3], v[10:11]
	v_mul_f64 v[8:9], v[2:3], v[8:9]
	;; [unrolled: 1-line block ×3, first 2 shown]
	s_waitcnt vmcnt(1)
	v_fmac_f64_e32 v[6:7], v[4:5], v[12:13]
	v_fmac_f64_e32 v[8:9], v[4:5], v[14:15]
	s_waitcnt vmcnt(0)
	v_fmac_f64_e32 v[0:1], v[4:5], v[18:19]
	global_store_dwordx4 v[16:17], v[6:9], off
	global_store_dwordx2 v[16:17], v[0:1], off offset:16
.LBB59_23:
	s_endpgm
	.section	.rodata,"a",@progbits
	.p2align	6, 0x0
	.amdhsa_kernel _ZN9rocsparseL19gebsrmvn_3xn_kernelILj128ELj6ELj16EdEEvi20rocsparse_direction_NS_24const_host_device_scalarIT2_EEPKiS6_PKS3_S8_S4_PS3_21rocsparse_index_base_b
		.amdhsa_group_segment_fixed_size 0
		.amdhsa_private_segment_fixed_size 0
		.amdhsa_kernarg_size 72
		.amdhsa_user_sgpr_count 2
		.amdhsa_user_sgpr_dispatch_ptr 0
		.amdhsa_user_sgpr_queue_ptr 0
		.amdhsa_user_sgpr_kernarg_segment_ptr 1
		.amdhsa_user_sgpr_dispatch_id 0
		.amdhsa_user_sgpr_kernarg_preload_length 0
		.amdhsa_user_sgpr_kernarg_preload_offset 0
		.amdhsa_user_sgpr_private_segment_size 0
		.amdhsa_uses_dynamic_stack 0
		.amdhsa_enable_private_segment 0
		.amdhsa_system_sgpr_workgroup_id_x 1
		.amdhsa_system_sgpr_workgroup_id_y 0
		.amdhsa_system_sgpr_workgroup_id_z 0
		.amdhsa_system_sgpr_workgroup_info 0
		.amdhsa_system_vgpr_workitem_id 0
		.amdhsa_next_free_vgpr 64
		.amdhsa_next_free_sgpr 18
		.amdhsa_accum_offset 64
		.amdhsa_reserve_vcc 1
		.amdhsa_float_round_mode_32 0
		.amdhsa_float_round_mode_16_64 0
		.amdhsa_float_denorm_mode_32 3
		.amdhsa_float_denorm_mode_16_64 3
		.amdhsa_dx10_clamp 1
		.amdhsa_ieee_mode 1
		.amdhsa_fp16_overflow 0
		.amdhsa_tg_split 0
		.amdhsa_exception_fp_ieee_invalid_op 0
		.amdhsa_exception_fp_denorm_src 0
		.amdhsa_exception_fp_ieee_div_zero 0
		.amdhsa_exception_fp_ieee_overflow 0
		.amdhsa_exception_fp_ieee_underflow 0
		.amdhsa_exception_fp_ieee_inexact 0
		.amdhsa_exception_int_div_zero 0
	.end_amdhsa_kernel
	.section	.text._ZN9rocsparseL19gebsrmvn_3xn_kernelILj128ELj6ELj16EdEEvi20rocsparse_direction_NS_24const_host_device_scalarIT2_EEPKiS6_PKS3_S8_S4_PS3_21rocsparse_index_base_b,"axG",@progbits,_ZN9rocsparseL19gebsrmvn_3xn_kernelILj128ELj6ELj16EdEEvi20rocsparse_direction_NS_24const_host_device_scalarIT2_EEPKiS6_PKS3_S8_S4_PS3_21rocsparse_index_base_b,comdat
.Lfunc_end59:
	.size	_ZN9rocsparseL19gebsrmvn_3xn_kernelILj128ELj6ELj16EdEEvi20rocsparse_direction_NS_24const_host_device_scalarIT2_EEPKiS6_PKS3_S8_S4_PS3_21rocsparse_index_base_b, .Lfunc_end59-_ZN9rocsparseL19gebsrmvn_3xn_kernelILj128ELj6ELj16EdEEvi20rocsparse_direction_NS_24const_host_device_scalarIT2_EEPKiS6_PKS3_S8_S4_PS3_21rocsparse_index_base_b
                                        ; -- End function
	.section	.AMDGPU.csdata,"",@progbits
; Kernel info:
; codeLenInByte = 2036
; NumSgprs: 24
; NumVgprs: 64
; NumAgprs: 0
; TotalNumVgprs: 64
; ScratchSize: 0
; MemoryBound: 0
; FloatMode: 240
; IeeeMode: 1
; LDSByteSize: 0 bytes/workgroup (compile time only)
; SGPRBlocks: 2
; VGPRBlocks: 7
; NumSGPRsForWavesPerEU: 24
; NumVGPRsForWavesPerEU: 64
; AccumOffset: 64
; Occupancy: 8
; WaveLimiterHint : 1
; COMPUTE_PGM_RSRC2:SCRATCH_EN: 0
; COMPUTE_PGM_RSRC2:USER_SGPR: 2
; COMPUTE_PGM_RSRC2:TRAP_HANDLER: 0
; COMPUTE_PGM_RSRC2:TGID_X_EN: 1
; COMPUTE_PGM_RSRC2:TGID_Y_EN: 0
; COMPUTE_PGM_RSRC2:TGID_Z_EN: 0
; COMPUTE_PGM_RSRC2:TIDIG_COMP_CNT: 0
; COMPUTE_PGM_RSRC3_GFX90A:ACCUM_OFFSET: 15
; COMPUTE_PGM_RSRC3_GFX90A:TG_SPLIT: 0
	.section	.text._ZN9rocsparseL19gebsrmvn_3xn_kernelILj128ELj6ELj32EdEEvi20rocsparse_direction_NS_24const_host_device_scalarIT2_EEPKiS6_PKS3_S8_S4_PS3_21rocsparse_index_base_b,"axG",@progbits,_ZN9rocsparseL19gebsrmvn_3xn_kernelILj128ELj6ELj32EdEEvi20rocsparse_direction_NS_24const_host_device_scalarIT2_EEPKiS6_PKS3_S8_S4_PS3_21rocsparse_index_base_b,comdat
	.globl	_ZN9rocsparseL19gebsrmvn_3xn_kernelILj128ELj6ELj32EdEEvi20rocsparse_direction_NS_24const_host_device_scalarIT2_EEPKiS6_PKS3_S8_S4_PS3_21rocsparse_index_base_b ; -- Begin function _ZN9rocsparseL19gebsrmvn_3xn_kernelILj128ELj6ELj32EdEEvi20rocsparse_direction_NS_24const_host_device_scalarIT2_EEPKiS6_PKS3_S8_S4_PS3_21rocsparse_index_base_b
	.p2align	8
	.type	_ZN9rocsparseL19gebsrmvn_3xn_kernelILj128ELj6ELj32EdEEvi20rocsparse_direction_NS_24const_host_device_scalarIT2_EEPKiS6_PKS3_S8_S4_PS3_21rocsparse_index_base_b,@function
_ZN9rocsparseL19gebsrmvn_3xn_kernelILj128ELj6ELj32EdEEvi20rocsparse_direction_NS_24const_host_device_scalarIT2_EEPKiS6_PKS3_S8_S4_PS3_21rocsparse_index_base_b: ; @_ZN9rocsparseL19gebsrmvn_3xn_kernelILj128ELj6ELj32EdEEvi20rocsparse_direction_NS_24const_host_device_scalarIT2_EEPKiS6_PKS3_S8_S4_PS3_21rocsparse_index_base_b
; %bb.0:
	s_load_dwordx2 s[12:13], s[0:1], 0x40
	s_load_dwordx2 s[8:9], s[0:1], 0x8
	;; [unrolled: 1-line block ×3, first 2 shown]
	s_waitcnt lgkmcnt(0)
	s_bitcmp1_b32 s13, 0
	s_cselect_b64 s[10:11], -1, 0
	s_xor_b64 s[6:7], s[10:11], -1
	s_and_b64 vcc, exec, s[10:11]
	v_mov_b64_e32 v[2:3], s[8:9]
	s_cbranch_vccnz .LBB60_2
; %bb.1:
	v_mov_b64_e32 v[2:3], s[8:9]
	flat_load_dwordx2 v[2:3], v[2:3]
.LBB60_2:
	s_andn2_b64 vcc, exec, s[6:7]
	v_mov_b64_e32 v[4:5], s[4:5]
	s_cbranch_vccnz .LBB60_4
; %bb.3:
	v_mov_b64_e32 v[4:5], s[4:5]
	flat_load_dwordx2 v[4:5], v[4:5]
.LBB60_4:
	s_waitcnt vmcnt(0) lgkmcnt(0)
	v_cmp_neq_f64_e32 vcc, 0, v[2:3]
	v_cmp_neq_f64_e64 s[4:5], 1.0, v[4:5]
	s_or_b64 s[4:5], vcc, s[4:5]
	s_and_saveexec_b64 s[6:7], s[4:5]
	s_cbranch_execz .LBB60_23
; %bb.5:
	s_load_dwordx2 s[14:15], s[0:1], 0x0
	v_lshrrev_b32_e32 v1, 5, v0
	v_lshl_or_b32 v6, s2, 2, v1
	s_waitcnt lgkmcnt(0)
	v_cmp_gt_i32_e32 vcc, s14, v6
	s_and_b64 exec, exec, vcc
	s_cbranch_execz .LBB60_23
; %bb.6:
	s_load_dwordx8 s[4:11], s[0:1], 0x10
	v_ashrrev_i32_e32 v7, 31, v6
	s_cmp_lg_u32 s15, 0
	s_waitcnt lgkmcnt(0)
	v_lshl_add_u64 v[8:9], v[6:7], 2, s[4:5]
	global_load_dwordx2 v[8:9], v[8:9], off
	v_and_b32_e32 v7, 31, v0
	s_waitcnt vmcnt(0)
	v_subrev_u32_e32 v0, s12, v8
	v_subrev_u32_e32 v20, s12, v9
	v_add_u32_e32 v12, v0, v7
	v_cmp_lt_i32_e64 s[2:3], v12, v20
	s_cbranch_scc0 .LBB60_12
; %bb.7:
	v_mov_b64_e32 v[8:9], 0
	s_mov_b64 s[4:5], 0
	v_mov_b64_e32 v[0:1], v[8:9]
	v_mov_b64_e32 v[10:11], v[8:9]
	s_and_saveexec_b64 s[14:15], s[2:3]
	s_cbranch_execz .LBB60_11
; %bb.8:
	v_mad_u64_u32 v[14:15], s[16:17], v12, 18, 17
	v_mov_b64_e32 v[8:9], 0
	s_mov_b64 s[16:17], 0
	v_mov_b32_e32 v17, 0
	v_mov_b32_e32 v18, v12
	v_mov_b64_e32 v[0:1], v[8:9]
	v_mov_b64_e32 v[10:11], v[8:9]
.LBB60_9:                               ; =>This Inner Loop Header: Depth=1
	v_ashrrev_i32_e32 v19, 31, v18
	v_subrev_u32_e32 v16, 17, v14
	v_lshl_add_u64 v[26:27], v[18:19], 2, s[6:7]
	v_lshl_add_u64 v[28:29], v[16:17], 3, s[8:9]
	global_load_dword v13, v[26:27], off
	global_load_dwordx4 v[22:25], v[28:29], off
	v_add_u32_e32 v16, -15, v14
	v_mov_b32_e32 v15, v17
	v_lshl_add_u64 v[26:27], v[16:17], 3, s[8:9]
	v_add_u32_e32 v16, -14, v14
	v_lshl_add_u64 v[30:31], v[14:15], 3, s[8:9]
	v_lshl_add_u64 v[28:29], v[16:17], 3, s[8:9]
	v_add_u32_e32 v16, -13, v14
	global_load_dwordx2 v[38:39], v[30:31], off
	global_load_dwordx2 v[42:43], v[28:29], off
	global_load_dwordx2 v[40:41], v[26:27], off
	v_lshl_add_u64 v[26:27], v[16:17], 3, s[8:9]
	v_add_u32_e32 v16, -12, v14
	v_lshl_add_u64 v[28:29], v[16:17], 3, s[8:9]
	v_add_u32_e32 v16, -11, v14
	v_mov_b32_e32 v35, v17
	global_load_dwordx2 v[44:45], v[26:27], off
	global_load_dwordx2 v[46:47], v[28:29], off
	v_lshl_add_u64 v[26:27], v[16:17], 3, s[8:9]
	global_load_dwordx2 v[48:49], v[26:27], off
	v_add_u32_e32 v18, 32, v18
	v_cmp_ge_i32_e32 vcc, v18, v20
	s_or_b64 s[16:17], vcc, s[16:17]
	s_waitcnt vmcnt(7)
	v_subrev_u32_e32 v13, s12, v13
	v_mul_lo_u32 v34, v13, 6
	v_lshl_add_u64 v[26:27], v[34:35], 3, s[10:11]
	global_load_dwordx4 v[26:29], v[26:27], off
	v_add_u32_e32 v16, 2, v34
	v_lshl_add_u64 v[30:31], v[16:17], 3, s[10:11]
	global_load_dwordx4 v[30:33], v[30:31], off
	v_add_u32_e32 v16, -10, v14
	v_lshl_add_u64 v[36:37], v[16:17], 3, s[8:9]
	v_add_u32_e32 v16, -9, v14
	v_lshl_add_u64 v[50:51], v[16:17], 3, s[8:9]
	v_add_u32_e32 v16, -8, v14
	global_load_dwordx2 v[52:53], v[36:37], off
	s_waitcnt vmcnt(2)
	v_fmac_f64_e32 v[8:9], v[22:23], v[26:27]
	global_load_dwordx2 v[50:51], v[50:51], off
	v_lshl_add_u64 v[36:37], v[16:17], 3, s[8:9]
	v_add_u32_e32 v16, -7, v14
	v_lshl_add_u64 v[54:55], v[16:17], 3, s[8:9]
	v_add_u32_e32 v16, -6, v14
	global_load_dwordx2 v[56:57], v[36:37], off
	global_load_dwordx2 v[58:59], v[54:55], off
	v_lshl_add_u64 v[36:37], v[16:17], 3, s[8:9]
	v_add_u32_e32 v16, -5, v14
	v_lshl_add_u64 v[54:55], v[16:17], 3, s[8:9]
	v_add_u32_e32 v16, 4, v34
	v_lshl_add_u64 v[34:35], v[16:17], 3, s[10:11]
	v_add_u32_e32 v16, -4, v14
	v_lshl_add_u64 v[22:23], v[16:17], 3, s[8:9]
	v_add_u32_e32 v16, -3, v14
	v_fmac_f64_e32 v[10:11], v[24:25], v[26:27]
	v_lshl_add_u64 v[24:25], v[16:17], 3, s[8:9]
	v_add_u32_e32 v16, -2, v14
	v_fmac_f64_e32 v[0:1], v[40:41], v[26:27]
	v_lshl_add_u64 v[26:27], v[16:17], 3, s[8:9]
	v_add_u32_e32 v16, -1, v14
	global_load_dwordx2 v[60:61], v[36:37], off
	global_load_dwordx2 v[62:63], v[54:55], off
	v_fmac_f64_e32 v[8:9], v[42:43], v[28:29]
	global_load_dwordx4 v[34:37], v[34:35], off
	v_fmac_f64_e32 v[10:11], v[44:45], v[28:29]
	global_load_dwordx2 v[22:23], v[22:23], off
	s_nop 0
	global_load_dwordx2 v[40:41], v[24:25], off
	global_load_dwordx2 v[54:55], v[26:27], off
	v_lshl_add_u64 v[24:25], v[16:17], 3, s[8:9]
	global_load_dwordx2 v[24:25], v[24:25], off
	v_fmac_f64_e32 v[0:1], v[46:47], v[28:29]
	s_waitcnt vmcnt(11)
	v_fmac_f64_e32 v[8:9], v[48:49], v[30:31]
	s_waitcnt vmcnt(10)
	v_fmac_f64_e32 v[10:11], v[52:53], v[30:31]
	v_add_u32_e32 v14, 0x240, v14
	s_waitcnt vmcnt(9)
	v_fmac_f64_e32 v[0:1], v[50:51], v[30:31]
	s_waitcnt vmcnt(8)
	v_fmac_f64_e32 v[8:9], v[56:57], v[32:33]
	;; [unrolled: 2-line block ×8, first 2 shown]
	v_fmac_f64_e32 v[0:1], v[38:39], v[36:37]
	s_waitcnt vmcnt(0)
	v_fmac_f64_e32 v[10:11], v[24:25], v[36:37]
	s_andn2_b64 exec, exec, s[16:17]
	s_cbranch_execnz .LBB60_9
; %bb.10:
	s_or_b64 exec, exec, s[16:17]
.LBB60_11:
	s_or_b64 exec, exec, s[14:15]
	s_andn2_b64 vcc, exec, s[4:5]
	s_cbranch_vccz .LBB60_13
	s_branch .LBB60_18
.LBB60_12:
                                        ; implicit-def: $vgpr8_vgpr9
                                        ; implicit-def: $vgpr0_vgpr1
                                        ; implicit-def: $vgpr10_vgpr11
.LBB60_13:
	v_mov_b64_e32 v[8:9], 0
	v_mov_b64_e32 v[0:1], v[8:9]
	;; [unrolled: 1-line block ×3, first 2 shown]
	s_and_saveexec_b64 s[4:5], s[2:3]
	s_cbranch_execz .LBB60_17
; %bb.14:
	v_mad_u64_u32 v[14:15], s[2:3], v12, 18, 17
	v_mov_b64_e32 v[8:9], 0
	s_mov_b64 s[2:3], 0
	v_mov_b32_e32 v17, 0
	v_mov_b64_e32 v[0:1], v[8:9]
	v_mov_b64_e32 v[10:11], v[8:9]
.LBB60_15:                              ; =>This Inner Loop Header: Depth=1
	v_ashrrev_i32_e32 v13, 31, v12
	v_subrev_u32_e32 v16, 17, v14
	v_add_u32_e32 v22, -5, v14
	v_mov_b32_e32 v23, v17
	v_lshl_add_u64 v[26:27], v[12:13], 2, s[6:7]
	v_lshl_add_u64 v[28:29], v[16:17], 3, s[8:9]
	;; [unrolled: 1-line block ×3, first 2 shown]
	global_load_dword v13, v[26:27], off
	global_load_dwordx4 v[22:25], v[28:29], off
	v_add_u32_e32 v18, -11, v14
	v_mov_b32_e32 v19, v17
	v_mov_b32_e32 v15, v17
	v_add_u32_e32 v16, -10, v14
	v_mov_b32_e32 v35, v17
	v_lshl_add_u64 v[18:19], v[18:19], 3, s[8:9]
	v_lshl_add_u64 v[32:33], v[14:15], 3, s[8:9]
	;; [unrolled: 1-line block ×3, first 2 shown]
	v_add_u32_e32 v16, -4, v14
	global_load_dwordx2 v[38:39], v[32:33], off
	global_load_dwordx2 v[40:41], v[18:19], off
	;; [unrolled: 1-line block ×3, first 2 shown]
	v_lshl_add_u64 v[18:19], v[16:17], 3, s[8:9]
	global_load_dwordx2 v[44:45], v[26:27], off
	global_load_dwordx2 v[46:47], v[18:19], off
	v_add_u32_e32 v16, -15, v14
	v_lshl_add_u64 v[18:19], v[16:17], 3, s[8:9]
	global_load_dwordx2 v[18:19], v[18:19], off
	v_add_u32_e32 v12, 32, v12
	v_cmp_ge_i32_e32 vcc, v12, v20
	s_or_b64 s[2:3], vcc, s[2:3]
	s_waitcnt vmcnt(7)
	v_subrev_u32_e32 v13, s12, v13
	v_mul_lo_u32 v34, v13, 6
	v_lshl_add_u64 v[26:27], v[34:35], 3, s[10:11]
	global_load_dwordx4 v[26:29], v[26:27], off
	v_add_u32_e32 v16, 2, v34
	v_lshl_add_u64 v[30:31], v[16:17], 3, s[10:11]
	global_load_dwordx4 v[30:33], v[30:31], off
	v_add_u32_e32 v16, -9, v14
	v_lshl_add_u64 v[36:37], v[16:17], 3, s[8:9]
	v_add_u32_e32 v16, -3, v14
	v_lshl_add_u64 v[48:49], v[16:17], 3, s[8:9]
	v_add_u32_e32 v16, -14, v14
	global_load_dwordx2 v[50:51], v[36:37], off
	s_waitcnt vmcnt(2)
	v_fmac_f64_e32 v[8:9], v[22:23], v[26:27]
	global_load_dwordx2 v[48:49], v[48:49], off
	v_lshl_add_u64 v[36:37], v[16:17], 3, s[8:9]
	v_add_u32_e32 v16, -8, v14
	v_lshl_add_u64 v[52:53], v[16:17], 3, s[8:9]
	v_add_u32_e32 v16, -2, v14
	global_load_dwordx2 v[54:55], v[36:37], off
	global_load_dwordx2 v[56:57], v[52:53], off
	v_lshl_add_u64 v[36:37], v[16:17], 3, s[8:9]
	v_add_u32_e32 v16, -13, v14
	v_lshl_add_u64 v[52:53], v[16:17], 3, s[8:9]
	v_add_u32_e32 v16, 4, v34
	v_lshl_add_u64 v[34:35], v[16:17], 3, s[10:11]
	v_add_u32_e32 v16, -7, v14
	v_lshl_add_u64 v[22:23], v[16:17], 3, s[8:9]
	v_add_u32_e32 v16, -1, v14
	v_fmac_f64_e32 v[8:9], v[24:25], v[28:29]
	v_lshl_add_u64 v[24:25], v[16:17], 3, s[8:9]
	v_add_u32_e32 v16, -12, v14
	v_fmac_f64_e32 v[10:11], v[40:41], v[26:27]
	v_lshl_add_u64 v[40:41], v[16:17], 3, s[8:9]
	v_add_u32_e32 v16, -6, v14
	global_load_dwordx2 v[58:59], v[36:37], off
	global_load_dwordx2 v[60:61], v[52:53], off
	v_fmac_f64_e32 v[0:1], v[42:43], v[26:27]
	global_load_dwordx4 v[34:37], v[34:35], off
	v_fmac_f64_e32 v[10:11], v[44:45], v[28:29]
	global_load_dwordx2 v[22:23], v[22:23], off
	s_nop 0
	global_load_dwordx2 v[52:53], v[24:25], off
	global_load_dwordx2 v[62:63], v[40:41], off
	v_lshl_add_u64 v[24:25], v[16:17], 3, s[8:9]
	global_load_dwordx2 v[24:25], v[24:25], off
	v_fmac_f64_e32 v[0:1], v[46:47], v[28:29]
	s_waitcnt vmcnt(11)
	v_fmac_f64_e32 v[8:9], v[18:19], v[30:31]
	s_waitcnt vmcnt(10)
	v_fmac_f64_e32 v[10:11], v[50:51], v[30:31]
	v_add_u32_e32 v14, 0x240, v14
	s_waitcnt vmcnt(9)
	v_fmac_f64_e32 v[0:1], v[48:49], v[30:31]
	s_waitcnt vmcnt(8)
	v_fmac_f64_e32 v[8:9], v[54:55], v[32:33]
	;; [unrolled: 2-line block ×8, first 2 shown]
	v_fmac_f64_e32 v[0:1], v[38:39], v[36:37]
	s_waitcnt vmcnt(0)
	v_fmac_f64_e32 v[10:11], v[24:25], v[36:37]
	s_andn2_b64 exec, exec, s[2:3]
	s_cbranch_execnz .LBB60_15
; %bb.16:
	s_or_b64 exec, exec, s[2:3]
.LBB60_17:
	s_or_b64 exec, exec, s[4:5]
.LBB60_18:
	v_mov_b32_dpp v14, v10 row_shr:1 row_mask:0xf bank_mask:0xf
	v_mov_b32_dpp v15, v11 row_shr:1 row_mask:0xf bank_mask:0xf
	v_add_f64 v[10:11], v[10:11], v[14:15]
	v_mov_b32_dpp v12, v8 row_shr:1 row_mask:0xf bank_mask:0xf
	v_mov_b32_dpp v13, v9 row_shr:1 row_mask:0xf bank_mask:0xf
	;; [unrolled: 1-line block ×4, first 2 shown]
	v_add_f64 v[10:11], v[10:11], v[14:15]
	v_add_f64 v[8:9], v[8:9], v[12:13]
	v_cmp_eq_u32_e32 vcc, 31, v7
	v_mov_b32_dpp v14, v10 row_shr:4 row_mask:0xf bank_mask:0xe
	v_mov_b32_dpp v15, v11 row_shr:4 row_mask:0xf bank_mask:0xe
	v_add_f64 v[10:11], v[10:11], v[14:15]
	v_mov_b32_dpp v12, v8 row_shr:2 row_mask:0xf bank_mask:0xf
	v_mov_b32_dpp v13, v9 row_shr:2 row_mask:0xf bank_mask:0xf
	;; [unrolled: 1-line block ×4, first 2 shown]
	v_add_f64 v[14:15], v[10:11], v[14:15]
	v_mov_b32_dpp v10, v0 row_shr:1 row_mask:0xf bank_mask:0xf
	v_mov_b32_dpp v11, v1 row_shr:1 row_mask:0xf bank_mask:0xf
	v_add_f64 v[0:1], v[0:1], v[10:11]
	v_add_f64 v[8:9], v[8:9], v[12:13]
	v_mov_b32_dpp v16, v14 row_bcast:15 row_mask:0xa bank_mask:0xf
	v_mov_b32_dpp v10, v0 row_shr:2 row_mask:0xf bank_mask:0xf
	v_mov_b32_dpp v11, v1 row_shr:2 row_mask:0xf bank_mask:0xf
	v_add_f64 v[0:1], v[0:1], v[10:11]
	v_mov_b32_dpp v12, v8 row_shr:4 row_mask:0xf bank_mask:0xe
	v_mov_b32_dpp v13, v9 row_shr:4 row_mask:0xf bank_mask:0xe
	;; [unrolled: 1-line block ×4, first 2 shown]
	v_add_f64 v[8:9], v[8:9], v[12:13]
	v_add_f64 v[0:1], v[0:1], v[10:11]
	v_mov_b32_dpp v17, v15 row_bcast:15 row_mask:0xa bank_mask:0xf
	v_mov_b32_dpp v12, v8 row_shr:8 row_mask:0xf bank_mask:0xc
	v_mov_b32_dpp v13, v9 row_shr:8 row_mask:0xf bank_mask:0xc
	;; [unrolled: 1-line block ×4, first 2 shown]
	v_add_f64 v[8:9], v[8:9], v[12:13]
	v_add_f64 v[0:1], v[0:1], v[10:11]
	s_nop 0
	v_mov_b32_dpp v12, v8 row_bcast:15 row_mask:0xa bank_mask:0xf
	v_mov_b32_dpp v13, v9 row_bcast:15 row_mask:0xa bank_mask:0xf
	;; [unrolled: 1-line block ×4, first 2 shown]
	s_and_b64 exec, exec, vcc
	s_cbranch_execz .LBB60_23
; %bb.19:
	s_load_dwordx2 s[0:1], s[0:1], 0x38
	v_add_f64 v[10:11], v[8:9], v[12:13]
	v_add_f64 v[8:9], v[14:15], v[16:17]
	;; [unrolled: 1-line block ×3, first 2 shown]
	v_cmp_eq_f64_e32 vcc, 0, v[4:5]
	s_and_saveexec_b64 s[2:3], vcc
	s_xor_b64 s[2:3], exec, s[2:3]
	s_cbranch_execz .LBB60_21
; %bb.20:
	v_lshl_add_u32 v6, v6, 1, v6
	v_ashrrev_i32_e32 v7, 31, v6
	v_mul_f64 v[4:5], v[2:3], v[10:11]
	s_waitcnt lgkmcnt(0)
	v_lshl_add_u64 v[10:11], v[6:7], 3, s[0:1]
	v_mul_f64 v[6:7], v[2:3], v[8:9]
	v_mul_f64 v[0:1], v[2:3], v[0:1]
	global_store_dwordx4 v[10:11], v[4:7], off
	global_store_dwordx2 v[10:11], v[0:1], off offset:16
                                        ; implicit-def: $vgpr6
                                        ; implicit-def: $vgpr2_vgpr3
                                        ; implicit-def: $vgpr10_vgpr11
                                        ; implicit-def: $vgpr4_vgpr5
                                        ; implicit-def: $vgpr8_vgpr9
                                        ; implicit-def: $vgpr0_vgpr1
.LBB60_21:
	s_andn2_saveexec_b64 s[2:3], s[2:3]
	s_cbranch_execz .LBB60_23
; %bb.22:
	v_lshl_add_u32 v6, v6, 1, v6
	v_ashrrev_i32_e32 v7, 31, v6
	s_waitcnt lgkmcnt(0)
	v_lshl_add_u64 v[16:17], v[6:7], 3, s[0:1]
	global_load_dwordx4 v[12:15], v[16:17], off
	global_load_dwordx2 v[18:19], v[16:17], off offset:16
	v_mul_f64 v[6:7], v[2:3], v[10:11]
	v_mul_f64 v[8:9], v[2:3], v[8:9]
	;; [unrolled: 1-line block ×3, first 2 shown]
	s_waitcnt vmcnt(1)
	v_fmac_f64_e32 v[6:7], v[4:5], v[12:13]
	v_fmac_f64_e32 v[8:9], v[4:5], v[14:15]
	s_waitcnt vmcnt(0)
	v_fmac_f64_e32 v[0:1], v[4:5], v[18:19]
	global_store_dwordx4 v[16:17], v[6:9], off
	global_store_dwordx2 v[16:17], v[0:1], off offset:16
.LBB60_23:
	s_endpgm
	.section	.rodata,"a",@progbits
	.p2align	6, 0x0
	.amdhsa_kernel _ZN9rocsparseL19gebsrmvn_3xn_kernelILj128ELj6ELj32EdEEvi20rocsparse_direction_NS_24const_host_device_scalarIT2_EEPKiS6_PKS3_S8_S4_PS3_21rocsparse_index_base_b
		.amdhsa_group_segment_fixed_size 0
		.amdhsa_private_segment_fixed_size 0
		.amdhsa_kernarg_size 72
		.amdhsa_user_sgpr_count 2
		.amdhsa_user_sgpr_dispatch_ptr 0
		.amdhsa_user_sgpr_queue_ptr 0
		.amdhsa_user_sgpr_kernarg_segment_ptr 1
		.amdhsa_user_sgpr_dispatch_id 0
		.amdhsa_user_sgpr_kernarg_preload_length 0
		.amdhsa_user_sgpr_kernarg_preload_offset 0
		.amdhsa_user_sgpr_private_segment_size 0
		.amdhsa_uses_dynamic_stack 0
		.amdhsa_enable_private_segment 0
		.amdhsa_system_sgpr_workgroup_id_x 1
		.amdhsa_system_sgpr_workgroup_id_y 0
		.amdhsa_system_sgpr_workgroup_id_z 0
		.amdhsa_system_sgpr_workgroup_info 0
		.amdhsa_system_vgpr_workitem_id 0
		.amdhsa_next_free_vgpr 64
		.amdhsa_next_free_sgpr 18
		.amdhsa_accum_offset 64
		.amdhsa_reserve_vcc 1
		.amdhsa_float_round_mode_32 0
		.amdhsa_float_round_mode_16_64 0
		.amdhsa_float_denorm_mode_32 3
		.amdhsa_float_denorm_mode_16_64 3
		.amdhsa_dx10_clamp 1
		.amdhsa_ieee_mode 1
		.amdhsa_fp16_overflow 0
		.amdhsa_tg_split 0
		.amdhsa_exception_fp_ieee_invalid_op 0
		.amdhsa_exception_fp_denorm_src 0
		.amdhsa_exception_fp_ieee_div_zero 0
		.amdhsa_exception_fp_ieee_overflow 0
		.amdhsa_exception_fp_ieee_underflow 0
		.amdhsa_exception_fp_ieee_inexact 0
		.amdhsa_exception_int_div_zero 0
	.end_amdhsa_kernel
	.section	.text._ZN9rocsparseL19gebsrmvn_3xn_kernelILj128ELj6ELj32EdEEvi20rocsparse_direction_NS_24const_host_device_scalarIT2_EEPKiS6_PKS3_S8_S4_PS3_21rocsparse_index_base_b,"axG",@progbits,_ZN9rocsparseL19gebsrmvn_3xn_kernelILj128ELj6ELj32EdEEvi20rocsparse_direction_NS_24const_host_device_scalarIT2_EEPKiS6_PKS3_S8_S4_PS3_21rocsparse_index_base_b,comdat
.Lfunc_end60:
	.size	_ZN9rocsparseL19gebsrmvn_3xn_kernelILj128ELj6ELj32EdEEvi20rocsparse_direction_NS_24const_host_device_scalarIT2_EEPKiS6_PKS3_S8_S4_PS3_21rocsparse_index_base_b, .Lfunc_end60-_ZN9rocsparseL19gebsrmvn_3xn_kernelILj128ELj6ELj32EdEEvi20rocsparse_direction_NS_24const_host_device_scalarIT2_EEPKiS6_PKS3_S8_S4_PS3_21rocsparse_index_base_b
                                        ; -- End function
	.section	.AMDGPU.csdata,"",@progbits
; Kernel info:
; codeLenInByte = 2112
; NumSgprs: 24
; NumVgprs: 64
; NumAgprs: 0
; TotalNumVgprs: 64
; ScratchSize: 0
; MemoryBound: 0
; FloatMode: 240
; IeeeMode: 1
; LDSByteSize: 0 bytes/workgroup (compile time only)
; SGPRBlocks: 2
; VGPRBlocks: 7
; NumSGPRsForWavesPerEU: 24
; NumVGPRsForWavesPerEU: 64
; AccumOffset: 64
; Occupancy: 8
; WaveLimiterHint : 1
; COMPUTE_PGM_RSRC2:SCRATCH_EN: 0
; COMPUTE_PGM_RSRC2:USER_SGPR: 2
; COMPUTE_PGM_RSRC2:TRAP_HANDLER: 0
; COMPUTE_PGM_RSRC2:TGID_X_EN: 1
; COMPUTE_PGM_RSRC2:TGID_Y_EN: 0
; COMPUTE_PGM_RSRC2:TGID_Z_EN: 0
; COMPUTE_PGM_RSRC2:TIDIG_COMP_CNT: 0
; COMPUTE_PGM_RSRC3_GFX90A:ACCUM_OFFSET: 15
; COMPUTE_PGM_RSRC3_GFX90A:TG_SPLIT: 0
	.section	.text._ZN9rocsparseL19gebsrmvn_3xn_kernelILj128ELj6ELj64EdEEvi20rocsparse_direction_NS_24const_host_device_scalarIT2_EEPKiS6_PKS3_S8_S4_PS3_21rocsparse_index_base_b,"axG",@progbits,_ZN9rocsparseL19gebsrmvn_3xn_kernelILj128ELj6ELj64EdEEvi20rocsparse_direction_NS_24const_host_device_scalarIT2_EEPKiS6_PKS3_S8_S4_PS3_21rocsparse_index_base_b,comdat
	.globl	_ZN9rocsparseL19gebsrmvn_3xn_kernelILj128ELj6ELj64EdEEvi20rocsparse_direction_NS_24const_host_device_scalarIT2_EEPKiS6_PKS3_S8_S4_PS3_21rocsparse_index_base_b ; -- Begin function _ZN9rocsparseL19gebsrmvn_3xn_kernelILj128ELj6ELj64EdEEvi20rocsparse_direction_NS_24const_host_device_scalarIT2_EEPKiS6_PKS3_S8_S4_PS3_21rocsparse_index_base_b
	.p2align	8
	.type	_ZN9rocsparseL19gebsrmvn_3xn_kernelILj128ELj6ELj64EdEEvi20rocsparse_direction_NS_24const_host_device_scalarIT2_EEPKiS6_PKS3_S8_S4_PS3_21rocsparse_index_base_b,@function
_ZN9rocsparseL19gebsrmvn_3xn_kernelILj128ELj6ELj64EdEEvi20rocsparse_direction_NS_24const_host_device_scalarIT2_EEPKiS6_PKS3_S8_S4_PS3_21rocsparse_index_base_b: ; @_ZN9rocsparseL19gebsrmvn_3xn_kernelILj128ELj6ELj64EdEEvi20rocsparse_direction_NS_24const_host_device_scalarIT2_EEPKiS6_PKS3_S8_S4_PS3_21rocsparse_index_base_b
; %bb.0:
	s_load_dwordx2 s[12:13], s[0:1], 0x40
	s_load_dwordx2 s[8:9], s[0:1], 0x8
	;; [unrolled: 1-line block ×3, first 2 shown]
	s_waitcnt lgkmcnt(0)
	s_bitcmp1_b32 s13, 0
	s_cselect_b64 s[10:11], -1, 0
	s_xor_b64 s[6:7], s[10:11], -1
	s_and_b64 vcc, exec, s[10:11]
	v_mov_b64_e32 v[2:3], s[8:9]
	s_cbranch_vccnz .LBB61_2
; %bb.1:
	v_mov_b64_e32 v[2:3], s[8:9]
	flat_load_dwordx2 v[2:3], v[2:3]
.LBB61_2:
	s_andn2_b64 vcc, exec, s[6:7]
	v_mov_b64_e32 v[4:5], s[4:5]
	s_cbranch_vccnz .LBB61_4
; %bb.3:
	v_mov_b64_e32 v[4:5], s[4:5]
	flat_load_dwordx2 v[4:5], v[4:5]
.LBB61_4:
	s_waitcnt vmcnt(0) lgkmcnt(0)
	v_cmp_neq_f64_e32 vcc, 0, v[2:3]
	v_cmp_neq_f64_e64 s[4:5], 1.0, v[4:5]
	s_or_b64 s[4:5], vcc, s[4:5]
	s_and_saveexec_b64 s[6:7], s[4:5]
	s_cbranch_execz .LBB61_23
; %bb.5:
	s_load_dwordx2 s[14:15], s[0:1], 0x0
	v_lshrrev_b32_e32 v1, 6, v0
	v_lshl_or_b32 v6, s2, 1, v1
	s_waitcnt lgkmcnt(0)
	v_cmp_gt_i32_e32 vcc, s14, v6
	s_and_b64 exec, exec, vcc
	s_cbranch_execz .LBB61_23
; %bb.6:
	s_load_dwordx8 s[4:11], s[0:1], 0x10
	v_ashrrev_i32_e32 v7, 31, v6
	s_cmp_lg_u32 s15, 0
	s_waitcnt lgkmcnt(0)
	v_lshl_add_u64 v[8:9], v[6:7], 2, s[4:5]
	global_load_dwordx2 v[8:9], v[8:9], off
	v_and_b32_e32 v7, 63, v0
	s_waitcnt vmcnt(0)
	v_subrev_u32_e32 v0, s12, v8
	v_subrev_u32_e32 v20, s12, v9
	v_add_u32_e32 v12, v0, v7
	v_cmp_lt_i32_e64 s[2:3], v12, v20
	s_cbranch_scc0 .LBB61_12
; %bb.7:
	v_mov_b64_e32 v[10:11], 0
	s_mov_b64 s[4:5], 0
	v_mov_b64_e32 v[0:1], v[10:11]
	v_mov_b64_e32 v[8:9], v[10:11]
	s_and_saveexec_b64 s[14:15], s[2:3]
	s_cbranch_execz .LBB61_11
; %bb.8:
	v_mad_u64_u32 v[14:15], s[16:17], v12, 18, 17
	v_mov_b64_e32 v[10:11], 0
	s_mov_b64 s[16:17], 0
	v_mov_b32_e32 v17, 0
	v_mov_b32_e32 v18, v12
	v_mov_b64_e32 v[0:1], v[10:11]
	v_mov_b64_e32 v[8:9], v[10:11]
.LBB61_9:                               ; =>This Inner Loop Header: Depth=1
	v_ashrrev_i32_e32 v19, 31, v18
	v_subrev_u32_e32 v16, 17, v14
	v_lshl_add_u64 v[26:27], v[18:19], 2, s[6:7]
	v_lshl_add_u64 v[28:29], v[16:17], 3, s[8:9]
	global_load_dword v13, v[26:27], off
	global_load_dwordx4 v[22:25], v[28:29], off
	v_add_u32_e32 v16, -15, v14
	v_mov_b32_e32 v15, v17
	v_lshl_add_u64 v[26:27], v[16:17], 3, s[8:9]
	v_add_u32_e32 v16, -14, v14
	v_lshl_add_u64 v[30:31], v[14:15], 3, s[8:9]
	v_lshl_add_u64 v[28:29], v[16:17], 3, s[8:9]
	v_add_u32_e32 v16, -13, v14
	global_load_dwordx2 v[38:39], v[30:31], off
	global_load_dwordx2 v[42:43], v[28:29], off
	;; [unrolled: 1-line block ×3, first 2 shown]
	v_lshl_add_u64 v[26:27], v[16:17], 3, s[8:9]
	v_add_u32_e32 v16, -12, v14
	v_lshl_add_u64 v[28:29], v[16:17], 3, s[8:9]
	v_add_u32_e32 v16, -11, v14
	v_mov_b32_e32 v35, v17
	global_load_dwordx2 v[44:45], v[26:27], off
	global_load_dwordx2 v[46:47], v[28:29], off
	v_lshl_add_u64 v[26:27], v[16:17], 3, s[8:9]
	global_load_dwordx2 v[48:49], v[26:27], off
	v_add_u32_e32 v18, 64, v18
	v_cmp_ge_i32_e32 vcc, v18, v20
	s_or_b64 s[16:17], vcc, s[16:17]
	s_waitcnt vmcnt(7)
	v_subrev_u32_e32 v13, s12, v13
	v_mul_lo_u32 v34, v13, 6
	v_lshl_add_u64 v[26:27], v[34:35], 3, s[10:11]
	global_load_dwordx4 v[26:29], v[26:27], off
	v_add_u32_e32 v16, 2, v34
	v_lshl_add_u64 v[30:31], v[16:17], 3, s[10:11]
	global_load_dwordx4 v[30:33], v[30:31], off
	v_add_u32_e32 v16, -10, v14
	v_lshl_add_u64 v[36:37], v[16:17], 3, s[8:9]
	v_add_u32_e32 v16, -9, v14
	v_lshl_add_u64 v[50:51], v[16:17], 3, s[8:9]
	v_add_u32_e32 v16, -8, v14
	global_load_dwordx2 v[52:53], v[36:37], off
	s_waitcnt vmcnt(2)
	v_fmac_f64_e32 v[10:11], v[22:23], v[26:27]
	global_load_dwordx2 v[50:51], v[50:51], off
	v_lshl_add_u64 v[36:37], v[16:17], 3, s[8:9]
	v_add_u32_e32 v16, -7, v14
	v_lshl_add_u64 v[54:55], v[16:17], 3, s[8:9]
	v_add_u32_e32 v16, -6, v14
	global_load_dwordx2 v[56:57], v[36:37], off
	global_load_dwordx2 v[58:59], v[54:55], off
	v_lshl_add_u64 v[36:37], v[16:17], 3, s[8:9]
	v_add_u32_e32 v16, -5, v14
	v_lshl_add_u64 v[54:55], v[16:17], 3, s[8:9]
	v_add_u32_e32 v16, 4, v34
	v_lshl_add_u64 v[34:35], v[16:17], 3, s[10:11]
	v_add_u32_e32 v16, -4, v14
	v_lshl_add_u64 v[22:23], v[16:17], 3, s[8:9]
	v_add_u32_e32 v16, -3, v14
	v_fmac_f64_e32 v[8:9], v[24:25], v[26:27]
	v_lshl_add_u64 v[24:25], v[16:17], 3, s[8:9]
	v_add_u32_e32 v16, -2, v14
	v_fmac_f64_e32 v[0:1], v[40:41], v[26:27]
	v_lshl_add_u64 v[26:27], v[16:17], 3, s[8:9]
	v_add_u32_e32 v16, -1, v14
	global_load_dwordx2 v[60:61], v[36:37], off
	global_load_dwordx2 v[62:63], v[54:55], off
	v_fmac_f64_e32 v[10:11], v[42:43], v[28:29]
	global_load_dwordx4 v[34:37], v[34:35], off
	v_fmac_f64_e32 v[8:9], v[44:45], v[28:29]
	global_load_dwordx2 v[22:23], v[22:23], off
	s_nop 0
	global_load_dwordx2 v[40:41], v[24:25], off
	global_load_dwordx2 v[54:55], v[26:27], off
	v_lshl_add_u64 v[24:25], v[16:17], 3, s[8:9]
	global_load_dwordx2 v[24:25], v[24:25], off
	v_fmac_f64_e32 v[0:1], v[46:47], v[28:29]
	s_waitcnt vmcnt(11)
	v_fmac_f64_e32 v[10:11], v[48:49], v[30:31]
	s_waitcnt vmcnt(10)
	v_fmac_f64_e32 v[8:9], v[52:53], v[30:31]
	v_add_u32_e32 v14, 0x480, v14
	s_waitcnt vmcnt(9)
	v_fmac_f64_e32 v[0:1], v[50:51], v[30:31]
	s_waitcnt vmcnt(8)
	v_fmac_f64_e32 v[10:11], v[56:57], v[32:33]
	;; [unrolled: 2-line block ×8, first 2 shown]
	v_fmac_f64_e32 v[0:1], v[38:39], v[36:37]
	s_waitcnt vmcnt(0)
	v_fmac_f64_e32 v[8:9], v[24:25], v[36:37]
	s_andn2_b64 exec, exec, s[16:17]
	s_cbranch_execnz .LBB61_9
; %bb.10:
	s_or_b64 exec, exec, s[16:17]
.LBB61_11:
	s_or_b64 exec, exec, s[14:15]
	s_andn2_b64 vcc, exec, s[4:5]
	s_cbranch_vccz .LBB61_13
	s_branch .LBB61_18
.LBB61_12:
                                        ; implicit-def: $vgpr10_vgpr11
                                        ; implicit-def: $vgpr0_vgpr1
                                        ; implicit-def: $vgpr8_vgpr9
.LBB61_13:
	v_mov_b64_e32 v[10:11], 0
	v_mov_b64_e32 v[0:1], v[10:11]
	;; [unrolled: 1-line block ×3, first 2 shown]
	s_and_saveexec_b64 s[4:5], s[2:3]
	s_cbranch_execz .LBB61_17
; %bb.14:
	v_mad_u64_u32 v[14:15], s[2:3], v12, 18, 17
	v_mov_b64_e32 v[10:11], 0
	s_mov_b64 s[2:3], 0
	v_mov_b32_e32 v17, 0
	v_mov_b64_e32 v[0:1], v[10:11]
	v_mov_b64_e32 v[8:9], v[10:11]
.LBB61_15:                              ; =>This Inner Loop Header: Depth=1
	v_ashrrev_i32_e32 v13, 31, v12
	v_subrev_u32_e32 v16, 17, v14
	v_add_u32_e32 v22, -5, v14
	v_mov_b32_e32 v23, v17
	v_lshl_add_u64 v[26:27], v[12:13], 2, s[6:7]
	v_lshl_add_u64 v[28:29], v[16:17], 3, s[8:9]
	;; [unrolled: 1-line block ×3, first 2 shown]
	global_load_dword v13, v[26:27], off
	global_load_dwordx4 v[22:25], v[28:29], off
	v_add_u32_e32 v18, -11, v14
	v_mov_b32_e32 v19, v17
	v_mov_b32_e32 v15, v17
	v_add_u32_e32 v16, -10, v14
	v_mov_b32_e32 v35, v17
	v_lshl_add_u64 v[18:19], v[18:19], 3, s[8:9]
	v_lshl_add_u64 v[32:33], v[14:15], 3, s[8:9]
	;; [unrolled: 1-line block ×3, first 2 shown]
	v_add_u32_e32 v16, -4, v14
	global_load_dwordx2 v[38:39], v[32:33], off
	global_load_dwordx2 v[40:41], v[18:19], off
	;; [unrolled: 1-line block ×3, first 2 shown]
	v_lshl_add_u64 v[18:19], v[16:17], 3, s[8:9]
	global_load_dwordx2 v[44:45], v[26:27], off
	global_load_dwordx2 v[46:47], v[18:19], off
	v_add_u32_e32 v16, -15, v14
	v_lshl_add_u64 v[18:19], v[16:17], 3, s[8:9]
	global_load_dwordx2 v[18:19], v[18:19], off
	v_add_u32_e32 v12, 64, v12
	v_cmp_ge_i32_e32 vcc, v12, v20
	s_or_b64 s[2:3], vcc, s[2:3]
	s_waitcnt vmcnt(7)
	v_subrev_u32_e32 v13, s12, v13
	v_mul_lo_u32 v34, v13, 6
	v_lshl_add_u64 v[26:27], v[34:35], 3, s[10:11]
	global_load_dwordx4 v[26:29], v[26:27], off
	v_add_u32_e32 v16, 2, v34
	v_lshl_add_u64 v[30:31], v[16:17], 3, s[10:11]
	global_load_dwordx4 v[30:33], v[30:31], off
	v_add_u32_e32 v16, -9, v14
	v_lshl_add_u64 v[36:37], v[16:17], 3, s[8:9]
	v_add_u32_e32 v16, -3, v14
	v_lshl_add_u64 v[48:49], v[16:17], 3, s[8:9]
	v_add_u32_e32 v16, -14, v14
	global_load_dwordx2 v[50:51], v[36:37], off
	s_waitcnt vmcnt(2)
	v_fmac_f64_e32 v[10:11], v[22:23], v[26:27]
	global_load_dwordx2 v[48:49], v[48:49], off
	v_lshl_add_u64 v[36:37], v[16:17], 3, s[8:9]
	v_add_u32_e32 v16, -8, v14
	v_lshl_add_u64 v[52:53], v[16:17], 3, s[8:9]
	v_add_u32_e32 v16, -2, v14
	global_load_dwordx2 v[54:55], v[36:37], off
	global_load_dwordx2 v[56:57], v[52:53], off
	v_lshl_add_u64 v[36:37], v[16:17], 3, s[8:9]
	v_add_u32_e32 v16, -13, v14
	v_lshl_add_u64 v[52:53], v[16:17], 3, s[8:9]
	v_add_u32_e32 v16, 4, v34
	v_lshl_add_u64 v[34:35], v[16:17], 3, s[10:11]
	v_add_u32_e32 v16, -7, v14
	v_lshl_add_u64 v[22:23], v[16:17], 3, s[8:9]
	v_add_u32_e32 v16, -1, v14
	v_fmac_f64_e32 v[10:11], v[24:25], v[28:29]
	v_lshl_add_u64 v[24:25], v[16:17], 3, s[8:9]
	v_add_u32_e32 v16, -12, v14
	v_fmac_f64_e32 v[8:9], v[40:41], v[26:27]
	v_lshl_add_u64 v[40:41], v[16:17], 3, s[8:9]
	v_add_u32_e32 v16, -6, v14
	global_load_dwordx2 v[58:59], v[36:37], off
	global_load_dwordx2 v[60:61], v[52:53], off
	v_fmac_f64_e32 v[0:1], v[42:43], v[26:27]
	global_load_dwordx4 v[34:37], v[34:35], off
	v_fmac_f64_e32 v[8:9], v[44:45], v[28:29]
	global_load_dwordx2 v[22:23], v[22:23], off
	s_nop 0
	global_load_dwordx2 v[52:53], v[24:25], off
	global_load_dwordx2 v[62:63], v[40:41], off
	v_lshl_add_u64 v[24:25], v[16:17], 3, s[8:9]
	global_load_dwordx2 v[24:25], v[24:25], off
	v_fmac_f64_e32 v[0:1], v[46:47], v[28:29]
	s_waitcnt vmcnt(11)
	v_fmac_f64_e32 v[10:11], v[18:19], v[30:31]
	s_waitcnt vmcnt(10)
	v_fmac_f64_e32 v[8:9], v[50:51], v[30:31]
	v_add_u32_e32 v14, 0x480, v14
	s_waitcnt vmcnt(9)
	v_fmac_f64_e32 v[0:1], v[48:49], v[30:31]
	s_waitcnt vmcnt(8)
	v_fmac_f64_e32 v[10:11], v[54:55], v[32:33]
	;; [unrolled: 2-line block ×8, first 2 shown]
	v_fmac_f64_e32 v[0:1], v[38:39], v[36:37]
	s_waitcnt vmcnt(0)
	v_fmac_f64_e32 v[8:9], v[24:25], v[36:37]
	s_andn2_b64 exec, exec, s[2:3]
	s_cbranch_execnz .LBB61_15
; %bb.16:
	s_or_b64 exec, exec, s[2:3]
.LBB61_17:
	s_or_b64 exec, exec, s[4:5]
.LBB61_18:
	v_mov_b32_dpp v12, v10 row_shr:1 row_mask:0xf bank_mask:0xf
	v_mov_b32_dpp v13, v11 row_shr:1 row_mask:0xf bank_mask:0xf
	v_mov_b32_dpp v14, v8 row_shr:1 row_mask:0xf bank_mask:0xf
	v_mov_b32_dpp v15, v9 row_shr:1 row_mask:0xf bank_mask:0xf
	v_mov_b32_dpp v16, v0 row_shr:1 row_mask:0xf bank_mask:0xf
	v_mov_b32_dpp v17, v1 row_shr:1 row_mask:0xf bank_mask:0xf
	v_add_f64 v[10:11], v[10:11], v[12:13]
	v_add_f64 v[8:9], v[8:9], v[14:15]
	v_add_f64 v[0:1], v[0:1], v[16:17]
	v_mov_b32_dpp v12, v10 row_shr:2 row_mask:0xf bank_mask:0xf
	v_mov_b32_dpp v13, v11 row_shr:2 row_mask:0xf bank_mask:0xf
	v_mov_b32_dpp v14, v8 row_shr:2 row_mask:0xf bank_mask:0xf
	v_mov_b32_dpp v15, v9 row_shr:2 row_mask:0xf bank_mask:0xf
	v_mov_b32_dpp v16, v0 row_shr:2 row_mask:0xf bank_mask:0xf
	v_mov_b32_dpp v17, v1 row_shr:2 row_mask:0xf bank_mask:0xf
	v_add_f64 v[10:11], v[10:11], v[12:13]
	v_add_f64 v[8:9], v[8:9], v[14:15]
	v_add_f64 v[0:1], v[0:1], v[16:17]
	;; [unrolled: 9-line block ×4, first 2 shown]
	v_mov_b32_dpp v12, v10 row_bcast:15 row_mask:0xa bank_mask:0xf
	v_mov_b32_dpp v13, v11 row_bcast:15 row_mask:0xa bank_mask:0xf
	;; [unrolled: 1-line block ×6, first 2 shown]
	v_add_f64 v[10:11], v[10:11], v[12:13]
	v_add_f64 v[8:9], v[8:9], v[14:15]
	;; [unrolled: 1-line block ×3, first 2 shown]
	v_mov_b32_dpp v12, v10 row_bcast:31 row_mask:0xc bank_mask:0xf
	v_mov_b32_dpp v13, v11 row_bcast:31 row_mask:0xc bank_mask:0xf
	;; [unrolled: 1-line block ×6, first 2 shown]
	v_cmp_eq_u32_e32 vcc, 63, v7
	s_and_b64 exec, exec, vcc
	s_cbranch_execz .LBB61_23
; %bb.19:
	s_load_dwordx2 s[0:1], s[0:1], 0x38
	v_add_f64 v[10:11], v[10:11], v[12:13]
	v_add_f64 v[8:9], v[8:9], v[14:15]
	;; [unrolled: 1-line block ×3, first 2 shown]
	v_cmp_eq_f64_e32 vcc, 0, v[4:5]
	s_and_saveexec_b64 s[2:3], vcc
	s_xor_b64 s[2:3], exec, s[2:3]
	s_cbranch_execz .LBB61_21
; %bb.20:
	v_lshl_add_u32 v6, v6, 1, v6
	v_ashrrev_i32_e32 v7, 31, v6
	v_mul_f64 v[4:5], v[2:3], v[10:11]
	s_waitcnt lgkmcnt(0)
	v_lshl_add_u64 v[10:11], v[6:7], 3, s[0:1]
	v_mul_f64 v[6:7], v[2:3], v[8:9]
	v_mul_f64 v[0:1], v[2:3], v[0:1]
	global_store_dwordx4 v[10:11], v[4:7], off
	global_store_dwordx2 v[10:11], v[0:1], off offset:16
                                        ; implicit-def: $vgpr6
                                        ; implicit-def: $vgpr2_vgpr3
                                        ; implicit-def: $vgpr10_vgpr11
                                        ; implicit-def: $vgpr4_vgpr5
                                        ; implicit-def: $vgpr8_vgpr9
                                        ; implicit-def: $vgpr0_vgpr1
.LBB61_21:
	s_andn2_saveexec_b64 s[2:3], s[2:3]
	s_cbranch_execz .LBB61_23
; %bb.22:
	v_lshl_add_u32 v6, v6, 1, v6
	v_ashrrev_i32_e32 v7, 31, v6
	s_waitcnt lgkmcnt(0)
	v_lshl_add_u64 v[16:17], v[6:7], 3, s[0:1]
	global_load_dwordx4 v[12:15], v[16:17], off
	global_load_dwordx2 v[18:19], v[16:17], off offset:16
	v_mul_f64 v[6:7], v[2:3], v[10:11]
	v_mul_f64 v[8:9], v[2:3], v[8:9]
	;; [unrolled: 1-line block ×3, first 2 shown]
	s_waitcnt vmcnt(1)
	v_fmac_f64_e32 v[6:7], v[4:5], v[12:13]
	v_fmac_f64_e32 v[8:9], v[4:5], v[14:15]
	s_waitcnt vmcnt(0)
	v_fmac_f64_e32 v[0:1], v[4:5], v[18:19]
	global_store_dwordx4 v[16:17], v[6:9], off
	global_store_dwordx2 v[16:17], v[0:1], off offset:16
.LBB61_23:
	s_endpgm
	.section	.rodata,"a",@progbits
	.p2align	6, 0x0
	.amdhsa_kernel _ZN9rocsparseL19gebsrmvn_3xn_kernelILj128ELj6ELj64EdEEvi20rocsparse_direction_NS_24const_host_device_scalarIT2_EEPKiS6_PKS3_S8_S4_PS3_21rocsparse_index_base_b
		.amdhsa_group_segment_fixed_size 0
		.amdhsa_private_segment_fixed_size 0
		.amdhsa_kernarg_size 72
		.amdhsa_user_sgpr_count 2
		.amdhsa_user_sgpr_dispatch_ptr 0
		.amdhsa_user_sgpr_queue_ptr 0
		.amdhsa_user_sgpr_kernarg_segment_ptr 1
		.amdhsa_user_sgpr_dispatch_id 0
		.amdhsa_user_sgpr_kernarg_preload_length 0
		.amdhsa_user_sgpr_kernarg_preload_offset 0
		.amdhsa_user_sgpr_private_segment_size 0
		.amdhsa_uses_dynamic_stack 0
		.amdhsa_enable_private_segment 0
		.amdhsa_system_sgpr_workgroup_id_x 1
		.amdhsa_system_sgpr_workgroup_id_y 0
		.amdhsa_system_sgpr_workgroup_id_z 0
		.amdhsa_system_sgpr_workgroup_info 0
		.amdhsa_system_vgpr_workitem_id 0
		.amdhsa_next_free_vgpr 64
		.amdhsa_next_free_sgpr 18
		.amdhsa_accum_offset 64
		.amdhsa_reserve_vcc 1
		.amdhsa_float_round_mode_32 0
		.amdhsa_float_round_mode_16_64 0
		.amdhsa_float_denorm_mode_32 3
		.amdhsa_float_denorm_mode_16_64 3
		.amdhsa_dx10_clamp 1
		.amdhsa_ieee_mode 1
		.amdhsa_fp16_overflow 0
		.amdhsa_tg_split 0
		.amdhsa_exception_fp_ieee_invalid_op 0
		.amdhsa_exception_fp_denorm_src 0
		.amdhsa_exception_fp_ieee_div_zero 0
		.amdhsa_exception_fp_ieee_overflow 0
		.amdhsa_exception_fp_ieee_underflow 0
		.amdhsa_exception_fp_ieee_inexact 0
		.amdhsa_exception_int_div_zero 0
	.end_amdhsa_kernel
	.section	.text._ZN9rocsparseL19gebsrmvn_3xn_kernelILj128ELj6ELj64EdEEvi20rocsparse_direction_NS_24const_host_device_scalarIT2_EEPKiS6_PKS3_S8_S4_PS3_21rocsparse_index_base_b,"axG",@progbits,_ZN9rocsparseL19gebsrmvn_3xn_kernelILj128ELj6ELj64EdEEvi20rocsparse_direction_NS_24const_host_device_scalarIT2_EEPKiS6_PKS3_S8_S4_PS3_21rocsparse_index_base_b,comdat
.Lfunc_end61:
	.size	_ZN9rocsparseL19gebsrmvn_3xn_kernelILj128ELj6ELj64EdEEvi20rocsparse_direction_NS_24const_host_device_scalarIT2_EEPKiS6_PKS3_S8_S4_PS3_21rocsparse_index_base_b, .Lfunc_end61-_ZN9rocsparseL19gebsrmvn_3xn_kernelILj128ELj6ELj64EdEEvi20rocsparse_direction_NS_24const_host_device_scalarIT2_EEPKiS6_PKS3_S8_S4_PS3_21rocsparse_index_base_b
                                        ; -- End function
	.section	.AMDGPU.csdata,"",@progbits
; Kernel info:
; codeLenInByte = 2180
; NumSgprs: 24
; NumVgprs: 64
; NumAgprs: 0
; TotalNumVgprs: 64
; ScratchSize: 0
; MemoryBound: 0
; FloatMode: 240
; IeeeMode: 1
; LDSByteSize: 0 bytes/workgroup (compile time only)
; SGPRBlocks: 2
; VGPRBlocks: 7
; NumSGPRsForWavesPerEU: 24
; NumVGPRsForWavesPerEU: 64
; AccumOffset: 64
; Occupancy: 8
; WaveLimiterHint : 1
; COMPUTE_PGM_RSRC2:SCRATCH_EN: 0
; COMPUTE_PGM_RSRC2:USER_SGPR: 2
; COMPUTE_PGM_RSRC2:TRAP_HANDLER: 0
; COMPUTE_PGM_RSRC2:TGID_X_EN: 1
; COMPUTE_PGM_RSRC2:TGID_Y_EN: 0
; COMPUTE_PGM_RSRC2:TGID_Z_EN: 0
; COMPUTE_PGM_RSRC2:TIDIG_COMP_CNT: 0
; COMPUTE_PGM_RSRC3_GFX90A:ACCUM_OFFSET: 15
; COMPUTE_PGM_RSRC3_GFX90A:TG_SPLIT: 0
	.section	.text._ZN9rocsparseL19gebsrmvn_3xn_kernelILj128ELj7ELj4EdEEvi20rocsparse_direction_NS_24const_host_device_scalarIT2_EEPKiS6_PKS3_S8_S4_PS3_21rocsparse_index_base_b,"axG",@progbits,_ZN9rocsparseL19gebsrmvn_3xn_kernelILj128ELj7ELj4EdEEvi20rocsparse_direction_NS_24const_host_device_scalarIT2_EEPKiS6_PKS3_S8_S4_PS3_21rocsparse_index_base_b,comdat
	.globl	_ZN9rocsparseL19gebsrmvn_3xn_kernelILj128ELj7ELj4EdEEvi20rocsparse_direction_NS_24const_host_device_scalarIT2_EEPKiS6_PKS3_S8_S4_PS3_21rocsparse_index_base_b ; -- Begin function _ZN9rocsparseL19gebsrmvn_3xn_kernelILj128ELj7ELj4EdEEvi20rocsparse_direction_NS_24const_host_device_scalarIT2_EEPKiS6_PKS3_S8_S4_PS3_21rocsparse_index_base_b
	.p2align	8
	.type	_ZN9rocsparseL19gebsrmvn_3xn_kernelILj128ELj7ELj4EdEEvi20rocsparse_direction_NS_24const_host_device_scalarIT2_EEPKiS6_PKS3_S8_S4_PS3_21rocsparse_index_base_b,@function
_ZN9rocsparseL19gebsrmvn_3xn_kernelILj128ELj7ELj4EdEEvi20rocsparse_direction_NS_24const_host_device_scalarIT2_EEPKiS6_PKS3_S8_S4_PS3_21rocsparse_index_base_b: ; @_ZN9rocsparseL19gebsrmvn_3xn_kernelILj128ELj7ELj4EdEEvi20rocsparse_direction_NS_24const_host_device_scalarIT2_EEPKiS6_PKS3_S8_S4_PS3_21rocsparse_index_base_b
; %bb.0:
	s_load_dwordx2 s[12:13], s[0:1], 0x40
	s_load_dwordx2 s[8:9], s[0:1], 0x8
	;; [unrolled: 1-line block ×3, first 2 shown]
	s_waitcnt lgkmcnt(0)
	s_bitcmp1_b32 s13, 0
	s_cselect_b64 s[10:11], -1, 0
	s_xor_b64 s[6:7], s[10:11], -1
	s_and_b64 vcc, exec, s[10:11]
	v_mov_b64_e32 v[2:3], s[8:9]
	s_cbranch_vccnz .LBB62_2
; %bb.1:
	v_mov_b64_e32 v[2:3], s[8:9]
	flat_load_dwordx2 v[2:3], v[2:3]
.LBB62_2:
	s_andn2_b64 vcc, exec, s[6:7]
	v_mov_b64_e32 v[4:5], s[4:5]
	s_cbranch_vccnz .LBB62_4
; %bb.3:
	v_mov_b64_e32 v[4:5], s[4:5]
	flat_load_dwordx2 v[4:5], v[4:5]
.LBB62_4:
	s_waitcnt vmcnt(0) lgkmcnt(0)
	v_cmp_neq_f64_e32 vcc, 0, v[2:3]
	v_cmp_neq_f64_e64 s[4:5], 1.0, v[4:5]
	s_or_b64 s[4:5], vcc, s[4:5]
	s_and_saveexec_b64 s[6:7], s[4:5]
	s_cbranch_execz .LBB62_23
; %bb.5:
	s_load_dwordx2 s[14:15], s[0:1], 0x0
	v_lshrrev_b32_e32 v1, 2, v0
	v_lshl_or_b32 v6, s2, 5, v1
	s_waitcnt lgkmcnt(0)
	v_cmp_gt_i32_e32 vcc, s14, v6
	s_and_b64 exec, exec, vcc
	s_cbranch_execz .LBB62_23
; %bb.6:
	s_load_dwordx8 s[4:11], s[0:1], 0x10
	v_ashrrev_i32_e32 v7, 31, v6
	s_cmp_lg_u32 s15, 0
	s_waitcnt lgkmcnt(0)
	v_lshl_add_u64 v[8:9], v[6:7], 2, s[4:5]
	global_load_dwordx2 v[8:9], v[8:9], off
	v_and_b32_e32 v7, 3, v0
	s_waitcnt vmcnt(0)
	v_subrev_u32_e32 v0, s12, v8
	v_subrev_u32_e32 v22, s12, v9
	v_add_u32_e32 v10, v0, v7
	v_cmp_lt_i32_e64 s[2:3], v10, v22
	s_cbranch_scc0 .LBB62_12
; %bb.7:
	v_mov_b64_e32 v[0:1], 0
	s_mov_b64 s[4:5], 0
	v_mov_b64_e32 v[8:9], v[0:1]
	v_mov_b64_e32 v[12:13], v[0:1]
	s_and_saveexec_b64 s[14:15], s[2:3]
	s_cbranch_execz .LBB62_11
; %bb.8:
	v_mad_u64_u32 v[14:15], s[16:17], v10, 21, 20
	v_mov_b64_e32 v[0:1], 0
	s_mov_b64 s[16:17], 0
	v_mov_b32_e32 v17, 0
	v_mov_b32_e32 v18, v10
	v_mov_b64_e32 v[8:9], v[0:1]
	v_mov_b64_e32 v[12:13], v[0:1]
.LBB62_9:                               ; =>This Inner Loop Header: Depth=1
	v_ashrrev_i32_e32 v19, 31, v18
	v_lshl_add_u64 v[20:21], v[18:19], 2, s[6:7]
	global_load_dword v11, v[20:21], off
	v_subrev_u32_e32 v16, 20, v14
	v_lshl_add_u64 v[24:25], v[16:17], 3, s[8:9]
	v_subrev_u32_e32 v16, 19, v14
	v_lshl_add_u64 v[28:29], v[16:17], 3, s[8:9]
	;; [unrolled: 2-line block ×4, first 2 shown]
	global_load_dwordx2 v[24:25], v[24:25], off
	v_mov_b32_e32 v21, v17
	global_load_dwordx2 v[28:29], v[28:29], off
	s_nop 0
	global_load_dwordx2 v[34:35], v[30:31], off
	global_load_dwordx2 v[36:37], v[32:33], off
	v_mov_b32_e32 v15, v17
	v_lshl_add_u64 v[26:27], v[14:15], 3, s[8:9]
	v_add_u32_e32 v18, 4, v18
	v_cmp_ge_i32_e32 vcc, v18, v22
	s_or_b64 s[16:17], vcc, s[16:17]
	s_waitcnt vmcnt(4)
	v_subrev_u32_e32 v11, s12, v11
	v_mul_lo_u32 v20, v11, 7
	v_add_u32_e32 v16, 1, v20
	v_lshl_add_u64 v[32:33], v[16:17], 3, s[10:11]
	v_add_u32_e32 v16, -16, v14
	v_lshl_add_u64 v[38:39], v[16:17], 3, s[8:9]
	v_add_u32_e32 v16, -15, v14
	v_lshl_add_u64 v[40:41], v[16:17], 3, s[8:9]
	v_add_u32_e32 v16, -14, v14
	v_lshl_add_u64 v[30:31], v[20:21], 3, s[10:11]
	v_lshl_add_u64 v[42:43], v[16:17], 3, s[8:9]
	v_add_u32_e32 v16, 2, v20
	global_load_dwordx2 v[30:31], v[30:31], off
	s_nop 0
	global_load_dwordx2 v[32:33], v[32:33], off
	s_waitcnt vmcnt(1)
	v_fmac_f64_e32 v[0:1], v[24:25], v[30:31]
	global_load_dwordx2 v[38:39], v[38:39], off
	s_nop 0
	global_load_dwordx2 v[44:45], v[40:41], off
	global_load_dwordx2 v[46:47], v[42:43], off
	v_lshl_add_u64 v[40:41], v[16:17], 3, s[10:11]
	v_add_u32_e32 v16, -13, v14
	v_lshl_add_u64 v[42:43], v[16:17], 3, s[8:9]
	v_add_u32_e32 v16, -12, v14
	v_lshl_add_u64 v[48:49], v[16:17], 3, s[8:9]
	v_add_u32_e32 v16, -11, v14
	v_lshl_add_u64 v[50:51], v[16:17], 3, s[8:9]
	v_add_u32_e32 v16, 3, v20
	global_load_dwordx2 v[40:41], v[40:41], off
	v_fmac_f64_e32 v[12:13], v[28:29], v[30:31]
	global_load_dwordx2 v[42:43], v[42:43], off
	s_nop 0
	global_load_dwordx2 v[52:53], v[48:49], off
	global_load_dwordx2 v[54:55], v[50:51], off
	v_lshl_add_u64 v[48:49], v[16:17], 3, s[10:11]
	v_add_u32_e32 v16, -10, v14
	v_lshl_add_u64 v[50:51], v[16:17], 3, s[8:9]
	v_add_u32_e32 v16, -9, v14
	v_lshl_add_u64 v[56:57], v[16:17], 3, s[8:9]
	v_add_u32_e32 v16, -8, v14
	v_lshl_add_u64 v[58:59], v[16:17], 3, s[8:9]
	v_add_u32_e32 v16, 4, v20
	global_load_dwordx2 v[48:49], v[48:49], off
	;; [unrolled: 14-line block ×3, first 2 shown]
	s_waitcnt vmcnt(12)
	v_fmac_f64_e32 v[0:1], v[36:37], v[32:33]
	global_load_dwordx2 v[58:59], v[58:59], off
	s_nop 0
	global_load_dwordx2 v[68:69], v[64:65], off
	global_load_dwordx2 v[70:71], v[66:67], off
	v_lshl_add_u64 v[64:65], v[16:17], 3, s[10:11]
	v_add_u32_e32 v16, -4, v14
	v_lshl_add_u64 v[66:67], v[16:17], 3, s[8:9]
	v_add_u32_e32 v16, -3, v14
	;; [unrolled: 2-line block ×3, first 2 shown]
	v_lshl_add_u64 v[74:75], v[16:17], 3, s[8:9]
	v_add_u32_e32 v16, 6, v20
	global_load_dwordx2 v[64:65], v[64:65], off
	s_waitcnt vmcnt(15)
	v_fmac_f64_e32 v[12:13], v[38:39], v[32:33]
	global_load_dwordx2 v[66:67], v[66:67], off
	s_nop 0
	global_load_dwordx2 v[20:21], v[72:73], off
	global_load_dwordx2 v[76:77], v[74:75], off
	v_lshl_add_u64 v[72:73], v[16:17], 3, s[10:11]
	v_add_u32_e32 v16, -1, v14
	v_lshl_add_u64 v[74:75], v[16:17], 3, s[8:9]
	global_load_dwordx2 v[72:73], v[72:73], off
	s_nop 0
	global_load_dwordx2 v[78:79], v[74:75], off
	global_load_dwordx2 v[80:81], v[26:27], off
	s_waitcnt vmcnt(20)
	v_fmac_f64_e32 v[8:9], v[44:45], v[32:33]
	v_add_u32_e32 v14, 0x54, v14
	s_waitcnt vmcnt(18)
	v_fmac_f64_e32 v[0:1], v[46:47], v[40:41]
	s_waitcnt vmcnt(17)
	v_fmac_f64_e32 v[12:13], v[42:43], v[40:41]
	;; [unrolled: 2-line block ×15, first 2 shown]
	s_andn2_b64 exec, exec, s[16:17]
	s_cbranch_execnz .LBB62_9
; %bb.10:
	s_or_b64 exec, exec, s[16:17]
.LBB62_11:
	s_or_b64 exec, exec, s[14:15]
	s_andn2_b64 vcc, exec, s[4:5]
	s_cbranch_vccz .LBB62_13
	s_branch .LBB62_18
.LBB62_12:
                                        ; implicit-def: $vgpr0_vgpr1
                                        ; implicit-def: $vgpr8_vgpr9
                                        ; implicit-def: $vgpr12_vgpr13
.LBB62_13:
	v_mov_b64_e32 v[0:1], 0
	v_mov_b64_e32 v[8:9], v[0:1]
	;; [unrolled: 1-line block ×3, first 2 shown]
	s_and_saveexec_b64 s[4:5], s[2:3]
	s_cbranch_execz .LBB62_17
; %bb.14:
	v_mad_u64_u32 v[14:15], s[2:3], v10, 21, 20
	v_mov_b64_e32 v[0:1], 0
	s_mov_b64 s[2:3], 0
	v_mov_b32_e32 v17, 0
	v_mov_b64_e32 v[8:9], v[0:1]
	v_mov_b64_e32 v[12:13], v[0:1]
.LBB62_15:                              ; =>This Inner Loop Header: Depth=1
	v_ashrrev_i32_e32 v11, 31, v10
	v_lshl_add_u64 v[18:19], v[10:11], 2, s[6:7]
	global_load_dword v11, v[18:19], off
	v_subrev_u32_e32 v16, 20, v14
	v_add_u32_e32 v18, -13, v14
	v_mov_b32_e32 v19, v17
	v_add_u32_e32 v20, -6, v14
	v_mov_b32_e32 v25, v17
	v_mov_b32_e32 v21, v17
	v_lshl_add_u64 v[26:27], v[16:17], 3, s[8:9]
	v_lshl_add_u64 v[18:19], v[18:19], 3, s[8:9]
	v_subrev_u32_e32 v16, 19, v14
	v_lshl_add_u64 v[20:21], v[20:21], 3, s[8:9]
	global_load_dwordx2 v[26:27], v[26:27], off
	v_lshl_add_u64 v[30:31], v[16:17], 3, s[8:9]
	global_load_dwordx2 v[32:33], v[18:19], off
	global_load_dwordx2 v[34:35], v[20:21], off
	;; [unrolled: 1-line block ×3, first 2 shown]
	v_mov_b32_e32 v15, v17
	v_lshl_add_u64 v[28:29], v[14:15], 3, s[8:9]
	v_add_u32_e32 v10, 4, v10
	v_cmp_ge_i32_e32 vcc, v10, v22
	s_or_b64 s[2:3], vcc, s[2:3]
	s_waitcnt vmcnt(4)
	v_subrev_u32_e32 v11, s12, v11
	v_mul_lo_u32 v24, v11, 7
	v_lshl_add_u64 v[18:19], v[24:25], 3, s[10:11]
	global_load_dwordx2 v[18:19], v[18:19], off
	v_add_u32_e32 v16, 1, v24
	v_lshl_add_u64 v[20:21], v[16:17], 3, s[10:11]
	global_load_dwordx2 v[20:21], v[20:21], off
	v_add_u32_e32 v16, -12, v14
	v_lshl_add_u64 v[30:31], v[16:17], 3, s[8:9]
	v_add_u32_e32 v16, -5, v14
	v_lshl_add_u64 v[38:39], v[16:17], 3, s[8:9]
	v_subrev_u32_e32 v16, 18, v14
	v_lshl_add_u64 v[40:41], v[16:17], 3, s[8:9]
	v_add_u32_e32 v16, 2, v24
	global_load_dwordx2 v[30:31], v[30:31], off
	s_nop 0
	global_load_dwordx2 v[42:43], v[38:39], off
	global_load_dwordx2 v[44:45], v[40:41], off
	v_lshl_add_u64 v[38:39], v[16:17], 3, s[10:11]
	v_add_u32_e32 v16, -11, v14
	v_lshl_add_u64 v[40:41], v[16:17], 3, s[8:9]
	v_add_u32_e32 v16, -4, v14
	v_lshl_add_u64 v[46:47], v[16:17], 3, s[8:9]
	v_subrev_u32_e32 v16, 17, v14
	v_lshl_add_u64 v[48:49], v[16:17], 3, s[8:9]
	v_add_u32_e32 v16, 3, v24
	global_load_dwordx2 v[38:39], v[38:39], off
	s_waitcnt vmcnt(5)
	v_fmac_f64_e32 v[0:1], v[26:27], v[18:19]
	global_load_dwordx2 v[40:41], v[40:41], off
	s_nop 0
	global_load_dwordx2 v[50:51], v[46:47], off
	global_load_dwordx2 v[52:53], v[48:49], off
	v_lshl_add_u64 v[46:47], v[16:17], 3, s[10:11]
	v_add_u32_e32 v16, -10, v14
	v_lshl_add_u64 v[48:49], v[16:17], 3, s[8:9]
	v_add_u32_e32 v16, -3, v14
	v_lshl_add_u64 v[54:55], v[16:17], 3, s[8:9]
	v_add_u32_e32 v16, -16, v14
	v_lshl_add_u64 v[56:57], v[16:17], 3, s[8:9]
	v_add_u32_e32 v16, 4, v24
	global_load_dwordx2 v[46:47], v[46:47], off
	v_fmac_f64_e32 v[12:13], v[32:33], v[18:19]
	global_load_dwordx2 v[48:49], v[48:49], off
	s_nop 0
	global_load_dwordx2 v[58:59], v[54:55], off
	global_load_dwordx2 v[60:61], v[56:57], off
	v_lshl_add_u64 v[54:55], v[16:17], 3, s[10:11]
	v_add_u32_e32 v16, -9, v14
	v_lshl_add_u64 v[56:57], v[16:17], 3, s[8:9]
	v_add_u32_e32 v16, -2, v14
	v_lshl_add_u64 v[62:63], v[16:17], 3, s[8:9]
	v_add_u32_e32 v16, -15, v14
	v_lshl_add_u64 v[64:65], v[16:17], 3, s[8:9]
	v_add_u32_e32 v16, 5, v24
	global_load_dwordx2 v[54:55], v[54:55], off
	;; [unrolled: 14-line block ×3, first 2 shown]
	s_waitcnt vmcnt(16)
	v_fmac_f64_e32 v[0:1], v[36:37], v[20:21]
	global_load_dwordx2 v[64:65], v[64:65], off
	s_nop 0
	global_load_dwordx2 v[24:25], v[70:71], off
	global_load_dwordx2 v[74:75], v[72:73], off
	v_lshl_add_u64 v[70:71], v[16:17], 3, s[10:11]
	v_add_u32_e32 v16, -7, v14
	v_lshl_add_u64 v[26:27], v[16:17], 3, s[8:9]
	global_load_dwordx2 v[70:71], v[70:71], off
	s_nop 0
	global_load_dwordx2 v[72:73], v[26:27], off
	global_load_dwordx2 v[76:77], v[28:29], off
	s_waitcnt vmcnt(21)
	v_fmac_f64_e32 v[12:13], v[30:31], v[20:21]
	s_waitcnt vmcnt(20)
	v_fmac_f64_e32 v[8:9], v[42:43], v[20:21]
	;; [unrolled: 2-line block ×3, first 2 shown]
	v_add_u32_e32 v14, 0x54, v14
	s_waitcnt vmcnt(17)
	v_fmac_f64_e32 v[12:13], v[40:41], v[38:39]
	s_waitcnt vmcnt(16)
	v_fmac_f64_e32 v[8:9], v[50:51], v[38:39]
	;; [unrolled: 2-line block ×14, first 2 shown]
	s_andn2_b64 exec, exec, s[2:3]
	s_cbranch_execnz .LBB62_15
; %bb.16:
	s_or_b64 exec, exec, s[2:3]
.LBB62_17:
	s_or_b64 exec, exec, s[4:5]
.LBB62_18:
	v_mov_b32_dpp v10, v0 row_shr:1 row_mask:0xf bank_mask:0xf
	v_mov_b32_dpp v11, v1 row_shr:1 row_mask:0xf bank_mask:0xf
	;; [unrolled: 1-line block ×6, first 2 shown]
	v_add_f64 v[0:1], v[0:1], v[10:11]
	v_add_f64 v[12:13], v[12:13], v[14:15]
	;; [unrolled: 1-line block ×3, first 2 shown]
	v_mov_b32_dpp v10, v0 row_shr:2 row_mask:0xf bank_mask:0xf
	v_mov_b32_dpp v11, v1 row_shr:2 row_mask:0xf bank_mask:0xf
	;; [unrolled: 1-line block ×6, first 2 shown]
	v_cmp_eq_u32_e32 vcc, 3, v7
	s_and_b64 exec, exec, vcc
	s_cbranch_execz .LBB62_23
; %bb.19:
	s_load_dwordx2 s[0:1], s[0:1], 0x38
	v_add_f64 v[10:11], v[0:1], v[10:11]
	v_add_f64 v[8:9], v[12:13], v[14:15]
	;; [unrolled: 1-line block ×3, first 2 shown]
	v_cmp_eq_f64_e32 vcc, 0, v[4:5]
	s_and_saveexec_b64 s[2:3], vcc
	s_xor_b64 s[2:3], exec, s[2:3]
	s_cbranch_execz .LBB62_21
; %bb.20:
	v_lshl_add_u32 v6, v6, 1, v6
	v_ashrrev_i32_e32 v7, 31, v6
	v_mul_f64 v[4:5], v[2:3], v[10:11]
	s_waitcnt lgkmcnt(0)
	v_lshl_add_u64 v[10:11], v[6:7], 3, s[0:1]
	v_mul_f64 v[6:7], v[2:3], v[8:9]
	v_mul_f64 v[0:1], v[2:3], v[0:1]
	global_store_dwordx4 v[10:11], v[4:7], off
	global_store_dwordx2 v[10:11], v[0:1], off offset:16
                                        ; implicit-def: $vgpr6
                                        ; implicit-def: $vgpr2_vgpr3
                                        ; implicit-def: $vgpr10_vgpr11
                                        ; implicit-def: $vgpr4_vgpr5
                                        ; implicit-def: $vgpr8_vgpr9
                                        ; implicit-def: $vgpr0_vgpr1
.LBB62_21:
	s_andn2_saveexec_b64 s[2:3], s[2:3]
	s_cbranch_execz .LBB62_23
; %bb.22:
	v_lshl_add_u32 v6, v6, 1, v6
	v_ashrrev_i32_e32 v7, 31, v6
	s_waitcnt lgkmcnt(0)
	v_lshl_add_u64 v[16:17], v[6:7], 3, s[0:1]
	global_load_dwordx4 v[12:15], v[16:17], off
	global_load_dwordx2 v[18:19], v[16:17], off offset:16
	v_mul_f64 v[6:7], v[2:3], v[10:11]
	v_mul_f64 v[8:9], v[2:3], v[8:9]
	;; [unrolled: 1-line block ×3, first 2 shown]
	s_waitcnt vmcnt(1)
	v_fmac_f64_e32 v[6:7], v[4:5], v[12:13]
	v_fmac_f64_e32 v[8:9], v[4:5], v[14:15]
	s_waitcnt vmcnt(0)
	v_fmac_f64_e32 v[0:1], v[4:5], v[18:19]
	global_store_dwordx4 v[16:17], v[6:9], off
	global_store_dwordx2 v[16:17], v[0:1], off offset:16
.LBB62_23:
	s_endpgm
	.section	.rodata,"a",@progbits
	.p2align	6, 0x0
	.amdhsa_kernel _ZN9rocsparseL19gebsrmvn_3xn_kernelILj128ELj7ELj4EdEEvi20rocsparse_direction_NS_24const_host_device_scalarIT2_EEPKiS6_PKS3_S8_S4_PS3_21rocsparse_index_base_b
		.amdhsa_group_segment_fixed_size 0
		.amdhsa_private_segment_fixed_size 0
		.amdhsa_kernarg_size 72
		.amdhsa_user_sgpr_count 2
		.amdhsa_user_sgpr_dispatch_ptr 0
		.amdhsa_user_sgpr_queue_ptr 0
		.amdhsa_user_sgpr_kernarg_segment_ptr 1
		.amdhsa_user_sgpr_dispatch_id 0
		.amdhsa_user_sgpr_kernarg_preload_length 0
		.amdhsa_user_sgpr_kernarg_preload_offset 0
		.amdhsa_user_sgpr_private_segment_size 0
		.amdhsa_uses_dynamic_stack 0
		.amdhsa_enable_private_segment 0
		.amdhsa_system_sgpr_workgroup_id_x 1
		.amdhsa_system_sgpr_workgroup_id_y 0
		.amdhsa_system_sgpr_workgroup_id_z 0
		.amdhsa_system_sgpr_workgroup_info 0
		.amdhsa_system_vgpr_workitem_id 0
		.amdhsa_next_free_vgpr 82
		.amdhsa_next_free_sgpr 18
		.amdhsa_accum_offset 84
		.amdhsa_reserve_vcc 1
		.amdhsa_float_round_mode_32 0
		.amdhsa_float_round_mode_16_64 0
		.amdhsa_float_denorm_mode_32 3
		.amdhsa_float_denorm_mode_16_64 3
		.amdhsa_dx10_clamp 1
		.amdhsa_ieee_mode 1
		.amdhsa_fp16_overflow 0
		.amdhsa_tg_split 0
		.amdhsa_exception_fp_ieee_invalid_op 0
		.amdhsa_exception_fp_denorm_src 0
		.amdhsa_exception_fp_ieee_div_zero 0
		.amdhsa_exception_fp_ieee_overflow 0
		.amdhsa_exception_fp_ieee_underflow 0
		.amdhsa_exception_fp_ieee_inexact 0
		.amdhsa_exception_int_div_zero 0
	.end_amdhsa_kernel
	.section	.text._ZN9rocsparseL19gebsrmvn_3xn_kernelILj128ELj7ELj4EdEEvi20rocsparse_direction_NS_24const_host_device_scalarIT2_EEPKiS6_PKS3_S8_S4_PS3_21rocsparse_index_base_b,"axG",@progbits,_ZN9rocsparseL19gebsrmvn_3xn_kernelILj128ELj7ELj4EdEEvi20rocsparse_direction_NS_24const_host_device_scalarIT2_EEPKiS6_PKS3_S8_S4_PS3_21rocsparse_index_base_b,comdat
.Lfunc_end62:
	.size	_ZN9rocsparseL19gebsrmvn_3xn_kernelILj128ELj7ELj4EdEEvi20rocsparse_direction_NS_24const_host_device_scalarIT2_EEPKiS6_PKS3_S8_S4_PS3_21rocsparse_index_base_b, .Lfunc_end62-_ZN9rocsparseL19gebsrmvn_3xn_kernelILj128ELj7ELj4EdEEvi20rocsparse_direction_NS_24const_host_device_scalarIT2_EEPKiS6_PKS3_S8_S4_PS3_21rocsparse_index_base_b
                                        ; -- End function
	.section	.AMDGPU.csdata,"",@progbits
; Kernel info:
; codeLenInByte = 2340
; NumSgprs: 24
; NumVgprs: 82
; NumAgprs: 0
; TotalNumVgprs: 82
; ScratchSize: 0
; MemoryBound: 0
; FloatMode: 240
; IeeeMode: 1
; LDSByteSize: 0 bytes/workgroup (compile time only)
; SGPRBlocks: 2
; VGPRBlocks: 10
; NumSGPRsForWavesPerEU: 24
; NumVGPRsForWavesPerEU: 82
; AccumOffset: 84
; Occupancy: 5
; WaveLimiterHint : 1
; COMPUTE_PGM_RSRC2:SCRATCH_EN: 0
; COMPUTE_PGM_RSRC2:USER_SGPR: 2
; COMPUTE_PGM_RSRC2:TRAP_HANDLER: 0
; COMPUTE_PGM_RSRC2:TGID_X_EN: 1
; COMPUTE_PGM_RSRC2:TGID_Y_EN: 0
; COMPUTE_PGM_RSRC2:TGID_Z_EN: 0
; COMPUTE_PGM_RSRC2:TIDIG_COMP_CNT: 0
; COMPUTE_PGM_RSRC3_GFX90A:ACCUM_OFFSET: 20
; COMPUTE_PGM_RSRC3_GFX90A:TG_SPLIT: 0
	.section	.text._ZN9rocsparseL19gebsrmvn_3xn_kernelILj128ELj7ELj8EdEEvi20rocsparse_direction_NS_24const_host_device_scalarIT2_EEPKiS6_PKS3_S8_S4_PS3_21rocsparse_index_base_b,"axG",@progbits,_ZN9rocsparseL19gebsrmvn_3xn_kernelILj128ELj7ELj8EdEEvi20rocsparse_direction_NS_24const_host_device_scalarIT2_EEPKiS6_PKS3_S8_S4_PS3_21rocsparse_index_base_b,comdat
	.globl	_ZN9rocsparseL19gebsrmvn_3xn_kernelILj128ELj7ELj8EdEEvi20rocsparse_direction_NS_24const_host_device_scalarIT2_EEPKiS6_PKS3_S8_S4_PS3_21rocsparse_index_base_b ; -- Begin function _ZN9rocsparseL19gebsrmvn_3xn_kernelILj128ELj7ELj8EdEEvi20rocsparse_direction_NS_24const_host_device_scalarIT2_EEPKiS6_PKS3_S8_S4_PS3_21rocsparse_index_base_b
	.p2align	8
	.type	_ZN9rocsparseL19gebsrmvn_3xn_kernelILj128ELj7ELj8EdEEvi20rocsparse_direction_NS_24const_host_device_scalarIT2_EEPKiS6_PKS3_S8_S4_PS3_21rocsparse_index_base_b,@function
_ZN9rocsparseL19gebsrmvn_3xn_kernelILj128ELj7ELj8EdEEvi20rocsparse_direction_NS_24const_host_device_scalarIT2_EEPKiS6_PKS3_S8_S4_PS3_21rocsparse_index_base_b: ; @_ZN9rocsparseL19gebsrmvn_3xn_kernelILj128ELj7ELj8EdEEvi20rocsparse_direction_NS_24const_host_device_scalarIT2_EEPKiS6_PKS3_S8_S4_PS3_21rocsparse_index_base_b
; %bb.0:
	s_load_dwordx2 s[12:13], s[0:1], 0x40
	s_load_dwordx2 s[8:9], s[0:1], 0x8
	s_load_dwordx2 s[4:5], s[0:1], 0x30
	s_waitcnt lgkmcnt(0)
	s_bitcmp1_b32 s13, 0
	s_cselect_b64 s[10:11], -1, 0
	s_xor_b64 s[6:7], s[10:11], -1
	s_and_b64 vcc, exec, s[10:11]
	v_mov_b64_e32 v[2:3], s[8:9]
	s_cbranch_vccnz .LBB63_2
; %bb.1:
	v_mov_b64_e32 v[2:3], s[8:9]
	flat_load_dwordx2 v[2:3], v[2:3]
.LBB63_2:
	s_andn2_b64 vcc, exec, s[6:7]
	v_mov_b64_e32 v[4:5], s[4:5]
	s_cbranch_vccnz .LBB63_4
; %bb.3:
	v_mov_b64_e32 v[4:5], s[4:5]
	flat_load_dwordx2 v[4:5], v[4:5]
.LBB63_4:
	s_waitcnt vmcnt(0) lgkmcnt(0)
	v_cmp_neq_f64_e32 vcc, 0, v[2:3]
	v_cmp_neq_f64_e64 s[4:5], 1.0, v[4:5]
	s_or_b64 s[4:5], vcc, s[4:5]
	s_and_saveexec_b64 s[6:7], s[4:5]
	s_cbranch_execz .LBB63_23
; %bb.5:
	s_load_dwordx2 s[14:15], s[0:1], 0x0
	v_lshrrev_b32_e32 v1, 3, v0
	v_lshl_or_b32 v6, s2, 4, v1
	s_waitcnt lgkmcnt(0)
	v_cmp_gt_i32_e32 vcc, s14, v6
	s_and_b64 exec, exec, vcc
	s_cbranch_execz .LBB63_23
; %bb.6:
	s_load_dwordx8 s[4:11], s[0:1], 0x10
	v_ashrrev_i32_e32 v7, 31, v6
	s_cmp_lg_u32 s15, 0
	s_waitcnt lgkmcnt(0)
	v_lshl_add_u64 v[8:9], v[6:7], 2, s[4:5]
	global_load_dwordx2 v[8:9], v[8:9], off
	v_and_b32_e32 v7, 7, v0
	s_waitcnt vmcnt(0)
	v_subrev_u32_e32 v0, s12, v8
	v_subrev_u32_e32 v22, s12, v9
	v_add_u32_e32 v10, v0, v7
	v_cmp_lt_i32_e64 s[2:3], v10, v22
	s_cbranch_scc0 .LBB63_12
; %bb.7:
	v_mov_b64_e32 v[8:9], 0
	s_mov_b64 s[4:5], 0
	v_mov_b64_e32 v[0:1], v[8:9]
	v_mov_b64_e32 v[12:13], v[8:9]
	s_and_saveexec_b64 s[14:15], s[2:3]
	s_cbranch_execz .LBB63_11
; %bb.8:
	v_mad_u64_u32 v[14:15], s[16:17], v10, 21, 20
	v_mov_b64_e32 v[8:9], 0
	s_mov_b64 s[16:17], 0
	v_mov_b32_e32 v17, 0
	v_mov_b32_e32 v18, v10
	v_mov_b64_e32 v[0:1], v[8:9]
	v_mov_b64_e32 v[12:13], v[8:9]
.LBB63_9:                               ; =>This Inner Loop Header: Depth=1
	v_ashrrev_i32_e32 v19, 31, v18
	v_lshl_add_u64 v[20:21], v[18:19], 2, s[6:7]
	global_load_dword v11, v[20:21], off
	v_subrev_u32_e32 v16, 20, v14
	v_lshl_add_u64 v[24:25], v[16:17], 3, s[8:9]
	v_subrev_u32_e32 v16, 19, v14
	v_lshl_add_u64 v[28:29], v[16:17], 3, s[8:9]
	;; [unrolled: 2-line block ×4, first 2 shown]
	global_load_dwordx2 v[24:25], v[24:25], off
	v_mov_b32_e32 v21, v17
	global_load_dwordx2 v[28:29], v[28:29], off
	s_nop 0
	global_load_dwordx2 v[34:35], v[30:31], off
	global_load_dwordx2 v[36:37], v[32:33], off
	v_mov_b32_e32 v15, v17
	v_lshl_add_u64 v[26:27], v[14:15], 3, s[8:9]
	v_add_u32_e32 v18, 8, v18
	v_cmp_ge_i32_e32 vcc, v18, v22
	s_or_b64 s[16:17], vcc, s[16:17]
	s_waitcnt vmcnt(4)
	v_subrev_u32_e32 v11, s12, v11
	v_mul_lo_u32 v20, v11, 7
	v_add_u32_e32 v16, 1, v20
	v_lshl_add_u64 v[32:33], v[16:17], 3, s[10:11]
	v_add_u32_e32 v16, -16, v14
	v_lshl_add_u64 v[38:39], v[16:17], 3, s[8:9]
	v_add_u32_e32 v16, -15, v14
	;; [unrolled: 2-line block ×3, first 2 shown]
	v_lshl_add_u64 v[30:31], v[20:21], 3, s[10:11]
	v_lshl_add_u64 v[42:43], v[16:17], 3, s[8:9]
	v_add_u32_e32 v16, 2, v20
	global_load_dwordx2 v[30:31], v[30:31], off
	s_nop 0
	global_load_dwordx2 v[32:33], v[32:33], off
	s_waitcnt vmcnt(1)
	v_fmac_f64_e32 v[8:9], v[24:25], v[30:31]
	global_load_dwordx2 v[38:39], v[38:39], off
	s_nop 0
	global_load_dwordx2 v[44:45], v[40:41], off
	global_load_dwordx2 v[46:47], v[42:43], off
	v_lshl_add_u64 v[40:41], v[16:17], 3, s[10:11]
	v_add_u32_e32 v16, -13, v14
	v_lshl_add_u64 v[42:43], v[16:17], 3, s[8:9]
	v_add_u32_e32 v16, -12, v14
	v_lshl_add_u64 v[48:49], v[16:17], 3, s[8:9]
	v_add_u32_e32 v16, -11, v14
	v_lshl_add_u64 v[50:51], v[16:17], 3, s[8:9]
	v_add_u32_e32 v16, 3, v20
	global_load_dwordx2 v[40:41], v[40:41], off
	v_fmac_f64_e32 v[12:13], v[28:29], v[30:31]
	global_load_dwordx2 v[42:43], v[42:43], off
	s_nop 0
	global_load_dwordx2 v[52:53], v[48:49], off
	global_load_dwordx2 v[54:55], v[50:51], off
	v_lshl_add_u64 v[48:49], v[16:17], 3, s[10:11]
	v_add_u32_e32 v16, -10, v14
	v_lshl_add_u64 v[50:51], v[16:17], 3, s[8:9]
	v_add_u32_e32 v16, -9, v14
	v_lshl_add_u64 v[56:57], v[16:17], 3, s[8:9]
	v_add_u32_e32 v16, -8, v14
	v_lshl_add_u64 v[58:59], v[16:17], 3, s[8:9]
	v_add_u32_e32 v16, 4, v20
	global_load_dwordx2 v[48:49], v[48:49], off
	;; [unrolled: 14-line block ×3, first 2 shown]
	s_waitcnt vmcnt(12)
	v_fmac_f64_e32 v[8:9], v[36:37], v[32:33]
	global_load_dwordx2 v[58:59], v[58:59], off
	s_nop 0
	global_load_dwordx2 v[68:69], v[64:65], off
	global_load_dwordx2 v[70:71], v[66:67], off
	v_lshl_add_u64 v[64:65], v[16:17], 3, s[10:11]
	v_add_u32_e32 v16, -4, v14
	v_lshl_add_u64 v[66:67], v[16:17], 3, s[8:9]
	v_add_u32_e32 v16, -3, v14
	;; [unrolled: 2-line block ×3, first 2 shown]
	v_lshl_add_u64 v[74:75], v[16:17], 3, s[8:9]
	v_add_u32_e32 v16, 6, v20
	global_load_dwordx2 v[64:65], v[64:65], off
	s_waitcnt vmcnt(15)
	v_fmac_f64_e32 v[12:13], v[38:39], v[32:33]
	global_load_dwordx2 v[66:67], v[66:67], off
	s_nop 0
	global_load_dwordx2 v[20:21], v[72:73], off
	global_load_dwordx2 v[76:77], v[74:75], off
	v_lshl_add_u64 v[72:73], v[16:17], 3, s[10:11]
	v_add_u32_e32 v16, -1, v14
	v_lshl_add_u64 v[74:75], v[16:17], 3, s[8:9]
	global_load_dwordx2 v[72:73], v[72:73], off
	s_nop 0
	global_load_dwordx2 v[78:79], v[74:75], off
	global_load_dwordx2 v[80:81], v[26:27], off
	s_waitcnt vmcnt(20)
	v_fmac_f64_e32 v[0:1], v[44:45], v[32:33]
	v_add_u32_e32 v14, 0xa8, v14
	s_waitcnt vmcnt(18)
	v_fmac_f64_e32 v[8:9], v[46:47], v[40:41]
	s_waitcnt vmcnt(17)
	v_fmac_f64_e32 v[12:13], v[42:43], v[40:41]
	s_waitcnt vmcnt(16)
	v_fmac_f64_e32 v[0:1], v[52:53], v[40:41]
	s_waitcnt vmcnt(14)
	v_fmac_f64_e32 v[8:9], v[54:55], v[48:49]
	s_waitcnt vmcnt(13)
	v_fmac_f64_e32 v[12:13], v[50:51], v[48:49]
	s_waitcnt vmcnt(12)
	v_fmac_f64_e32 v[0:1], v[60:61], v[48:49]
	s_waitcnt vmcnt(10)
	v_fmac_f64_e32 v[8:9], v[62:63], v[56:57]
	s_waitcnt vmcnt(9)
	v_fmac_f64_e32 v[12:13], v[58:59], v[56:57]
	s_waitcnt vmcnt(8)
	v_fmac_f64_e32 v[0:1], v[68:69], v[56:57]
	s_waitcnt vmcnt(6)
	v_fmac_f64_e32 v[8:9], v[70:71], v[64:65]
	s_waitcnt vmcnt(5)
	v_fmac_f64_e32 v[12:13], v[66:67], v[64:65]
	s_waitcnt vmcnt(4)
	v_fmac_f64_e32 v[0:1], v[20:21], v[64:65]
	s_waitcnt vmcnt(2)
	v_fmac_f64_e32 v[8:9], v[76:77], v[72:73]
	s_waitcnt vmcnt(1)
	v_fmac_f64_e32 v[12:13], v[78:79], v[72:73]
	s_waitcnt vmcnt(0)
	v_fmac_f64_e32 v[0:1], v[80:81], v[72:73]
	s_andn2_b64 exec, exec, s[16:17]
	s_cbranch_execnz .LBB63_9
; %bb.10:
	s_or_b64 exec, exec, s[16:17]
.LBB63_11:
	s_or_b64 exec, exec, s[14:15]
	s_andn2_b64 vcc, exec, s[4:5]
	s_cbranch_vccz .LBB63_13
	s_branch .LBB63_18
.LBB63_12:
                                        ; implicit-def: $vgpr8_vgpr9
                                        ; implicit-def: $vgpr0_vgpr1
                                        ; implicit-def: $vgpr12_vgpr13
.LBB63_13:
	v_mov_b64_e32 v[8:9], 0
	v_mov_b64_e32 v[0:1], v[8:9]
	;; [unrolled: 1-line block ×3, first 2 shown]
	s_and_saveexec_b64 s[4:5], s[2:3]
	s_cbranch_execz .LBB63_17
; %bb.14:
	v_mad_u64_u32 v[14:15], s[2:3], v10, 21, 20
	v_mov_b64_e32 v[8:9], 0
	s_mov_b64 s[2:3], 0
	v_mov_b32_e32 v17, 0
	v_mov_b64_e32 v[0:1], v[8:9]
	v_mov_b64_e32 v[12:13], v[8:9]
.LBB63_15:                              ; =>This Inner Loop Header: Depth=1
	v_ashrrev_i32_e32 v11, 31, v10
	v_lshl_add_u64 v[18:19], v[10:11], 2, s[6:7]
	global_load_dword v11, v[18:19], off
	v_subrev_u32_e32 v16, 20, v14
	v_add_u32_e32 v18, -13, v14
	v_mov_b32_e32 v19, v17
	v_add_u32_e32 v20, -6, v14
	v_mov_b32_e32 v25, v17
	v_mov_b32_e32 v21, v17
	v_lshl_add_u64 v[26:27], v[16:17], 3, s[8:9]
	v_lshl_add_u64 v[18:19], v[18:19], 3, s[8:9]
	v_subrev_u32_e32 v16, 19, v14
	v_lshl_add_u64 v[20:21], v[20:21], 3, s[8:9]
	global_load_dwordx2 v[26:27], v[26:27], off
	v_lshl_add_u64 v[30:31], v[16:17], 3, s[8:9]
	global_load_dwordx2 v[32:33], v[18:19], off
	global_load_dwordx2 v[34:35], v[20:21], off
	;; [unrolled: 1-line block ×3, first 2 shown]
	v_mov_b32_e32 v15, v17
	v_lshl_add_u64 v[28:29], v[14:15], 3, s[8:9]
	v_add_u32_e32 v10, 8, v10
	v_cmp_ge_i32_e32 vcc, v10, v22
	s_or_b64 s[2:3], vcc, s[2:3]
	s_waitcnt vmcnt(4)
	v_subrev_u32_e32 v11, s12, v11
	v_mul_lo_u32 v24, v11, 7
	v_lshl_add_u64 v[18:19], v[24:25], 3, s[10:11]
	global_load_dwordx2 v[18:19], v[18:19], off
	v_add_u32_e32 v16, 1, v24
	v_lshl_add_u64 v[20:21], v[16:17], 3, s[10:11]
	global_load_dwordx2 v[20:21], v[20:21], off
	v_add_u32_e32 v16, -12, v14
	v_lshl_add_u64 v[30:31], v[16:17], 3, s[8:9]
	v_add_u32_e32 v16, -5, v14
	v_lshl_add_u64 v[38:39], v[16:17], 3, s[8:9]
	v_subrev_u32_e32 v16, 18, v14
	v_lshl_add_u64 v[40:41], v[16:17], 3, s[8:9]
	v_add_u32_e32 v16, 2, v24
	global_load_dwordx2 v[30:31], v[30:31], off
	s_nop 0
	global_load_dwordx2 v[42:43], v[38:39], off
	global_load_dwordx2 v[44:45], v[40:41], off
	v_lshl_add_u64 v[38:39], v[16:17], 3, s[10:11]
	v_add_u32_e32 v16, -11, v14
	v_lshl_add_u64 v[40:41], v[16:17], 3, s[8:9]
	v_add_u32_e32 v16, -4, v14
	v_lshl_add_u64 v[46:47], v[16:17], 3, s[8:9]
	v_subrev_u32_e32 v16, 17, v14
	v_lshl_add_u64 v[48:49], v[16:17], 3, s[8:9]
	v_add_u32_e32 v16, 3, v24
	global_load_dwordx2 v[38:39], v[38:39], off
	s_waitcnt vmcnt(5)
	v_fmac_f64_e32 v[8:9], v[26:27], v[18:19]
	global_load_dwordx2 v[40:41], v[40:41], off
	s_nop 0
	global_load_dwordx2 v[50:51], v[46:47], off
	global_load_dwordx2 v[52:53], v[48:49], off
	v_lshl_add_u64 v[46:47], v[16:17], 3, s[10:11]
	v_add_u32_e32 v16, -10, v14
	v_lshl_add_u64 v[48:49], v[16:17], 3, s[8:9]
	v_add_u32_e32 v16, -3, v14
	v_lshl_add_u64 v[54:55], v[16:17], 3, s[8:9]
	v_add_u32_e32 v16, -16, v14
	v_lshl_add_u64 v[56:57], v[16:17], 3, s[8:9]
	v_add_u32_e32 v16, 4, v24
	global_load_dwordx2 v[46:47], v[46:47], off
	v_fmac_f64_e32 v[12:13], v[32:33], v[18:19]
	global_load_dwordx2 v[48:49], v[48:49], off
	s_nop 0
	global_load_dwordx2 v[58:59], v[54:55], off
	global_load_dwordx2 v[60:61], v[56:57], off
	v_lshl_add_u64 v[54:55], v[16:17], 3, s[10:11]
	v_add_u32_e32 v16, -9, v14
	v_lshl_add_u64 v[56:57], v[16:17], 3, s[8:9]
	v_add_u32_e32 v16, -2, v14
	v_lshl_add_u64 v[62:63], v[16:17], 3, s[8:9]
	v_add_u32_e32 v16, -15, v14
	v_lshl_add_u64 v[64:65], v[16:17], 3, s[8:9]
	v_add_u32_e32 v16, 5, v24
	global_load_dwordx2 v[54:55], v[54:55], off
	;; [unrolled: 14-line block ×3, first 2 shown]
	s_waitcnt vmcnt(16)
	v_fmac_f64_e32 v[8:9], v[36:37], v[20:21]
	global_load_dwordx2 v[64:65], v[64:65], off
	s_nop 0
	global_load_dwordx2 v[24:25], v[70:71], off
	global_load_dwordx2 v[74:75], v[72:73], off
	v_lshl_add_u64 v[70:71], v[16:17], 3, s[10:11]
	v_add_u32_e32 v16, -7, v14
	v_lshl_add_u64 v[26:27], v[16:17], 3, s[8:9]
	global_load_dwordx2 v[70:71], v[70:71], off
	s_nop 0
	global_load_dwordx2 v[72:73], v[26:27], off
	global_load_dwordx2 v[76:77], v[28:29], off
	s_waitcnt vmcnt(21)
	v_fmac_f64_e32 v[12:13], v[30:31], v[20:21]
	s_waitcnt vmcnt(20)
	v_fmac_f64_e32 v[0:1], v[42:43], v[20:21]
	s_waitcnt vmcnt(18)
	v_fmac_f64_e32 v[8:9], v[44:45], v[38:39]
	v_add_u32_e32 v14, 0xa8, v14
	s_waitcnt vmcnt(17)
	v_fmac_f64_e32 v[12:13], v[40:41], v[38:39]
	s_waitcnt vmcnt(16)
	v_fmac_f64_e32 v[0:1], v[50:51], v[38:39]
	;; [unrolled: 2-line block ×14, first 2 shown]
	s_andn2_b64 exec, exec, s[2:3]
	s_cbranch_execnz .LBB63_15
; %bb.16:
	s_or_b64 exec, exec, s[2:3]
.LBB63_17:
	s_or_b64 exec, exec, s[4:5]
.LBB63_18:
	v_mov_b32_dpp v10, v8 row_shr:1 row_mask:0xf bank_mask:0xf
	v_mov_b32_dpp v11, v9 row_shr:1 row_mask:0xf bank_mask:0xf
	;; [unrolled: 1-line block ×6, first 2 shown]
	v_add_f64 v[8:9], v[8:9], v[10:11]
	v_add_f64 v[12:13], v[12:13], v[14:15]
	;; [unrolled: 1-line block ×3, first 2 shown]
	v_mov_b32_dpp v10, v8 row_shr:2 row_mask:0xf bank_mask:0xf
	v_mov_b32_dpp v11, v9 row_shr:2 row_mask:0xf bank_mask:0xf
	;; [unrolled: 1-line block ×6, first 2 shown]
	v_add_f64 v[8:9], v[8:9], v[10:11]
	v_add_f64 v[12:13], v[12:13], v[14:15]
	;; [unrolled: 1-line block ×3, first 2 shown]
	v_mov_b32_dpp v10, v8 row_shr:4 row_mask:0xf bank_mask:0xe
	v_mov_b32_dpp v11, v9 row_shr:4 row_mask:0xf bank_mask:0xe
	;; [unrolled: 1-line block ×6, first 2 shown]
	v_cmp_eq_u32_e32 vcc, 7, v7
	s_and_b64 exec, exec, vcc
	s_cbranch_execz .LBB63_23
; %bb.19:
	s_load_dwordx2 s[0:1], s[0:1], 0x38
	v_add_f64 v[10:11], v[8:9], v[10:11]
	v_add_f64 v[8:9], v[12:13], v[14:15]
	;; [unrolled: 1-line block ×3, first 2 shown]
	v_cmp_eq_f64_e32 vcc, 0, v[4:5]
	s_and_saveexec_b64 s[2:3], vcc
	s_xor_b64 s[2:3], exec, s[2:3]
	s_cbranch_execz .LBB63_21
; %bb.20:
	v_lshl_add_u32 v6, v6, 1, v6
	v_ashrrev_i32_e32 v7, 31, v6
	v_mul_f64 v[4:5], v[2:3], v[10:11]
	s_waitcnt lgkmcnt(0)
	v_lshl_add_u64 v[10:11], v[6:7], 3, s[0:1]
	v_mul_f64 v[6:7], v[2:3], v[8:9]
	v_mul_f64 v[0:1], v[2:3], v[0:1]
	global_store_dwordx4 v[10:11], v[4:7], off
	global_store_dwordx2 v[10:11], v[0:1], off offset:16
                                        ; implicit-def: $vgpr6
                                        ; implicit-def: $vgpr2_vgpr3
                                        ; implicit-def: $vgpr10_vgpr11
                                        ; implicit-def: $vgpr4_vgpr5
                                        ; implicit-def: $vgpr8_vgpr9
                                        ; implicit-def: $vgpr0_vgpr1
.LBB63_21:
	s_andn2_saveexec_b64 s[2:3], s[2:3]
	s_cbranch_execz .LBB63_23
; %bb.22:
	v_lshl_add_u32 v6, v6, 1, v6
	v_ashrrev_i32_e32 v7, 31, v6
	s_waitcnt lgkmcnt(0)
	v_lshl_add_u64 v[16:17], v[6:7], 3, s[0:1]
	global_load_dwordx4 v[12:15], v[16:17], off
	global_load_dwordx2 v[18:19], v[16:17], off offset:16
	v_mul_f64 v[6:7], v[2:3], v[10:11]
	v_mul_f64 v[8:9], v[2:3], v[8:9]
	;; [unrolled: 1-line block ×3, first 2 shown]
	s_waitcnt vmcnt(1)
	v_fmac_f64_e32 v[6:7], v[4:5], v[12:13]
	v_fmac_f64_e32 v[8:9], v[4:5], v[14:15]
	s_waitcnt vmcnt(0)
	v_fmac_f64_e32 v[0:1], v[4:5], v[18:19]
	global_store_dwordx4 v[16:17], v[6:9], off
	global_store_dwordx2 v[16:17], v[0:1], off offset:16
.LBB63_23:
	s_endpgm
	.section	.rodata,"a",@progbits
	.p2align	6, 0x0
	.amdhsa_kernel _ZN9rocsparseL19gebsrmvn_3xn_kernelILj128ELj7ELj8EdEEvi20rocsparse_direction_NS_24const_host_device_scalarIT2_EEPKiS6_PKS3_S8_S4_PS3_21rocsparse_index_base_b
		.amdhsa_group_segment_fixed_size 0
		.amdhsa_private_segment_fixed_size 0
		.amdhsa_kernarg_size 72
		.amdhsa_user_sgpr_count 2
		.amdhsa_user_sgpr_dispatch_ptr 0
		.amdhsa_user_sgpr_queue_ptr 0
		.amdhsa_user_sgpr_kernarg_segment_ptr 1
		.amdhsa_user_sgpr_dispatch_id 0
		.amdhsa_user_sgpr_kernarg_preload_length 0
		.amdhsa_user_sgpr_kernarg_preload_offset 0
		.amdhsa_user_sgpr_private_segment_size 0
		.amdhsa_uses_dynamic_stack 0
		.amdhsa_enable_private_segment 0
		.amdhsa_system_sgpr_workgroup_id_x 1
		.amdhsa_system_sgpr_workgroup_id_y 0
		.amdhsa_system_sgpr_workgroup_id_z 0
		.amdhsa_system_sgpr_workgroup_info 0
		.amdhsa_system_vgpr_workitem_id 0
		.amdhsa_next_free_vgpr 82
		.amdhsa_next_free_sgpr 18
		.amdhsa_accum_offset 84
		.amdhsa_reserve_vcc 1
		.amdhsa_float_round_mode_32 0
		.amdhsa_float_round_mode_16_64 0
		.amdhsa_float_denorm_mode_32 3
		.amdhsa_float_denorm_mode_16_64 3
		.amdhsa_dx10_clamp 1
		.amdhsa_ieee_mode 1
		.amdhsa_fp16_overflow 0
		.amdhsa_tg_split 0
		.amdhsa_exception_fp_ieee_invalid_op 0
		.amdhsa_exception_fp_denorm_src 0
		.amdhsa_exception_fp_ieee_div_zero 0
		.amdhsa_exception_fp_ieee_overflow 0
		.amdhsa_exception_fp_ieee_underflow 0
		.amdhsa_exception_fp_ieee_inexact 0
		.amdhsa_exception_int_div_zero 0
	.end_amdhsa_kernel
	.section	.text._ZN9rocsparseL19gebsrmvn_3xn_kernelILj128ELj7ELj8EdEEvi20rocsparse_direction_NS_24const_host_device_scalarIT2_EEPKiS6_PKS3_S8_S4_PS3_21rocsparse_index_base_b,"axG",@progbits,_ZN9rocsparseL19gebsrmvn_3xn_kernelILj128ELj7ELj8EdEEvi20rocsparse_direction_NS_24const_host_device_scalarIT2_EEPKiS6_PKS3_S8_S4_PS3_21rocsparse_index_base_b,comdat
.Lfunc_end63:
	.size	_ZN9rocsparseL19gebsrmvn_3xn_kernelILj128ELj7ELj8EdEEvi20rocsparse_direction_NS_24const_host_device_scalarIT2_EEPKiS6_PKS3_S8_S4_PS3_21rocsparse_index_base_b, .Lfunc_end63-_ZN9rocsparseL19gebsrmvn_3xn_kernelILj128ELj7ELj8EdEEvi20rocsparse_direction_NS_24const_host_device_scalarIT2_EEPKiS6_PKS3_S8_S4_PS3_21rocsparse_index_base_b
                                        ; -- End function
	.section	.AMDGPU.csdata,"",@progbits
; Kernel info:
; codeLenInByte = 2412
; NumSgprs: 24
; NumVgprs: 82
; NumAgprs: 0
; TotalNumVgprs: 82
; ScratchSize: 0
; MemoryBound: 0
; FloatMode: 240
; IeeeMode: 1
; LDSByteSize: 0 bytes/workgroup (compile time only)
; SGPRBlocks: 2
; VGPRBlocks: 10
; NumSGPRsForWavesPerEU: 24
; NumVGPRsForWavesPerEU: 82
; AccumOffset: 84
; Occupancy: 5
; WaveLimiterHint : 1
; COMPUTE_PGM_RSRC2:SCRATCH_EN: 0
; COMPUTE_PGM_RSRC2:USER_SGPR: 2
; COMPUTE_PGM_RSRC2:TRAP_HANDLER: 0
; COMPUTE_PGM_RSRC2:TGID_X_EN: 1
; COMPUTE_PGM_RSRC2:TGID_Y_EN: 0
; COMPUTE_PGM_RSRC2:TGID_Z_EN: 0
; COMPUTE_PGM_RSRC2:TIDIG_COMP_CNT: 0
; COMPUTE_PGM_RSRC3_GFX90A:ACCUM_OFFSET: 20
; COMPUTE_PGM_RSRC3_GFX90A:TG_SPLIT: 0
	.section	.text._ZN9rocsparseL19gebsrmvn_3xn_kernelILj128ELj7ELj16EdEEvi20rocsparse_direction_NS_24const_host_device_scalarIT2_EEPKiS6_PKS3_S8_S4_PS3_21rocsparse_index_base_b,"axG",@progbits,_ZN9rocsparseL19gebsrmvn_3xn_kernelILj128ELj7ELj16EdEEvi20rocsparse_direction_NS_24const_host_device_scalarIT2_EEPKiS6_PKS3_S8_S4_PS3_21rocsparse_index_base_b,comdat
	.globl	_ZN9rocsparseL19gebsrmvn_3xn_kernelILj128ELj7ELj16EdEEvi20rocsparse_direction_NS_24const_host_device_scalarIT2_EEPKiS6_PKS3_S8_S4_PS3_21rocsparse_index_base_b ; -- Begin function _ZN9rocsparseL19gebsrmvn_3xn_kernelILj128ELj7ELj16EdEEvi20rocsparse_direction_NS_24const_host_device_scalarIT2_EEPKiS6_PKS3_S8_S4_PS3_21rocsparse_index_base_b
	.p2align	8
	.type	_ZN9rocsparseL19gebsrmvn_3xn_kernelILj128ELj7ELj16EdEEvi20rocsparse_direction_NS_24const_host_device_scalarIT2_EEPKiS6_PKS3_S8_S4_PS3_21rocsparse_index_base_b,@function
_ZN9rocsparseL19gebsrmvn_3xn_kernelILj128ELj7ELj16EdEEvi20rocsparse_direction_NS_24const_host_device_scalarIT2_EEPKiS6_PKS3_S8_S4_PS3_21rocsparse_index_base_b: ; @_ZN9rocsparseL19gebsrmvn_3xn_kernelILj128ELj7ELj16EdEEvi20rocsparse_direction_NS_24const_host_device_scalarIT2_EEPKiS6_PKS3_S8_S4_PS3_21rocsparse_index_base_b
; %bb.0:
	s_load_dwordx2 s[12:13], s[0:1], 0x40
	s_load_dwordx2 s[8:9], s[0:1], 0x8
	;; [unrolled: 1-line block ×3, first 2 shown]
	s_waitcnt lgkmcnt(0)
	s_bitcmp1_b32 s13, 0
	s_cselect_b64 s[10:11], -1, 0
	s_xor_b64 s[6:7], s[10:11], -1
	s_and_b64 vcc, exec, s[10:11]
	v_mov_b64_e32 v[2:3], s[8:9]
	s_cbranch_vccnz .LBB64_2
; %bb.1:
	v_mov_b64_e32 v[2:3], s[8:9]
	flat_load_dwordx2 v[2:3], v[2:3]
.LBB64_2:
	s_andn2_b64 vcc, exec, s[6:7]
	v_mov_b64_e32 v[4:5], s[4:5]
	s_cbranch_vccnz .LBB64_4
; %bb.3:
	v_mov_b64_e32 v[4:5], s[4:5]
	flat_load_dwordx2 v[4:5], v[4:5]
.LBB64_4:
	s_waitcnt vmcnt(0) lgkmcnt(0)
	v_cmp_neq_f64_e32 vcc, 0, v[2:3]
	v_cmp_neq_f64_e64 s[4:5], 1.0, v[4:5]
	s_or_b64 s[4:5], vcc, s[4:5]
	s_and_saveexec_b64 s[6:7], s[4:5]
	s_cbranch_execz .LBB64_23
; %bb.5:
	s_load_dwordx2 s[14:15], s[0:1], 0x0
	v_lshrrev_b32_e32 v1, 4, v0
	v_lshl_or_b32 v6, s2, 3, v1
	s_waitcnt lgkmcnt(0)
	v_cmp_gt_i32_e32 vcc, s14, v6
	s_and_b64 exec, exec, vcc
	s_cbranch_execz .LBB64_23
; %bb.6:
	s_load_dwordx8 s[4:11], s[0:1], 0x10
	v_ashrrev_i32_e32 v7, 31, v6
	s_cmp_lg_u32 s15, 0
	s_waitcnt lgkmcnt(0)
	v_lshl_add_u64 v[8:9], v[6:7], 2, s[4:5]
	global_load_dwordx2 v[8:9], v[8:9], off
	v_and_b32_e32 v7, 15, v0
	s_waitcnt vmcnt(0)
	v_subrev_u32_e32 v0, s12, v8
	v_subrev_u32_e32 v22, s12, v9
	v_add_u32_e32 v12, v0, v7
	v_cmp_lt_i32_e64 s[2:3], v12, v22
	s_cbranch_scc0 .LBB64_12
; %bb.7:
	v_mov_b64_e32 v[8:9], 0
	s_mov_b64 s[4:5], 0
	v_mov_b64_e32 v[0:1], v[8:9]
	v_mov_b64_e32 v[10:11], v[8:9]
	s_and_saveexec_b64 s[14:15], s[2:3]
	s_cbranch_execz .LBB64_11
; %bb.8:
	v_mad_u64_u32 v[14:15], s[16:17], v12, 21, 20
	v_mov_b64_e32 v[8:9], 0
	s_mov_b64 s[16:17], 0
	v_mov_b32_e32 v17, 0
	v_mov_b32_e32 v18, v12
	v_mov_b64_e32 v[0:1], v[8:9]
	v_mov_b64_e32 v[10:11], v[8:9]
.LBB64_9:                               ; =>This Inner Loop Header: Depth=1
	v_ashrrev_i32_e32 v19, 31, v18
	v_lshl_add_u64 v[20:21], v[18:19], 2, s[6:7]
	global_load_dword v13, v[20:21], off
	v_subrev_u32_e32 v16, 20, v14
	v_lshl_add_u64 v[24:25], v[16:17], 3, s[8:9]
	v_subrev_u32_e32 v16, 19, v14
	v_lshl_add_u64 v[28:29], v[16:17], 3, s[8:9]
	;; [unrolled: 2-line block ×4, first 2 shown]
	global_load_dwordx2 v[24:25], v[24:25], off
	v_mov_b32_e32 v21, v17
	global_load_dwordx2 v[28:29], v[28:29], off
	s_nop 0
	global_load_dwordx2 v[34:35], v[30:31], off
	global_load_dwordx2 v[36:37], v[32:33], off
	v_mov_b32_e32 v15, v17
	v_lshl_add_u64 v[26:27], v[14:15], 3, s[8:9]
	v_add_u32_e32 v18, 16, v18
	v_cmp_ge_i32_e32 vcc, v18, v22
	s_or_b64 s[16:17], vcc, s[16:17]
	s_waitcnt vmcnt(4)
	v_subrev_u32_e32 v13, s12, v13
	v_mul_lo_u32 v20, v13, 7
	v_add_u32_e32 v16, 1, v20
	v_lshl_add_u64 v[32:33], v[16:17], 3, s[10:11]
	v_add_u32_e32 v16, -16, v14
	v_lshl_add_u64 v[38:39], v[16:17], 3, s[8:9]
	v_add_u32_e32 v16, -15, v14
	;; [unrolled: 2-line block ×3, first 2 shown]
	v_lshl_add_u64 v[30:31], v[20:21], 3, s[10:11]
	v_lshl_add_u64 v[42:43], v[16:17], 3, s[8:9]
	v_add_u32_e32 v16, 2, v20
	global_load_dwordx2 v[30:31], v[30:31], off
	s_nop 0
	global_load_dwordx2 v[32:33], v[32:33], off
	s_waitcnt vmcnt(1)
	v_fmac_f64_e32 v[8:9], v[24:25], v[30:31]
	global_load_dwordx2 v[38:39], v[38:39], off
	s_nop 0
	global_load_dwordx2 v[44:45], v[40:41], off
	global_load_dwordx2 v[46:47], v[42:43], off
	v_lshl_add_u64 v[40:41], v[16:17], 3, s[10:11]
	v_add_u32_e32 v16, -13, v14
	v_lshl_add_u64 v[42:43], v[16:17], 3, s[8:9]
	v_add_u32_e32 v16, -12, v14
	v_lshl_add_u64 v[48:49], v[16:17], 3, s[8:9]
	v_add_u32_e32 v16, -11, v14
	v_lshl_add_u64 v[50:51], v[16:17], 3, s[8:9]
	v_add_u32_e32 v16, 3, v20
	global_load_dwordx2 v[40:41], v[40:41], off
	v_fmac_f64_e32 v[10:11], v[28:29], v[30:31]
	global_load_dwordx2 v[42:43], v[42:43], off
	s_nop 0
	global_load_dwordx2 v[52:53], v[48:49], off
	global_load_dwordx2 v[54:55], v[50:51], off
	v_lshl_add_u64 v[48:49], v[16:17], 3, s[10:11]
	v_add_u32_e32 v16, -10, v14
	v_lshl_add_u64 v[50:51], v[16:17], 3, s[8:9]
	v_add_u32_e32 v16, -9, v14
	v_lshl_add_u64 v[56:57], v[16:17], 3, s[8:9]
	v_add_u32_e32 v16, -8, v14
	v_lshl_add_u64 v[58:59], v[16:17], 3, s[8:9]
	v_add_u32_e32 v16, 4, v20
	global_load_dwordx2 v[48:49], v[48:49], off
	;; [unrolled: 14-line block ×3, first 2 shown]
	s_waitcnt vmcnt(12)
	v_fmac_f64_e32 v[8:9], v[36:37], v[32:33]
	global_load_dwordx2 v[58:59], v[58:59], off
	s_nop 0
	global_load_dwordx2 v[68:69], v[64:65], off
	global_load_dwordx2 v[70:71], v[66:67], off
	v_lshl_add_u64 v[64:65], v[16:17], 3, s[10:11]
	v_add_u32_e32 v16, -4, v14
	v_lshl_add_u64 v[66:67], v[16:17], 3, s[8:9]
	v_add_u32_e32 v16, -3, v14
	v_lshl_add_u64 v[72:73], v[16:17], 3, s[8:9]
	v_add_u32_e32 v16, -2, v14
	v_lshl_add_u64 v[74:75], v[16:17], 3, s[8:9]
	v_add_u32_e32 v16, 6, v20
	global_load_dwordx2 v[64:65], v[64:65], off
	s_waitcnt vmcnt(15)
	v_fmac_f64_e32 v[10:11], v[38:39], v[32:33]
	global_load_dwordx2 v[66:67], v[66:67], off
	s_nop 0
	global_load_dwordx2 v[20:21], v[72:73], off
	global_load_dwordx2 v[76:77], v[74:75], off
	v_lshl_add_u64 v[72:73], v[16:17], 3, s[10:11]
	v_add_u32_e32 v16, -1, v14
	v_lshl_add_u64 v[74:75], v[16:17], 3, s[8:9]
	global_load_dwordx2 v[72:73], v[72:73], off
	s_nop 0
	global_load_dwordx2 v[78:79], v[74:75], off
	global_load_dwordx2 v[80:81], v[26:27], off
	s_waitcnt vmcnt(20)
	v_fmac_f64_e32 v[0:1], v[44:45], v[32:33]
	v_add_u32_e32 v14, 0x150, v14
	s_waitcnt vmcnt(18)
	v_fmac_f64_e32 v[8:9], v[46:47], v[40:41]
	s_waitcnt vmcnt(17)
	v_fmac_f64_e32 v[10:11], v[42:43], v[40:41]
	;; [unrolled: 2-line block ×15, first 2 shown]
	s_andn2_b64 exec, exec, s[16:17]
	s_cbranch_execnz .LBB64_9
; %bb.10:
	s_or_b64 exec, exec, s[16:17]
.LBB64_11:
	s_or_b64 exec, exec, s[14:15]
	s_andn2_b64 vcc, exec, s[4:5]
	s_cbranch_vccz .LBB64_13
	s_branch .LBB64_18
.LBB64_12:
                                        ; implicit-def: $vgpr8_vgpr9
                                        ; implicit-def: $vgpr0_vgpr1
                                        ; implicit-def: $vgpr10_vgpr11
.LBB64_13:
	v_mov_b64_e32 v[8:9], 0
	v_mov_b64_e32 v[0:1], v[8:9]
	;; [unrolled: 1-line block ×3, first 2 shown]
	s_and_saveexec_b64 s[4:5], s[2:3]
	s_cbranch_execz .LBB64_17
; %bb.14:
	v_mad_u64_u32 v[14:15], s[2:3], v12, 21, 20
	v_mov_b64_e32 v[8:9], 0
	s_mov_b64 s[2:3], 0
	v_mov_b32_e32 v17, 0
	v_mov_b64_e32 v[0:1], v[8:9]
	v_mov_b64_e32 v[10:11], v[8:9]
.LBB64_15:                              ; =>This Inner Loop Header: Depth=1
	v_ashrrev_i32_e32 v13, 31, v12
	v_lshl_add_u64 v[18:19], v[12:13], 2, s[6:7]
	global_load_dword v13, v[18:19], off
	v_subrev_u32_e32 v16, 20, v14
	v_add_u32_e32 v18, -13, v14
	v_mov_b32_e32 v19, v17
	v_add_u32_e32 v20, -6, v14
	v_mov_b32_e32 v25, v17
	v_mov_b32_e32 v21, v17
	v_lshl_add_u64 v[26:27], v[16:17], 3, s[8:9]
	v_lshl_add_u64 v[18:19], v[18:19], 3, s[8:9]
	v_subrev_u32_e32 v16, 19, v14
	v_lshl_add_u64 v[20:21], v[20:21], 3, s[8:9]
	global_load_dwordx2 v[26:27], v[26:27], off
	v_lshl_add_u64 v[30:31], v[16:17], 3, s[8:9]
	global_load_dwordx2 v[32:33], v[18:19], off
	global_load_dwordx2 v[34:35], v[20:21], off
	;; [unrolled: 1-line block ×3, first 2 shown]
	v_mov_b32_e32 v15, v17
	v_lshl_add_u64 v[28:29], v[14:15], 3, s[8:9]
	v_add_u32_e32 v12, 16, v12
	v_cmp_ge_i32_e32 vcc, v12, v22
	s_or_b64 s[2:3], vcc, s[2:3]
	s_waitcnt vmcnt(4)
	v_subrev_u32_e32 v13, s12, v13
	v_mul_lo_u32 v24, v13, 7
	v_lshl_add_u64 v[18:19], v[24:25], 3, s[10:11]
	global_load_dwordx2 v[18:19], v[18:19], off
	v_add_u32_e32 v16, 1, v24
	v_lshl_add_u64 v[20:21], v[16:17], 3, s[10:11]
	global_load_dwordx2 v[20:21], v[20:21], off
	v_add_u32_e32 v16, -12, v14
	v_lshl_add_u64 v[30:31], v[16:17], 3, s[8:9]
	v_add_u32_e32 v16, -5, v14
	v_lshl_add_u64 v[38:39], v[16:17], 3, s[8:9]
	v_subrev_u32_e32 v16, 18, v14
	v_lshl_add_u64 v[40:41], v[16:17], 3, s[8:9]
	v_add_u32_e32 v16, 2, v24
	global_load_dwordx2 v[30:31], v[30:31], off
	s_nop 0
	global_load_dwordx2 v[42:43], v[38:39], off
	global_load_dwordx2 v[44:45], v[40:41], off
	v_lshl_add_u64 v[38:39], v[16:17], 3, s[10:11]
	v_add_u32_e32 v16, -11, v14
	v_lshl_add_u64 v[40:41], v[16:17], 3, s[8:9]
	v_add_u32_e32 v16, -4, v14
	v_lshl_add_u64 v[46:47], v[16:17], 3, s[8:9]
	v_subrev_u32_e32 v16, 17, v14
	v_lshl_add_u64 v[48:49], v[16:17], 3, s[8:9]
	v_add_u32_e32 v16, 3, v24
	global_load_dwordx2 v[38:39], v[38:39], off
	s_waitcnt vmcnt(5)
	v_fmac_f64_e32 v[8:9], v[26:27], v[18:19]
	global_load_dwordx2 v[40:41], v[40:41], off
	s_nop 0
	global_load_dwordx2 v[50:51], v[46:47], off
	global_load_dwordx2 v[52:53], v[48:49], off
	v_lshl_add_u64 v[46:47], v[16:17], 3, s[10:11]
	v_add_u32_e32 v16, -10, v14
	v_lshl_add_u64 v[48:49], v[16:17], 3, s[8:9]
	v_add_u32_e32 v16, -3, v14
	v_lshl_add_u64 v[54:55], v[16:17], 3, s[8:9]
	v_add_u32_e32 v16, -16, v14
	v_lshl_add_u64 v[56:57], v[16:17], 3, s[8:9]
	v_add_u32_e32 v16, 4, v24
	global_load_dwordx2 v[46:47], v[46:47], off
	v_fmac_f64_e32 v[10:11], v[32:33], v[18:19]
	global_load_dwordx2 v[48:49], v[48:49], off
	s_nop 0
	global_load_dwordx2 v[58:59], v[54:55], off
	global_load_dwordx2 v[60:61], v[56:57], off
	v_lshl_add_u64 v[54:55], v[16:17], 3, s[10:11]
	v_add_u32_e32 v16, -9, v14
	v_lshl_add_u64 v[56:57], v[16:17], 3, s[8:9]
	v_add_u32_e32 v16, -2, v14
	v_lshl_add_u64 v[62:63], v[16:17], 3, s[8:9]
	v_add_u32_e32 v16, -15, v14
	v_lshl_add_u64 v[64:65], v[16:17], 3, s[8:9]
	v_add_u32_e32 v16, 5, v24
	global_load_dwordx2 v[54:55], v[54:55], off
	;; [unrolled: 14-line block ×3, first 2 shown]
	s_waitcnt vmcnt(16)
	v_fmac_f64_e32 v[8:9], v[36:37], v[20:21]
	global_load_dwordx2 v[64:65], v[64:65], off
	s_nop 0
	global_load_dwordx2 v[24:25], v[70:71], off
	global_load_dwordx2 v[74:75], v[72:73], off
	v_lshl_add_u64 v[70:71], v[16:17], 3, s[10:11]
	v_add_u32_e32 v16, -7, v14
	v_lshl_add_u64 v[26:27], v[16:17], 3, s[8:9]
	global_load_dwordx2 v[70:71], v[70:71], off
	s_nop 0
	global_load_dwordx2 v[72:73], v[26:27], off
	global_load_dwordx2 v[76:77], v[28:29], off
	s_waitcnt vmcnt(21)
	v_fmac_f64_e32 v[10:11], v[30:31], v[20:21]
	s_waitcnt vmcnt(20)
	v_fmac_f64_e32 v[0:1], v[42:43], v[20:21]
	;; [unrolled: 2-line block ×3, first 2 shown]
	v_add_u32_e32 v14, 0x150, v14
	s_waitcnt vmcnt(17)
	v_fmac_f64_e32 v[10:11], v[40:41], v[38:39]
	s_waitcnt vmcnt(16)
	v_fmac_f64_e32 v[0:1], v[50:51], v[38:39]
	;; [unrolled: 2-line block ×14, first 2 shown]
	s_andn2_b64 exec, exec, s[2:3]
	s_cbranch_execnz .LBB64_15
; %bb.16:
	s_or_b64 exec, exec, s[2:3]
.LBB64_17:
	s_or_b64 exec, exec, s[4:5]
.LBB64_18:
	v_mov_b32_dpp v14, v10 row_shr:1 row_mask:0xf bank_mask:0xf
	v_mov_b32_dpp v15, v11 row_shr:1 row_mask:0xf bank_mask:0xf
	v_add_f64 v[10:11], v[10:11], v[14:15]
	v_mov_b32_dpp v12, v8 row_shr:1 row_mask:0xf bank_mask:0xf
	v_mov_b32_dpp v13, v9 row_shr:1 row_mask:0xf bank_mask:0xf
	;; [unrolled: 1-line block ×4, first 2 shown]
	v_add_f64 v[10:11], v[10:11], v[14:15]
	v_add_f64 v[8:9], v[8:9], v[12:13]
	v_cmp_eq_u32_e32 vcc, 15, v7
	v_mov_b32_dpp v14, v10 row_shr:4 row_mask:0xf bank_mask:0xe
	v_mov_b32_dpp v15, v11 row_shr:4 row_mask:0xf bank_mask:0xe
	v_add_f64 v[14:15], v[10:11], v[14:15]
	v_mov_b32_dpp v10, v0 row_shr:1 row_mask:0xf bank_mask:0xf
	v_mov_b32_dpp v11, v1 row_shr:1 row_mask:0xf bank_mask:0xf
	v_add_f64 v[0:1], v[0:1], v[10:11]
	v_mov_b32_dpp v12, v8 row_shr:2 row_mask:0xf bank_mask:0xf
	v_mov_b32_dpp v13, v9 row_shr:2 row_mask:0xf bank_mask:0xf
	;; [unrolled: 1-line block ×4, first 2 shown]
	v_add_f64 v[8:9], v[8:9], v[12:13]
	v_add_f64 v[0:1], v[0:1], v[10:11]
	v_mov_b32_dpp v16, v14 row_shr:8 row_mask:0xf bank_mask:0xc
	v_mov_b32_dpp v12, v8 row_shr:4 row_mask:0xf bank_mask:0xe
	;; [unrolled: 1-line block ×5, first 2 shown]
	v_add_f64 v[8:9], v[8:9], v[12:13]
	v_add_f64 v[0:1], v[0:1], v[10:11]
	v_mov_b32_dpp v17, v15 row_shr:8 row_mask:0xf bank_mask:0xc
	v_mov_b32_dpp v12, v8 row_shr:8 row_mask:0xf bank_mask:0xc
	;; [unrolled: 1-line block ×5, first 2 shown]
	s_and_b64 exec, exec, vcc
	s_cbranch_execz .LBB64_23
; %bb.19:
	s_load_dwordx2 s[0:1], s[0:1], 0x38
	v_add_f64 v[10:11], v[8:9], v[12:13]
	v_add_f64 v[8:9], v[14:15], v[16:17]
	;; [unrolled: 1-line block ×3, first 2 shown]
	v_cmp_eq_f64_e32 vcc, 0, v[4:5]
	s_and_saveexec_b64 s[2:3], vcc
	s_xor_b64 s[2:3], exec, s[2:3]
	s_cbranch_execz .LBB64_21
; %bb.20:
	v_lshl_add_u32 v6, v6, 1, v6
	v_ashrrev_i32_e32 v7, 31, v6
	v_mul_f64 v[4:5], v[2:3], v[10:11]
	s_waitcnt lgkmcnt(0)
	v_lshl_add_u64 v[10:11], v[6:7], 3, s[0:1]
	v_mul_f64 v[6:7], v[2:3], v[8:9]
	v_mul_f64 v[0:1], v[2:3], v[0:1]
	global_store_dwordx4 v[10:11], v[4:7], off
	global_store_dwordx2 v[10:11], v[0:1], off offset:16
                                        ; implicit-def: $vgpr6
                                        ; implicit-def: $vgpr2_vgpr3
                                        ; implicit-def: $vgpr10_vgpr11
                                        ; implicit-def: $vgpr4_vgpr5
                                        ; implicit-def: $vgpr8_vgpr9
                                        ; implicit-def: $vgpr0_vgpr1
.LBB64_21:
	s_andn2_saveexec_b64 s[2:3], s[2:3]
	s_cbranch_execz .LBB64_23
; %bb.22:
	v_lshl_add_u32 v6, v6, 1, v6
	v_ashrrev_i32_e32 v7, 31, v6
	s_waitcnt lgkmcnt(0)
	v_lshl_add_u64 v[16:17], v[6:7], 3, s[0:1]
	global_load_dwordx4 v[12:15], v[16:17], off
	global_load_dwordx2 v[18:19], v[16:17], off offset:16
	v_mul_f64 v[6:7], v[2:3], v[10:11]
	v_mul_f64 v[8:9], v[2:3], v[8:9]
	;; [unrolled: 1-line block ×3, first 2 shown]
	s_waitcnt vmcnt(1)
	v_fmac_f64_e32 v[6:7], v[4:5], v[12:13]
	v_fmac_f64_e32 v[8:9], v[4:5], v[14:15]
	s_waitcnt vmcnt(0)
	v_fmac_f64_e32 v[0:1], v[4:5], v[18:19]
	global_store_dwordx4 v[16:17], v[6:9], off
	global_store_dwordx2 v[16:17], v[0:1], off offset:16
.LBB64_23:
	s_endpgm
	.section	.rodata,"a",@progbits
	.p2align	6, 0x0
	.amdhsa_kernel _ZN9rocsparseL19gebsrmvn_3xn_kernelILj128ELj7ELj16EdEEvi20rocsparse_direction_NS_24const_host_device_scalarIT2_EEPKiS6_PKS3_S8_S4_PS3_21rocsparse_index_base_b
		.amdhsa_group_segment_fixed_size 0
		.amdhsa_private_segment_fixed_size 0
		.amdhsa_kernarg_size 72
		.amdhsa_user_sgpr_count 2
		.amdhsa_user_sgpr_dispatch_ptr 0
		.amdhsa_user_sgpr_queue_ptr 0
		.amdhsa_user_sgpr_kernarg_segment_ptr 1
		.amdhsa_user_sgpr_dispatch_id 0
		.amdhsa_user_sgpr_kernarg_preload_length 0
		.amdhsa_user_sgpr_kernarg_preload_offset 0
		.amdhsa_user_sgpr_private_segment_size 0
		.amdhsa_uses_dynamic_stack 0
		.amdhsa_enable_private_segment 0
		.amdhsa_system_sgpr_workgroup_id_x 1
		.amdhsa_system_sgpr_workgroup_id_y 0
		.amdhsa_system_sgpr_workgroup_id_z 0
		.amdhsa_system_sgpr_workgroup_info 0
		.amdhsa_system_vgpr_workitem_id 0
		.amdhsa_next_free_vgpr 82
		.amdhsa_next_free_sgpr 18
		.amdhsa_accum_offset 84
		.amdhsa_reserve_vcc 1
		.amdhsa_float_round_mode_32 0
		.amdhsa_float_round_mode_16_64 0
		.amdhsa_float_denorm_mode_32 3
		.amdhsa_float_denorm_mode_16_64 3
		.amdhsa_dx10_clamp 1
		.amdhsa_ieee_mode 1
		.amdhsa_fp16_overflow 0
		.amdhsa_tg_split 0
		.amdhsa_exception_fp_ieee_invalid_op 0
		.amdhsa_exception_fp_denorm_src 0
		.amdhsa_exception_fp_ieee_div_zero 0
		.amdhsa_exception_fp_ieee_overflow 0
		.amdhsa_exception_fp_ieee_underflow 0
		.amdhsa_exception_fp_ieee_inexact 0
		.amdhsa_exception_int_div_zero 0
	.end_amdhsa_kernel
	.section	.text._ZN9rocsparseL19gebsrmvn_3xn_kernelILj128ELj7ELj16EdEEvi20rocsparse_direction_NS_24const_host_device_scalarIT2_EEPKiS6_PKS3_S8_S4_PS3_21rocsparse_index_base_b,"axG",@progbits,_ZN9rocsparseL19gebsrmvn_3xn_kernelILj128ELj7ELj16EdEEvi20rocsparse_direction_NS_24const_host_device_scalarIT2_EEPKiS6_PKS3_S8_S4_PS3_21rocsparse_index_base_b,comdat
.Lfunc_end64:
	.size	_ZN9rocsparseL19gebsrmvn_3xn_kernelILj128ELj7ELj16EdEEvi20rocsparse_direction_NS_24const_host_device_scalarIT2_EEPKiS6_PKS3_S8_S4_PS3_21rocsparse_index_base_b, .Lfunc_end64-_ZN9rocsparseL19gebsrmvn_3xn_kernelILj128ELj7ELj16EdEEvi20rocsparse_direction_NS_24const_host_device_scalarIT2_EEPKiS6_PKS3_S8_S4_PS3_21rocsparse_index_base_b
                                        ; -- End function
	.section	.AMDGPU.csdata,"",@progbits
; Kernel info:
; codeLenInByte = 2484
; NumSgprs: 24
; NumVgprs: 82
; NumAgprs: 0
; TotalNumVgprs: 82
; ScratchSize: 0
; MemoryBound: 0
; FloatMode: 240
; IeeeMode: 1
; LDSByteSize: 0 bytes/workgroup (compile time only)
; SGPRBlocks: 2
; VGPRBlocks: 10
; NumSGPRsForWavesPerEU: 24
; NumVGPRsForWavesPerEU: 82
; AccumOffset: 84
; Occupancy: 5
; WaveLimiterHint : 1
; COMPUTE_PGM_RSRC2:SCRATCH_EN: 0
; COMPUTE_PGM_RSRC2:USER_SGPR: 2
; COMPUTE_PGM_RSRC2:TRAP_HANDLER: 0
; COMPUTE_PGM_RSRC2:TGID_X_EN: 1
; COMPUTE_PGM_RSRC2:TGID_Y_EN: 0
; COMPUTE_PGM_RSRC2:TGID_Z_EN: 0
; COMPUTE_PGM_RSRC2:TIDIG_COMP_CNT: 0
; COMPUTE_PGM_RSRC3_GFX90A:ACCUM_OFFSET: 20
; COMPUTE_PGM_RSRC3_GFX90A:TG_SPLIT: 0
	.section	.text._ZN9rocsparseL19gebsrmvn_3xn_kernelILj128ELj7ELj32EdEEvi20rocsparse_direction_NS_24const_host_device_scalarIT2_EEPKiS6_PKS3_S8_S4_PS3_21rocsparse_index_base_b,"axG",@progbits,_ZN9rocsparseL19gebsrmvn_3xn_kernelILj128ELj7ELj32EdEEvi20rocsparse_direction_NS_24const_host_device_scalarIT2_EEPKiS6_PKS3_S8_S4_PS3_21rocsparse_index_base_b,comdat
	.globl	_ZN9rocsparseL19gebsrmvn_3xn_kernelILj128ELj7ELj32EdEEvi20rocsparse_direction_NS_24const_host_device_scalarIT2_EEPKiS6_PKS3_S8_S4_PS3_21rocsparse_index_base_b ; -- Begin function _ZN9rocsparseL19gebsrmvn_3xn_kernelILj128ELj7ELj32EdEEvi20rocsparse_direction_NS_24const_host_device_scalarIT2_EEPKiS6_PKS3_S8_S4_PS3_21rocsparse_index_base_b
	.p2align	8
	.type	_ZN9rocsparseL19gebsrmvn_3xn_kernelILj128ELj7ELj32EdEEvi20rocsparse_direction_NS_24const_host_device_scalarIT2_EEPKiS6_PKS3_S8_S4_PS3_21rocsparse_index_base_b,@function
_ZN9rocsparseL19gebsrmvn_3xn_kernelILj128ELj7ELj32EdEEvi20rocsparse_direction_NS_24const_host_device_scalarIT2_EEPKiS6_PKS3_S8_S4_PS3_21rocsparse_index_base_b: ; @_ZN9rocsparseL19gebsrmvn_3xn_kernelILj128ELj7ELj32EdEEvi20rocsparse_direction_NS_24const_host_device_scalarIT2_EEPKiS6_PKS3_S8_S4_PS3_21rocsparse_index_base_b
; %bb.0:
	s_load_dwordx2 s[12:13], s[0:1], 0x40
	s_load_dwordx2 s[8:9], s[0:1], 0x8
	;; [unrolled: 1-line block ×3, first 2 shown]
	s_waitcnt lgkmcnt(0)
	s_bitcmp1_b32 s13, 0
	s_cselect_b64 s[10:11], -1, 0
	s_xor_b64 s[6:7], s[10:11], -1
	s_and_b64 vcc, exec, s[10:11]
	v_mov_b64_e32 v[2:3], s[8:9]
	s_cbranch_vccnz .LBB65_2
; %bb.1:
	v_mov_b64_e32 v[2:3], s[8:9]
	flat_load_dwordx2 v[2:3], v[2:3]
.LBB65_2:
	s_andn2_b64 vcc, exec, s[6:7]
	v_mov_b64_e32 v[4:5], s[4:5]
	s_cbranch_vccnz .LBB65_4
; %bb.3:
	v_mov_b64_e32 v[4:5], s[4:5]
	flat_load_dwordx2 v[4:5], v[4:5]
.LBB65_4:
	s_waitcnt vmcnt(0) lgkmcnt(0)
	v_cmp_neq_f64_e32 vcc, 0, v[2:3]
	v_cmp_neq_f64_e64 s[4:5], 1.0, v[4:5]
	s_or_b64 s[4:5], vcc, s[4:5]
	s_and_saveexec_b64 s[6:7], s[4:5]
	s_cbranch_execz .LBB65_23
; %bb.5:
	s_load_dwordx2 s[14:15], s[0:1], 0x0
	v_lshrrev_b32_e32 v1, 5, v0
	v_lshl_or_b32 v6, s2, 2, v1
	s_waitcnt lgkmcnt(0)
	v_cmp_gt_i32_e32 vcc, s14, v6
	s_and_b64 exec, exec, vcc
	s_cbranch_execz .LBB65_23
; %bb.6:
	s_load_dwordx8 s[4:11], s[0:1], 0x10
	v_ashrrev_i32_e32 v7, 31, v6
	s_cmp_lg_u32 s15, 0
	s_waitcnt lgkmcnt(0)
	v_lshl_add_u64 v[8:9], v[6:7], 2, s[4:5]
	global_load_dwordx2 v[8:9], v[8:9], off
	v_and_b32_e32 v7, 31, v0
	s_waitcnt vmcnt(0)
	v_subrev_u32_e32 v0, s12, v8
	v_subrev_u32_e32 v22, s12, v9
	v_add_u32_e32 v12, v0, v7
	v_cmp_lt_i32_e64 s[2:3], v12, v22
	s_cbranch_scc0 .LBB65_12
; %bb.7:
	v_mov_b64_e32 v[8:9], 0
	s_mov_b64 s[4:5], 0
	v_mov_b64_e32 v[0:1], v[8:9]
	v_mov_b64_e32 v[10:11], v[8:9]
	s_and_saveexec_b64 s[14:15], s[2:3]
	s_cbranch_execz .LBB65_11
; %bb.8:
	v_mad_u64_u32 v[14:15], s[16:17], v12, 21, 20
	v_mov_b64_e32 v[8:9], 0
	s_mov_b64 s[16:17], 0
	v_mov_b32_e32 v17, 0
	v_mov_b32_e32 v18, v12
	v_mov_b64_e32 v[0:1], v[8:9]
	v_mov_b64_e32 v[10:11], v[8:9]
.LBB65_9:                               ; =>This Inner Loop Header: Depth=1
	v_ashrrev_i32_e32 v19, 31, v18
	v_lshl_add_u64 v[20:21], v[18:19], 2, s[6:7]
	global_load_dword v13, v[20:21], off
	v_subrev_u32_e32 v16, 20, v14
	v_lshl_add_u64 v[24:25], v[16:17], 3, s[8:9]
	v_subrev_u32_e32 v16, 19, v14
	v_lshl_add_u64 v[28:29], v[16:17], 3, s[8:9]
	;; [unrolled: 2-line block ×4, first 2 shown]
	global_load_dwordx2 v[24:25], v[24:25], off
	v_mov_b32_e32 v21, v17
	global_load_dwordx2 v[28:29], v[28:29], off
	s_nop 0
	global_load_dwordx2 v[34:35], v[30:31], off
	global_load_dwordx2 v[36:37], v[32:33], off
	v_mov_b32_e32 v15, v17
	v_lshl_add_u64 v[26:27], v[14:15], 3, s[8:9]
	v_add_u32_e32 v18, 32, v18
	v_cmp_ge_i32_e32 vcc, v18, v22
	s_or_b64 s[16:17], vcc, s[16:17]
	s_waitcnt vmcnt(4)
	v_subrev_u32_e32 v13, s12, v13
	v_mul_lo_u32 v20, v13, 7
	v_add_u32_e32 v16, 1, v20
	v_lshl_add_u64 v[32:33], v[16:17], 3, s[10:11]
	v_add_u32_e32 v16, -16, v14
	v_lshl_add_u64 v[38:39], v[16:17], 3, s[8:9]
	v_add_u32_e32 v16, -15, v14
	;; [unrolled: 2-line block ×3, first 2 shown]
	v_lshl_add_u64 v[30:31], v[20:21], 3, s[10:11]
	v_lshl_add_u64 v[42:43], v[16:17], 3, s[8:9]
	v_add_u32_e32 v16, 2, v20
	global_load_dwordx2 v[30:31], v[30:31], off
	s_nop 0
	global_load_dwordx2 v[32:33], v[32:33], off
	s_waitcnt vmcnt(1)
	v_fmac_f64_e32 v[8:9], v[24:25], v[30:31]
	global_load_dwordx2 v[38:39], v[38:39], off
	s_nop 0
	global_load_dwordx2 v[44:45], v[40:41], off
	global_load_dwordx2 v[46:47], v[42:43], off
	v_lshl_add_u64 v[40:41], v[16:17], 3, s[10:11]
	v_add_u32_e32 v16, -13, v14
	v_lshl_add_u64 v[42:43], v[16:17], 3, s[8:9]
	v_add_u32_e32 v16, -12, v14
	v_lshl_add_u64 v[48:49], v[16:17], 3, s[8:9]
	v_add_u32_e32 v16, -11, v14
	v_lshl_add_u64 v[50:51], v[16:17], 3, s[8:9]
	v_add_u32_e32 v16, 3, v20
	global_load_dwordx2 v[40:41], v[40:41], off
	v_fmac_f64_e32 v[10:11], v[28:29], v[30:31]
	global_load_dwordx2 v[42:43], v[42:43], off
	s_nop 0
	global_load_dwordx2 v[52:53], v[48:49], off
	global_load_dwordx2 v[54:55], v[50:51], off
	v_lshl_add_u64 v[48:49], v[16:17], 3, s[10:11]
	v_add_u32_e32 v16, -10, v14
	v_lshl_add_u64 v[50:51], v[16:17], 3, s[8:9]
	v_add_u32_e32 v16, -9, v14
	v_lshl_add_u64 v[56:57], v[16:17], 3, s[8:9]
	v_add_u32_e32 v16, -8, v14
	v_lshl_add_u64 v[58:59], v[16:17], 3, s[8:9]
	v_add_u32_e32 v16, 4, v20
	global_load_dwordx2 v[48:49], v[48:49], off
	;; [unrolled: 14-line block ×3, first 2 shown]
	s_waitcnt vmcnt(12)
	v_fmac_f64_e32 v[8:9], v[36:37], v[32:33]
	global_load_dwordx2 v[58:59], v[58:59], off
	s_nop 0
	global_load_dwordx2 v[68:69], v[64:65], off
	global_load_dwordx2 v[70:71], v[66:67], off
	v_lshl_add_u64 v[64:65], v[16:17], 3, s[10:11]
	v_add_u32_e32 v16, -4, v14
	v_lshl_add_u64 v[66:67], v[16:17], 3, s[8:9]
	v_add_u32_e32 v16, -3, v14
	v_lshl_add_u64 v[72:73], v[16:17], 3, s[8:9]
	v_add_u32_e32 v16, -2, v14
	v_lshl_add_u64 v[74:75], v[16:17], 3, s[8:9]
	v_add_u32_e32 v16, 6, v20
	global_load_dwordx2 v[64:65], v[64:65], off
	s_waitcnt vmcnt(15)
	v_fmac_f64_e32 v[10:11], v[38:39], v[32:33]
	global_load_dwordx2 v[66:67], v[66:67], off
	s_nop 0
	global_load_dwordx2 v[20:21], v[72:73], off
	global_load_dwordx2 v[76:77], v[74:75], off
	v_lshl_add_u64 v[72:73], v[16:17], 3, s[10:11]
	v_add_u32_e32 v16, -1, v14
	v_lshl_add_u64 v[74:75], v[16:17], 3, s[8:9]
	global_load_dwordx2 v[72:73], v[72:73], off
	s_nop 0
	global_load_dwordx2 v[78:79], v[74:75], off
	global_load_dwordx2 v[80:81], v[26:27], off
	s_waitcnt vmcnt(20)
	v_fmac_f64_e32 v[0:1], v[44:45], v[32:33]
	v_add_u32_e32 v14, 0x2a0, v14
	s_waitcnt vmcnt(18)
	v_fmac_f64_e32 v[8:9], v[46:47], v[40:41]
	s_waitcnt vmcnt(17)
	v_fmac_f64_e32 v[10:11], v[42:43], v[40:41]
	;; [unrolled: 2-line block ×15, first 2 shown]
	s_andn2_b64 exec, exec, s[16:17]
	s_cbranch_execnz .LBB65_9
; %bb.10:
	s_or_b64 exec, exec, s[16:17]
.LBB65_11:
	s_or_b64 exec, exec, s[14:15]
	s_andn2_b64 vcc, exec, s[4:5]
	s_cbranch_vccz .LBB65_13
	s_branch .LBB65_18
.LBB65_12:
                                        ; implicit-def: $vgpr8_vgpr9
                                        ; implicit-def: $vgpr0_vgpr1
                                        ; implicit-def: $vgpr10_vgpr11
.LBB65_13:
	v_mov_b64_e32 v[8:9], 0
	v_mov_b64_e32 v[0:1], v[8:9]
	;; [unrolled: 1-line block ×3, first 2 shown]
	s_and_saveexec_b64 s[4:5], s[2:3]
	s_cbranch_execz .LBB65_17
; %bb.14:
	v_mad_u64_u32 v[14:15], s[2:3], v12, 21, 20
	v_mov_b64_e32 v[8:9], 0
	s_mov_b64 s[2:3], 0
	v_mov_b32_e32 v17, 0
	v_mov_b64_e32 v[0:1], v[8:9]
	v_mov_b64_e32 v[10:11], v[8:9]
.LBB65_15:                              ; =>This Inner Loop Header: Depth=1
	v_ashrrev_i32_e32 v13, 31, v12
	v_lshl_add_u64 v[18:19], v[12:13], 2, s[6:7]
	global_load_dword v13, v[18:19], off
	v_subrev_u32_e32 v16, 20, v14
	v_add_u32_e32 v18, -13, v14
	v_mov_b32_e32 v19, v17
	v_add_u32_e32 v20, -6, v14
	v_mov_b32_e32 v25, v17
	v_mov_b32_e32 v21, v17
	v_lshl_add_u64 v[26:27], v[16:17], 3, s[8:9]
	v_lshl_add_u64 v[18:19], v[18:19], 3, s[8:9]
	v_subrev_u32_e32 v16, 19, v14
	v_lshl_add_u64 v[20:21], v[20:21], 3, s[8:9]
	global_load_dwordx2 v[26:27], v[26:27], off
	v_lshl_add_u64 v[30:31], v[16:17], 3, s[8:9]
	global_load_dwordx2 v[32:33], v[18:19], off
	global_load_dwordx2 v[34:35], v[20:21], off
	;; [unrolled: 1-line block ×3, first 2 shown]
	v_mov_b32_e32 v15, v17
	v_lshl_add_u64 v[28:29], v[14:15], 3, s[8:9]
	v_add_u32_e32 v12, 32, v12
	v_cmp_ge_i32_e32 vcc, v12, v22
	s_or_b64 s[2:3], vcc, s[2:3]
	s_waitcnt vmcnt(4)
	v_subrev_u32_e32 v13, s12, v13
	v_mul_lo_u32 v24, v13, 7
	v_lshl_add_u64 v[18:19], v[24:25], 3, s[10:11]
	global_load_dwordx2 v[18:19], v[18:19], off
	v_add_u32_e32 v16, 1, v24
	v_lshl_add_u64 v[20:21], v[16:17], 3, s[10:11]
	global_load_dwordx2 v[20:21], v[20:21], off
	v_add_u32_e32 v16, -12, v14
	v_lshl_add_u64 v[30:31], v[16:17], 3, s[8:9]
	v_add_u32_e32 v16, -5, v14
	v_lshl_add_u64 v[38:39], v[16:17], 3, s[8:9]
	v_subrev_u32_e32 v16, 18, v14
	v_lshl_add_u64 v[40:41], v[16:17], 3, s[8:9]
	v_add_u32_e32 v16, 2, v24
	global_load_dwordx2 v[30:31], v[30:31], off
	s_nop 0
	global_load_dwordx2 v[42:43], v[38:39], off
	global_load_dwordx2 v[44:45], v[40:41], off
	v_lshl_add_u64 v[38:39], v[16:17], 3, s[10:11]
	v_add_u32_e32 v16, -11, v14
	v_lshl_add_u64 v[40:41], v[16:17], 3, s[8:9]
	v_add_u32_e32 v16, -4, v14
	v_lshl_add_u64 v[46:47], v[16:17], 3, s[8:9]
	v_subrev_u32_e32 v16, 17, v14
	v_lshl_add_u64 v[48:49], v[16:17], 3, s[8:9]
	v_add_u32_e32 v16, 3, v24
	global_load_dwordx2 v[38:39], v[38:39], off
	s_waitcnt vmcnt(5)
	v_fmac_f64_e32 v[8:9], v[26:27], v[18:19]
	global_load_dwordx2 v[40:41], v[40:41], off
	s_nop 0
	global_load_dwordx2 v[50:51], v[46:47], off
	global_load_dwordx2 v[52:53], v[48:49], off
	v_lshl_add_u64 v[46:47], v[16:17], 3, s[10:11]
	v_add_u32_e32 v16, -10, v14
	v_lshl_add_u64 v[48:49], v[16:17], 3, s[8:9]
	v_add_u32_e32 v16, -3, v14
	v_lshl_add_u64 v[54:55], v[16:17], 3, s[8:9]
	v_add_u32_e32 v16, -16, v14
	v_lshl_add_u64 v[56:57], v[16:17], 3, s[8:9]
	v_add_u32_e32 v16, 4, v24
	global_load_dwordx2 v[46:47], v[46:47], off
	v_fmac_f64_e32 v[10:11], v[32:33], v[18:19]
	global_load_dwordx2 v[48:49], v[48:49], off
	s_nop 0
	global_load_dwordx2 v[58:59], v[54:55], off
	global_load_dwordx2 v[60:61], v[56:57], off
	v_lshl_add_u64 v[54:55], v[16:17], 3, s[10:11]
	v_add_u32_e32 v16, -9, v14
	v_lshl_add_u64 v[56:57], v[16:17], 3, s[8:9]
	v_add_u32_e32 v16, -2, v14
	v_lshl_add_u64 v[62:63], v[16:17], 3, s[8:9]
	v_add_u32_e32 v16, -15, v14
	v_lshl_add_u64 v[64:65], v[16:17], 3, s[8:9]
	v_add_u32_e32 v16, 5, v24
	global_load_dwordx2 v[54:55], v[54:55], off
	;; [unrolled: 14-line block ×3, first 2 shown]
	s_waitcnt vmcnt(16)
	v_fmac_f64_e32 v[8:9], v[36:37], v[20:21]
	global_load_dwordx2 v[64:65], v[64:65], off
	s_nop 0
	global_load_dwordx2 v[24:25], v[70:71], off
	global_load_dwordx2 v[74:75], v[72:73], off
	v_lshl_add_u64 v[70:71], v[16:17], 3, s[10:11]
	v_add_u32_e32 v16, -7, v14
	v_lshl_add_u64 v[26:27], v[16:17], 3, s[8:9]
	global_load_dwordx2 v[70:71], v[70:71], off
	s_nop 0
	global_load_dwordx2 v[72:73], v[26:27], off
	global_load_dwordx2 v[76:77], v[28:29], off
	s_waitcnt vmcnt(21)
	v_fmac_f64_e32 v[10:11], v[30:31], v[20:21]
	s_waitcnt vmcnt(20)
	v_fmac_f64_e32 v[0:1], v[42:43], v[20:21]
	;; [unrolled: 2-line block ×3, first 2 shown]
	v_add_u32_e32 v14, 0x2a0, v14
	s_waitcnt vmcnt(17)
	v_fmac_f64_e32 v[10:11], v[40:41], v[38:39]
	s_waitcnt vmcnt(16)
	v_fmac_f64_e32 v[0:1], v[50:51], v[38:39]
	;; [unrolled: 2-line block ×14, first 2 shown]
	s_andn2_b64 exec, exec, s[2:3]
	s_cbranch_execnz .LBB65_15
; %bb.16:
	s_or_b64 exec, exec, s[2:3]
.LBB65_17:
	s_or_b64 exec, exec, s[4:5]
.LBB65_18:
	v_mov_b32_dpp v14, v10 row_shr:1 row_mask:0xf bank_mask:0xf
	v_mov_b32_dpp v15, v11 row_shr:1 row_mask:0xf bank_mask:0xf
	v_add_f64 v[10:11], v[10:11], v[14:15]
	v_mov_b32_dpp v12, v8 row_shr:1 row_mask:0xf bank_mask:0xf
	v_mov_b32_dpp v13, v9 row_shr:1 row_mask:0xf bank_mask:0xf
	;; [unrolled: 1-line block ×4, first 2 shown]
	v_add_f64 v[10:11], v[10:11], v[14:15]
	v_add_f64 v[8:9], v[8:9], v[12:13]
	v_cmp_eq_u32_e32 vcc, 31, v7
	v_mov_b32_dpp v14, v10 row_shr:4 row_mask:0xf bank_mask:0xe
	v_mov_b32_dpp v15, v11 row_shr:4 row_mask:0xf bank_mask:0xe
	v_add_f64 v[10:11], v[10:11], v[14:15]
	v_mov_b32_dpp v12, v8 row_shr:2 row_mask:0xf bank_mask:0xf
	v_mov_b32_dpp v13, v9 row_shr:2 row_mask:0xf bank_mask:0xf
	;; [unrolled: 1-line block ×4, first 2 shown]
	v_add_f64 v[14:15], v[10:11], v[14:15]
	v_mov_b32_dpp v10, v0 row_shr:1 row_mask:0xf bank_mask:0xf
	v_mov_b32_dpp v11, v1 row_shr:1 row_mask:0xf bank_mask:0xf
	v_add_f64 v[0:1], v[0:1], v[10:11]
	v_add_f64 v[8:9], v[8:9], v[12:13]
	v_mov_b32_dpp v16, v14 row_bcast:15 row_mask:0xa bank_mask:0xf
	v_mov_b32_dpp v10, v0 row_shr:2 row_mask:0xf bank_mask:0xf
	v_mov_b32_dpp v11, v1 row_shr:2 row_mask:0xf bank_mask:0xf
	v_add_f64 v[0:1], v[0:1], v[10:11]
	v_mov_b32_dpp v12, v8 row_shr:4 row_mask:0xf bank_mask:0xe
	v_mov_b32_dpp v13, v9 row_shr:4 row_mask:0xf bank_mask:0xe
	;; [unrolled: 1-line block ×4, first 2 shown]
	v_add_f64 v[8:9], v[8:9], v[12:13]
	v_add_f64 v[0:1], v[0:1], v[10:11]
	v_mov_b32_dpp v17, v15 row_bcast:15 row_mask:0xa bank_mask:0xf
	v_mov_b32_dpp v12, v8 row_shr:8 row_mask:0xf bank_mask:0xc
	v_mov_b32_dpp v13, v9 row_shr:8 row_mask:0xf bank_mask:0xc
	;; [unrolled: 1-line block ×4, first 2 shown]
	v_add_f64 v[8:9], v[8:9], v[12:13]
	v_add_f64 v[0:1], v[0:1], v[10:11]
	s_nop 0
	v_mov_b32_dpp v12, v8 row_bcast:15 row_mask:0xa bank_mask:0xf
	v_mov_b32_dpp v13, v9 row_bcast:15 row_mask:0xa bank_mask:0xf
	;; [unrolled: 1-line block ×4, first 2 shown]
	s_and_b64 exec, exec, vcc
	s_cbranch_execz .LBB65_23
; %bb.19:
	s_load_dwordx2 s[0:1], s[0:1], 0x38
	v_add_f64 v[10:11], v[8:9], v[12:13]
	v_add_f64 v[8:9], v[14:15], v[16:17]
	;; [unrolled: 1-line block ×3, first 2 shown]
	v_cmp_eq_f64_e32 vcc, 0, v[4:5]
	s_and_saveexec_b64 s[2:3], vcc
	s_xor_b64 s[2:3], exec, s[2:3]
	s_cbranch_execz .LBB65_21
; %bb.20:
	v_lshl_add_u32 v6, v6, 1, v6
	v_ashrrev_i32_e32 v7, 31, v6
	v_mul_f64 v[4:5], v[2:3], v[10:11]
	s_waitcnt lgkmcnt(0)
	v_lshl_add_u64 v[10:11], v[6:7], 3, s[0:1]
	v_mul_f64 v[6:7], v[2:3], v[8:9]
	v_mul_f64 v[0:1], v[2:3], v[0:1]
	global_store_dwordx4 v[10:11], v[4:7], off
	global_store_dwordx2 v[10:11], v[0:1], off offset:16
                                        ; implicit-def: $vgpr6
                                        ; implicit-def: $vgpr2_vgpr3
                                        ; implicit-def: $vgpr10_vgpr11
                                        ; implicit-def: $vgpr4_vgpr5
                                        ; implicit-def: $vgpr8_vgpr9
                                        ; implicit-def: $vgpr0_vgpr1
.LBB65_21:
	s_andn2_saveexec_b64 s[2:3], s[2:3]
	s_cbranch_execz .LBB65_23
; %bb.22:
	v_lshl_add_u32 v6, v6, 1, v6
	v_ashrrev_i32_e32 v7, 31, v6
	s_waitcnt lgkmcnt(0)
	v_lshl_add_u64 v[16:17], v[6:7], 3, s[0:1]
	global_load_dwordx4 v[12:15], v[16:17], off
	global_load_dwordx2 v[18:19], v[16:17], off offset:16
	v_mul_f64 v[6:7], v[2:3], v[10:11]
	v_mul_f64 v[8:9], v[2:3], v[8:9]
	;; [unrolled: 1-line block ×3, first 2 shown]
	s_waitcnt vmcnt(1)
	v_fmac_f64_e32 v[6:7], v[4:5], v[12:13]
	v_fmac_f64_e32 v[8:9], v[4:5], v[14:15]
	s_waitcnt vmcnt(0)
	v_fmac_f64_e32 v[0:1], v[4:5], v[18:19]
	global_store_dwordx4 v[16:17], v[6:9], off
	global_store_dwordx2 v[16:17], v[0:1], off offset:16
.LBB65_23:
	s_endpgm
	.section	.rodata,"a",@progbits
	.p2align	6, 0x0
	.amdhsa_kernel _ZN9rocsparseL19gebsrmvn_3xn_kernelILj128ELj7ELj32EdEEvi20rocsparse_direction_NS_24const_host_device_scalarIT2_EEPKiS6_PKS3_S8_S4_PS3_21rocsparse_index_base_b
		.amdhsa_group_segment_fixed_size 0
		.amdhsa_private_segment_fixed_size 0
		.amdhsa_kernarg_size 72
		.amdhsa_user_sgpr_count 2
		.amdhsa_user_sgpr_dispatch_ptr 0
		.amdhsa_user_sgpr_queue_ptr 0
		.amdhsa_user_sgpr_kernarg_segment_ptr 1
		.amdhsa_user_sgpr_dispatch_id 0
		.amdhsa_user_sgpr_kernarg_preload_length 0
		.amdhsa_user_sgpr_kernarg_preload_offset 0
		.amdhsa_user_sgpr_private_segment_size 0
		.amdhsa_uses_dynamic_stack 0
		.amdhsa_enable_private_segment 0
		.amdhsa_system_sgpr_workgroup_id_x 1
		.amdhsa_system_sgpr_workgroup_id_y 0
		.amdhsa_system_sgpr_workgroup_id_z 0
		.amdhsa_system_sgpr_workgroup_info 0
		.amdhsa_system_vgpr_workitem_id 0
		.amdhsa_next_free_vgpr 82
		.amdhsa_next_free_sgpr 18
		.amdhsa_accum_offset 84
		.amdhsa_reserve_vcc 1
		.amdhsa_float_round_mode_32 0
		.amdhsa_float_round_mode_16_64 0
		.amdhsa_float_denorm_mode_32 3
		.amdhsa_float_denorm_mode_16_64 3
		.amdhsa_dx10_clamp 1
		.amdhsa_ieee_mode 1
		.amdhsa_fp16_overflow 0
		.amdhsa_tg_split 0
		.amdhsa_exception_fp_ieee_invalid_op 0
		.amdhsa_exception_fp_denorm_src 0
		.amdhsa_exception_fp_ieee_div_zero 0
		.amdhsa_exception_fp_ieee_overflow 0
		.amdhsa_exception_fp_ieee_underflow 0
		.amdhsa_exception_fp_ieee_inexact 0
		.amdhsa_exception_int_div_zero 0
	.end_amdhsa_kernel
	.section	.text._ZN9rocsparseL19gebsrmvn_3xn_kernelILj128ELj7ELj32EdEEvi20rocsparse_direction_NS_24const_host_device_scalarIT2_EEPKiS6_PKS3_S8_S4_PS3_21rocsparse_index_base_b,"axG",@progbits,_ZN9rocsparseL19gebsrmvn_3xn_kernelILj128ELj7ELj32EdEEvi20rocsparse_direction_NS_24const_host_device_scalarIT2_EEPKiS6_PKS3_S8_S4_PS3_21rocsparse_index_base_b,comdat
.Lfunc_end65:
	.size	_ZN9rocsparseL19gebsrmvn_3xn_kernelILj128ELj7ELj32EdEEvi20rocsparse_direction_NS_24const_host_device_scalarIT2_EEPKiS6_PKS3_S8_S4_PS3_21rocsparse_index_base_b, .Lfunc_end65-_ZN9rocsparseL19gebsrmvn_3xn_kernelILj128ELj7ELj32EdEEvi20rocsparse_direction_NS_24const_host_device_scalarIT2_EEPKiS6_PKS3_S8_S4_PS3_21rocsparse_index_base_b
                                        ; -- End function
	.section	.AMDGPU.csdata,"",@progbits
; Kernel info:
; codeLenInByte = 2560
; NumSgprs: 24
; NumVgprs: 82
; NumAgprs: 0
; TotalNumVgprs: 82
; ScratchSize: 0
; MemoryBound: 0
; FloatMode: 240
; IeeeMode: 1
; LDSByteSize: 0 bytes/workgroup (compile time only)
; SGPRBlocks: 2
; VGPRBlocks: 10
; NumSGPRsForWavesPerEU: 24
; NumVGPRsForWavesPerEU: 82
; AccumOffset: 84
; Occupancy: 5
; WaveLimiterHint : 1
; COMPUTE_PGM_RSRC2:SCRATCH_EN: 0
; COMPUTE_PGM_RSRC2:USER_SGPR: 2
; COMPUTE_PGM_RSRC2:TRAP_HANDLER: 0
; COMPUTE_PGM_RSRC2:TGID_X_EN: 1
; COMPUTE_PGM_RSRC2:TGID_Y_EN: 0
; COMPUTE_PGM_RSRC2:TGID_Z_EN: 0
; COMPUTE_PGM_RSRC2:TIDIG_COMP_CNT: 0
; COMPUTE_PGM_RSRC3_GFX90A:ACCUM_OFFSET: 20
; COMPUTE_PGM_RSRC3_GFX90A:TG_SPLIT: 0
	.section	.text._ZN9rocsparseL19gebsrmvn_3xn_kernelILj128ELj7ELj64EdEEvi20rocsparse_direction_NS_24const_host_device_scalarIT2_EEPKiS6_PKS3_S8_S4_PS3_21rocsparse_index_base_b,"axG",@progbits,_ZN9rocsparseL19gebsrmvn_3xn_kernelILj128ELj7ELj64EdEEvi20rocsparse_direction_NS_24const_host_device_scalarIT2_EEPKiS6_PKS3_S8_S4_PS3_21rocsparse_index_base_b,comdat
	.globl	_ZN9rocsparseL19gebsrmvn_3xn_kernelILj128ELj7ELj64EdEEvi20rocsparse_direction_NS_24const_host_device_scalarIT2_EEPKiS6_PKS3_S8_S4_PS3_21rocsparse_index_base_b ; -- Begin function _ZN9rocsparseL19gebsrmvn_3xn_kernelILj128ELj7ELj64EdEEvi20rocsparse_direction_NS_24const_host_device_scalarIT2_EEPKiS6_PKS3_S8_S4_PS3_21rocsparse_index_base_b
	.p2align	8
	.type	_ZN9rocsparseL19gebsrmvn_3xn_kernelILj128ELj7ELj64EdEEvi20rocsparse_direction_NS_24const_host_device_scalarIT2_EEPKiS6_PKS3_S8_S4_PS3_21rocsparse_index_base_b,@function
_ZN9rocsparseL19gebsrmvn_3xn_kernelILj128ELj7ELj64EdEEvi20rocsparse_direction_NS_24const_host_device_scalarIT2_EEPKiS6_PKS3_S8_S4_PS3_21rocsparse_index_base_b: ; @_ZN9rocsparseL19gebsrmvn_3xn_kernelILj128ELj7ELj64EdEEvi20rocsparse_direction_NS_24const_host_device_scalarIT2_EEPKiS6_PKS3_S8_S4_PS3_21rocsparse_index_base_b
; %bb.0:
	s_load_dwordx2 s[12:13], s[0:1], 0x40
	s_load_dwordx2 s[8:9], s[0:1], 0x8
	;; [unrolled: 1-line block ×3, first 2 shown]
	s_waitcnt lgkmcnt(0)
	s_bitcmp1_b32 s13, 0
	s_cselect_b64 s[10:11], -1, 0
	s_xor_b64 s[6:7], s[10:11], -1
	s_and_b64 vcc, exec, s[10:11]
	v_mov_b64_e32 v[2:3], s[8:9]
	s_cbranch_vccnz .LBB66_2
; %bb.1:
	v_mov_b64_e32 v[2:3], s[8:9]
	flat_load_dwordx2 v[2:3], v[2:3]
.LBB66_2:
	s_andn2_b64 vcc, exec, s[6:7]
	v_mov_b64_e32 v[4:5], s[4:5]
	s_cbranch_vccnz .LBB66_4
; %bb.3:
	v_mov_b64_e32 v[4:5], s[4:5]
	flat_load_dwordx2 v[4:5], v[4:5]
.LBB66_4:
	s_waitcnt vmcnt(0) lgkmcnt(0)
	v_cmp_neq_f64_e32 vcc, 0, v[2:3]
	v_cmp_neq_f64_e64 s[4:5], 1.0, v[4:5]
	s_or_b64 s[4:5], vcc, s[4:5]
	s_and_saveexec_b64 s[6:7], s[4:5]
	s_cbranch_execz .LBB66_23
; %bb.5:
	s_load_dwordx2 s[14:15], s[0:1], 0x0
	v_lshrrev_b32_e32 v1, 6, v0
	v_lshl_or_b32 v6, s2, 1, v1
	s_waitcnt lgkmcnt(0)
	v_cmp_gt_i32_e32 vcc, s14, v6
	s_and_b64 exec, exec, vcc
	s_cbranch_execz .LBB66_23
; %bb.6:
	s_load_dwordx8 s[4:11], s[0:1], 0x10
	v_ashrrev_i32_e32 v7, 31, v6
	s_cmp_lg_u32 s15, 0
	s_waitcnt lgkmcnt(0)
	v_lshl_add_u64 v[8:9], v[6:7], 2, s[4:5]
	global_load_dwordx2 v[8:9], v[8:9], off
	v_and_b32_e32 v7, 63, v0
	s_waitcnt vmcnt(0)
	v_subrev_u32_e32 v0, s12, v8
	v_subrev_u32_e32 v22, s12, v9
	v_add_u32_e32 v12, v0, v7
	v_cmp_lt_i32_e64 s[2:3], v12, v22
	s_cbranch_scc0 .LBB66_12
; %bb.7:
	v_mov_b64_e32 v[10:11], 0
	s_mov_b64 s[4:5], 0
	v_mov_b64_e32 v[0:1], v[10:11]
	v_mov_b64_e32 v[8:9], v[10:11]
	s_and_saveexec_b64 s[14:15], s[2:3]
	s_cbranch_execz .LBB66_11
; %bb.8:
	v_mad_u64_u32 v[14:15], s[16:17], v12, 21, 20
	v_mov_b64_e32 v[10:11], 0
	s_mov_b64 s[16:17], 0
	v_mov_b32_e32 v17, 0
	v_mov_b32_e32 v18, v12
	v_mov_b64_e32 v[0:1], v[10:11]
	v_mov_b64_e32 v[8:9], v[10:11]
.LBB66_9:                               ; =>This Inner Loop Header: Depth=1
	v_ashrrev_i32_e32 v19, 31, v18
	v_lshl_add_u64 v[20:21], v[18:19], 2, s[6:7]
	global_load_dword v13, v[20:21], off
	v_subrev_u32_e32 v16, 20, v14
	v_lshl_add_u64 v[24:25], v[16:17], 3, s[8:9]
	v_subrev_u32_e32 v16, 19, v14
	v_lshl_add_u64 v[28:29], v[16:17], 3, s[8:9]
	;; [unrolled: 2-line block ×4, first 2 shown]
	global_load_dwordx2 v[24:25], v[24:25], off
	v_mov_b32_e32 v21, v17
	global_load_dwordx2 v[28:29], v[28:29], off
	s_nop 0
	global_load_dwordx2 v[34:35], v[30:31], off
	global_load_dwordx2 v[36:37], v[32:33], off
	v_mov_b32_e32 v15, v17
	v_lshl_add_u64 v[26:27], v[14:15], 3, s[8:9]
	v_add_u32_e32 v18, 64, v18
	v_cmp_ge_i32_e32 vcc, v18, v22
	s_or_b64 s[16:17], vcc, s[16:17]
	s_waitcnt vmcnt(4)
	v_subrev_u32_e32 v13, s12, v13
	v_mul_lo_u32 v20, v13, 7
	v_add_u32_e32 v16, 1, v20
	v_lshl_add_u64 v[32:33], v[16:17], 3, s[10:11]
	v_add_u32_e32 v16, -16, v14
	v_lshl_add_u64 v[38:39], v[16:17], 3, s[8:9]
	v_add_u32_e32 v16, -15, v14
	;; [unrolled: 2-line block ×3, first 2 shown]
	v_lshl_add_u64 v[30:31], v[20:21], 3, s[10:11]
	v_lshl_add_u64 v[42:43], v[16:17], 3, s[8:9]
	v_add_u32_e32 v16, 2, v20
	global_load_dwordx2 v[30:31], v[30:31], off
	s_nop 0
	global_load_dwordx2 v[32:33], v[32:33], off
	s_waitcnt vmcnt(1)
	v_fmac_f64_e32 v[10:11], v[24:25], v[30:31]
	global_load_dwordx2 v[38:39], v[38:39], off
	s_nop 0
	global_load_dwordx2 v[44:45], v[40:41], off
	global_load_dwordx2 v[46:47], v[42:43], off
	v_lshl_add_u64 v[40:41], v[16:17], 3, s[10:11]
	v_add_u32_e32 v16, -13, v14
	v_lshl_add_u64 v[42:43], v[16:17], 3, s[8:9]
	v_add_u32_e32 v16, -12, v14
	v_lshl_add_u64 v[48:49], v[16:17], 3, s[8:9]
	v_add_u32_e32 v16, -11, v14
	v_lshl_add_u64 v[50:51], v[16:17], 3, s[8:9]
	v_add_u32_e32 v16, 3, v20
	global_load_dwordx2 v[40:41], v[40:41], off
	v_fmac_f64_e32 v[8:9], v[28:29], v[30:31]
	global_load_dwordx2 v[42:43], v[42:43], off
	s_nop 0
	global_load_dwordx2 v[52:53], v[48:49], off
	global_load_dwordx2 v[54:55], v[50:51], off
	v_lshl_add_u64 v[48:49], v[16:17], 3, s[10:11]
	v_add_u32_e32 v16, -10, v14
	v_lshl_add_u64 v[50:51], v[16:17], 3, s[8:9]
	v_add_u32_e32 v16, -9, v14
	v_lshl_add_u64 v[56:57], v[16:17], 3, s[8:9]
	v_add_u32_e32 v16, -8, v14
	v_lshl_add_u64 v[58:59], v[16:17], 3, s[8:9]
	v_add_u32_e32 v16, 4, v20
	global_load_dwordx2 v[48:49], v[48:49], off
	;; [unrolled: 14-line block ×3, first 2 shown]
	s_waitcnt vmcnt(12)
	v_fmac_f64_e32 v[10:11], v[36:37], v[32:33]
	global_load_dwordx2 v[58:59], v[58:59], off
	s_nop 0
	global_load_dwordx2 v[68:69], v[64:65], off
	global_load_dwordx2 v[70:71], v[66:67], off
	v_lshl_add_u64 v[64:65], v[16:17], 3, s[10:11]
	v_add_u32_e32 v16, -4, v14
	v_lshl_add_u64 v[66:67], v[16:17], 3, s[8:9]
	v_add_u32_e32 v16, -3, v14
	;; [unrolled: 2-line block ×3, first 2 shown]
	v_lshl_add_u64 v[74:75], v[16:17], 3, s[8:9]
	v_add_u32_e32 v16, 6, v20
	global_load_dwordx2 v[64:65], v[64:65], off
	s_waitcnt vmcnt(15)
	v_fmac_f64_e32 v[8:9], v[38:39], v[32:33]
	global_load_dwordx2 v[66:67], v[66:67], off
	s_nop 0
	global_load_dwordx2 v[20:21], v[72:73], off
	global_load_dwordx2 v[76:77], v[74:75], off
	v_lshl_add_u64 v[72:73], v[16:17], 3, s[10:11]
	v_add_u32_e32 v16, -1, v14
	v_lshl_add_u64 v[74:75], v[16:17], 3, s[8:9]
	global_load_dwordx2 v[72:73], v[72:73], off
	s_nop 0
	global_load_dwordx2 v[78:79], v[74:75], off
	global_load_dwordx2 v[80:81], v[26:27], off
	s_waitcnt vmcnt(20)
	v_fmac_f64_e32 v[0:1], v[44:45], v[32:33]
	v_add_u32_e32 v14, 0x540, v14
	s_waitcnt vmcnt(18)
	v_fmac_f64_e32 v[10:11], v[46:47], v[40:41]
	s_waitcnt vmcnt(17)
	v_fmac_f64_e32 v[8:9], v[42:43], v[40:41]
	;; [unrolled: 2-line block ×15, first 2 shown]
	s_andn2_b64 exec, exec, s[16:17]
	s_cbranch_execnz .LBB66_9
; %bb.10:
	s_or_b64 exec, exec, s[16:17]
.LBB66_11:
	s_or_b64 exec, exec, s[14:15]
	s_andn2_b64 vcc, exec, s[4:5]
	s_cbranch_vccz .LBB66_13
	s_branch .LBB66_18
.LBB66_12:
                                        ; implicit-def: $vgpr10_vgpr11
                                        ; implicit-def: $vgpr0_vgpr1
                                        ; implicit-def: $vgpr8_vgpr9
.LBB66_13:
	v_mov_b64_e32 v[10:11], 0
	v_mov_b64_e32 v[0:1], v[10:11]
	;; [unrolled: 1-line block ×3, first 2 shown]
	s_and_saveexec_b64 s[4:5], s[2:3]
	s_cbranch_execz .LBB66_17
; %bb.14:
	v_mad_u64_u32 v[14:15], s[2:3], v12, 21, 20
	v_mov_b64_e32 v[10:11], 0
	s_mov_b64 s[2:3], 0
	v_mov_b32_e32 v17, 0
	v_mov_b64_e32 v[0:1], v[10:11]
	v_mov_b64_e32 v[8:9], v[10:11]
.LBB66_15:                              ; =>This Inner Loop Header: Depth=1
	v_ashrrev_i32_e32 v13, 31, v12
	v_lshl_add_u64 v[18:19], v[12:13], 2, s[6:7]
	global_load_dword v13, v[18:19], off
	v_subrev_u32_e32 v16, 20, v14
	v_add_u32_e32 v18, -13, v14
	v_mov_b32_e32 v19, v17
	v_add_u32_e32 v20, -6, v14
	v_mov_b32_e32 v25, v17
	v_mov_b32_e32 v21, v17
	v_lshl_add_u64 v[26:27], v[16:17], 3, s[8:9]
	v_lshl_add_u64 v[18:19], v[18:19], 3, s[8:9]
	v_subrev_u32_e32 v16, 19, v14
	v_lshl_add_u64 v[20:21], v[20:21], 3, s[8:9]
	global_load_dwordx2 v[26:27], v[26:27], off
	v_lshl_add_u64 v[30:31], v[16:17], 3, s[8:9]
	global_load_dwordx2 v[32:33], v[18:19], off
	global_load_dwordx2 v[34:35], v[20:21], off
	;; [unrolled: 1-line block ×3, first 2 shown]
	v_mov_b32_e32 v15, v17
	v_lshl_add_u64 v[28:29], v[14:15], 3, s[8:9]
	v_add_u32_e32 v12, 64, v12
	v_cmp_ge_i32_e32 vcc, v12, v22
	s_or_b64 s[2:3], vcc, s[2:3]
	s_waitcnt vmcnt(4)
	v_subrev_u32_e32 v13, s12, v13
	v_mul_lo_u32 v24, v13, 7
	v_lshl_add_u64 v[18:19], v[24:25], 3, s[10:11]
	global_load_dwordx2 v[18:19], v[18:19], off
	v_add_u32_e32 v16, 1, v24
	v_lshl_add_u64 v[20:21], v[16:17], 3, s[10:11]
	global_load_dwordx2 v[20:21], v[20:21], off
	v_add_u32_e32 v16, -12, v14
	v_lshl_add_u64 v[30:31], v[16:17], 3, s[8:9]
	v_add_u32_e32 v16, -5, v14
	v_lshl_add_u64 v[38:39], v[16:17], 3, s[8:9]
	v_subrev_u32_e32 v16, 18, v14
	v_lshl_add_u64 v[40:41], v[16:17], 3, s[8:9]
	v_add_u32_e32 v16, 2, v24
	global_load_dwordx2 v[30:31], v[30:31], off
	s_nop 0
	global_load_dwordx2 v[42:43], v[38:39], off
	global_load_dwordx2 v[44:45], v[40:41], off
	v_lshl_add_u64 v[38:39], v[16:17], 3, s[10:11]
	v_add_u32_e32 v16, -11, v14
	v_lshl_add_u64 v[40:41], v[16:17], 3, s[8:9]
	v_add_u32_e32 v16, -4, v14
	v_lshl_add_u64 v[46:47], v[16:17], 3, s[8:9]
	v_subrev_u32_e32 v16, 17, v14
	v_lshl_add_u64 v[48:49], v[16:17], 3, s[8:9]
	v_add_u32_e32 v16, 3, v24
	global_load_dwordx2 v[38:39], v[38:39], off
	s_waitcnt vmcnt(5)
	v_fmac_f64_e32 v[10:11], v[26:27], v[18:19]
	global_load_dwordx2 v[40:41], v[40:41], off
	s_nop 0
	global_load_dwordx2 v[50:51], v[46:47], off
	global_load_dwordx2 v[52:53], v[48:49], off
	v_lshl_add_u64 v[46:47], v[16:17], 3, s[10:11]
	v_add_u32_e32 v16, -10, v14
	v_lshl_add_u64 v[48:49], v[16:17], 3, s[8:9]
	v_add_u32_e32 v16, -3, v14
	v_lshl_add_u64 v[54:55], v[16:17], 3, s[8:9]
	v_add_u32_e32 v16, -16, v14
	v_lshl_add_u64 v[56:57], v[16:17], 3, s[8:9]
	v_add_u32_e32 v16, 4, v24
	global_load_dwordx2 v[46:47], v[46:47], off
	v_fmac_f64_e32 v[8:9], v[32:33], v[18:19]
	global_load_dwordx2 v[48:49], v[48:49], off
	s_nop 0
	global_load_dwordx2 v[58:59], v[54:55], off
	global_load_dwordx2 v[60:61], v[56:57], off
	v_lshl_add_u64 v[54:55], v[16:17], 3, s[10:11]
	v_add_u32_e32 v16, -9, v14
	v_lshl_add_u64 v[56:57], v[16:17], 3, s[8:9]
	v_add_u32_e32 v16, -2, v14
	v_lshl_add_u64 v[62:63], v[16:17], 3, s[8:9]
	v_add_u32_e32 v16, -15, v14
	v_lshl_add_u64 v[64:65], v[16:17], 3, s[8:9]
	v_add_u32_e32 v16, 5, v24
	global_load_dwordx2 v[54:55], v[54:55], off
	;; [unrolled: 14-line block ×3, first 2 shown]
	s_waitcnt vmcnt(16)
	v_fmac_f64_e32 v[10:11], v[36:37], v[20:21]
	global_load_dwordx2 v[64:65], v[64:65], off
	s_nop 0
	global_load_dwordx2 v[24:25], v[70:71], off
	global_load_dwordx2 v[74:75], v[72:73], off
	v_lshl_add_u64 v[70:71], v[16:17], 3, s[10:11]
	v_add_u32_e32 v16, -7, v14
	v_lshl_add_u64 v[26:27], v[16:17], 3, s[8:9]
	global_load_dwordx2 v[70:71], v[70:71], off
	s_nop 0
	global_load_dwordx2 v[72:73], v[26:27], off
	global_load_dwordx2 v[76:77], v[28:29], off
	s_waitcnt vmcnt(21)
	v_fmac_f64_e32 v[8:9], v[30:31], v[20:21]
	s_waitcnt vmcnt(20)
	v_fmac_f64_e32 v[0:1], v[42:43], v[20:21]
	;; [unrolled: 2-line block ×3, first 2 shown]
	v_add_u32_e32 v14, 0x540, v14
	s_waitcnt vmcnt(17)
	v_fmac_f64_e32 v[8:9], v[40:41], v[38:39]
	s_waitcnt vmcnt(16)
	v_fmac_f64_e32 v[0:1], v[50:51], v[38:39]
	;; [unrolled: 2-line block ×14, first 2 shown]
	s_andn2_b64 exec, exec, s[2:3]
	s_cbranch_execnz .LBB66_15
; %bb.16:
	s_or_b64 exec, exec, s[2:3]
.LBB66_17:
	s_or_b64 exec, exec, s[4:5]
.LBB66_18:
	v_mov_b32_dpp v12, v10 row_shr:1 row_mask:0xf bank_mask:0xf
	v_mov_b32_dpp v13, v11 row_shr:1 row_mask:0xf bank_mask:0xf
	v_mov_b32_dpp v14, v8 row_shr:1 row_mask:0xf bank_mask:0xf
	v_mov_b32_dpp v15, v9 row_shr:1 row_mask:0xf bank_mask:0xf
	v_mov_b32_dpp v16, v0 row_shr:1 row_mask:0xf bank_mask:0xf
	v_mov_b32_dpp v17, v1 row_shr:1 row_mask:0xf bank_mask:0xf
	v_add_f64 v[10:11], v[10:11], v[12:13]
	v_add_f64 v[8:9], v[8:9], v[14:15]
	v_add_f64 v[0:1], v[0:1], v[16:17]
	v_mov_b32_dpp v12, v10 row_shr:2 row_mask:0xf bank_mask:0xf
	v_mov_b32_dpp v13, v11 row_shr:2 row_mask:0xf bank_mask:0xf
	v_mov_b32_dpp v14, v8 row_shr:2 row_mask:0xf bank_mask:0xf
	v_mov_b32_dpp v15, v9 row_shr:2 row_mask:0xf bank_mask:0xf
	v_mov_b32_dpp v16, v0 row_shr:2 row_mask:0xf bank_mask:0xf
	v_mov_b32_dpp v17, v1 row_shr:2 row_mask:0xf bank_mask:0xf
	v_add_f64 v[10:11], v[10:11], v[12:13]
	v_add_f64 v[8:9], v[8:9], v[14:15]
	v_add_f64 v[0:1], v[0:1], v[16:17]
	;; [unrolled: 9-line block ×4, first 2 shown]
	v_mov_b32_dpp v12, v10 row_bcast:15 row_mask:0xa bank_mask:0xf
	v_mov_b32_dpp v13, v11 row_bcast:15 row_mask:0xa bank_mask:0xf
	;; [unrolled: 1-line block ×6, first 2 shown]
	v_add_f64 v[10:11], v[10:11], v[12:13]
	v_add_f64 v[8:9], v[8:9], v[14:15]
	;; [unrolled: 1-line block ×3, first 2 shown]
	v_mov_b32_dpp v12, v10 row_bcast:31 row_mask:0xc bank_mask:0xf
	v_mov_b32_dpp v13, v11 row_bcast:31 row_mask:0xc bank_mask:0xf
	;; [unrolled: 1-line block ×6, first 2 shown]
	v_cmp_eq_u32_e32 vcc, 63, v7
	s_and_b64 exec, exec, vcc
	s_cbranch_execz .LBB66_23
; %bb.19:
	s_load_dwordx2 s[0:1], s[0:1], 0x38
	v_add_f64 v[10:11], v[10:11], v[12:13]
	v_add_f64 v[8:9], v[8:9], v[14:15]
	;; [unrolled: 1-line block ×3, first 2 shown]
	v_cmp_eq_f64_e32 vcc, 0, v[4:5]
	s_and_saveexec_b64 s[2:3], vcc
	s_xor_b64 s[2:3], exec, s[2:3]
	s_cbranch_execz .LBB66_21
; %bb.20:
	v_lshl_add_u32 v6, v6, 1, v6
	v_ashrrev_i32_e32 v7, 31, v6
	v_mul_f64 v[4:5], v[2:3], v[10:11]
	s_waitcnt lgkmcnt(0)
	v_lshl_add_u64 v[10:11], v[6:7], 3, s[0:1]
	v_mul_f64 v[6:7], v[2:3], v[8:9]
	v_mul_f64 v[0:1], v[2:3], v[0:1]
	global_store_dwordx4 v[10:11], v[4:7], off
	global_store_dwordx2 v[10:11], v[0:1], off offset:16
                                        ; implicit-def: $vgpr6
                                        ; implicit-def: $vgpr2_vgpr3
                                        ; implicit-def: $vgpr10_vgpr11
                                        ; implicit-def: $vgpr4_vgpr5
                                        ; implicit-def: $vgpr8_vgpr9
                                        ; implicit-def: $vgpr0_vgpr1
.LBB66_21:
	s_andn2_saveexec_b64 s[2:3], s[2:3]
	s_cbranch_execz .LBB66_23
; %bb.22:
	v_lshl_add_u32 v6, v6, 1, v6
	v_ashrrev_i32_e32 v7, 31, v6
	s_waitcnt lgkmcnt(0)
	v_lshl_add_u64 v[16:17], v[6:7], 3, s[0:1]
	global_load_dwordx4 v[12:15], v[16:17], off
	global_load_dwordx2 v[18:19], v[16:17], off offset:16
	v_mul_f64 v[6:7], v[2:3], v[10:11]
	v_mul_f64 v[8:9], v[2:3], v[8:9]
	;; [unrolled: 1-line block ×3, first 2 shown]
	s_waitcnt vmcnt(1)
	v_fmac_f64_e32 v[6:7], v[4:5], v[12:13]
	v_fmac_f64_e32 v[8:9], v[4:5], v[14:15]
	s_waitcnt vmcnt(0)
	v_fmac_f64_e32 v[0:1], v[4:5], v[18:19]
	global_store_dwordx4 v[16:17], v[6:9], off
	global_store_dwordx2 v[16:17], v[0:1], off offset:16
.LBB66_23:
	s_endpgm
	.section	.rodata,"a",@progbits
	.p2align	6, 0x0
	.amdhsa_kernel _ZN9rocsparseL19gebsrmvn_3xn_kernelILj128ELj7ELj64EdEEvi20rocsparse_direction_NS_24const_host_device_scalarIT2_EEPKiS6_PKS3_S8_S4_PS3_21rocsparse_index_base_b
		.amdhsa_group_segment_fixed_size 0
		.amdhsa_private_segment_fixed_size 0
		.amdhsa_kernarg_size 72
		.amdhsa_user_sgpr_count 2
		.amdhsa_user_sgpr_dispatch_ptr 0
		.amdhsa_user_sgpr_queue_ptr 0
		.amdhsa_user_sgpr_kernarg_segment_ptr 1
		.amdhsa_user_sgpr_dispatch_id 0
		.amdhsa_user_sgpr_kernarg_preload_length 0
		.amdhsa_user_sgpr_kernarg_preload_offset 0
		.amdhsa_user_sgpr_private_segment_size 0
		.amdhsa_uses_dynamic_stack 0
		.amdhsa_enable_private_segment 0
		.amdhsa_system_sgpr_workgroup_id_x 1
		.amdhsa_system_sgpr_workgroup_id_y 0
		.amdhsa_system_sgpr_workgroup_id_z 0
		.amdhsa_system_sgpr_workgroup_info 0
		.amdhsa_system_vgpr_workitem_id 0
		.amdhsa_next_free_vgpr 82
		.amdhsa_next_free_sgpr 18
		.amdhsa_accum_offset 84
		.amdhsa_reserve_vcc 1
		.amdhsa_float_round_mode_32 0
		.amdhsa_float_round_mode_16_64 0
		.amdhsa_float_denorm_mode_32 3
		.amdhsa_float_denorm_mode_16_64 3
		.amdhsa_dx10_clamp 1
		.amdhsa_ieee_mode 1
		.amdhsa_fp16_overflow 0
		.amdhsa_tg_split 0
		.amdhsa_exception_fp_ieee_invalid_op 0
		.amdhsa_exception_fp_denorm_src 0
		.amdhsa_exception_fp_ieee_div_zero 0
		.amdhsa_exception_fp_ieee_overflow 0
		.amdhsa_exception_fp_ieee_underflow 0
		.amdhsa_exception_fp_ieee_inexact 0
		.amdhsa_exception_int_div_zero 0
	.end_amdhsa_kernel
	.section	.text._ZN9rocsparseL19gebsrmvn_3xn_kernelILj128ELj7ELj64EdEEvi20rocsparse_direction_NS_24const_host_device_scalarIT2_EEPKiS6_PKS3_S8_S4_PS3_21rocsparse_index_base_b,"axG",@progbits,_ZN9rocsparseL19gebsrmvn_3xn_kernelILj128ELj7ELj64EdEEvi20rocsparse_direction_NS_24const_host_device_scalarIT2_EEPKiS6_PKS3_S8_S4_PS3_21rocsparse_index_base_b,comdat
.Lfunc_end66:
	.size	_ZN9rocsparseL19gebsrmvn_3xn_kernelILj128ELj7ELj64EdEEvi20rocsparse_direction_NS_24const_host_device_scalarIT2_EEPKiS6_PKS3_S8_S4_PS3_21rocsparse_index_base_b, .Lfunc_end66-_ZN9rocsparseL19gebsrmvn_3xn_kernelILj128ELj7ELj64EdEEvi20rocsparse_direction_NS_24const_host_device_scalarIT2_EEPKiS6_PKS3_S8_S4_PS3_21rocsparse_index_base_b
                                        ; -- End function
	.section	.AMDGPU.csdata,"",@progbits
; Kernel info:
; codeLenInByte = 2628
; NumSgprs: 24
; NumVgprs: 82
; NumAgprs: 0
; TotalNumVgprs: 82
; ScratchSize: 0
; MemoryBound: 0
; FloatMode: 240
; IeeeMode: 1
; LDSByteSize: 0 bytes/workgroup (compile time only)
; SGPRBlocks: 2
; VGPRBlocks: 10
; NumSGPRsForWavesPerEU: 24
; NumVGPRsForWavesPerEU: 82
; AccumOffset: 84
; Occupancy: 5
; WaveLimiterHint : 1
; COMPUTE_PGM_RSRC2:SCRATCH_EN: 0
; COMPUTE_PGM_RSRC2:USER_SGPR: 2
; COMPUTE_PGM_RSRC2:TRAP_HANDLER: 0
; COMPUTE_PGM_RSRC2:TGID_X_EN: 1
; COMPUTE_PGM_RSRC2:TGID_Y_EN: 0
; COMPUTE_PGM_RSRC2:TGID_Z_EN: 0
; COMPUTE_PGM_RSRC2:TIDIG_COMP_CNT: 0
; COMPUTE_PGM_RSRC3_GFX90A:ACCUM_OFFSET: 20
; COMPUTE_PGM_RSRC3_GFX90A:TG_SPLIT: 0
	.section	.text._ZN9rocsparseL19gebsrmvn_3xn_kernelILj128ELj8ELj4EdEEvi20rocsparse_direction_NS_24const_host_device_scalarIT2_EEPKiS6_PKS3_S8_S4_PS3_21rocsparse_index_base_b,"axG",@progbits,_ZN9rocsparseL19gebsrmvn_3xn_kernelILj128ELj8ELj4EdEEvi20rocsparse_direction_NS_24const_host_device_scalarIT2_EEPKiS6_PKS3_S8_S4_PS3_21rocsparse_index_base_b,comdat
	.globl	_ZN9rocsparseL19gebsrmvn_3xn_kernelILj128ELj8ELj4EdEEvi20rocsparse_direction_NS_24const_host_device_scalarIT2_EEPKiS6_PKS3_S8_S4_PS3_21rocsparse_index_base_b ; -- Begin function _ZN9rocsparseL19gebsrmvn_3xn_kernelILj128ELj8ELj4EdEEvi20rocsparse_direction_NS_24const_host_device_scalarIT2_EEPKiS6_PKS3_S8_S4_PS3_21rocsparse_index_base_b
	.p2align	8
	.type	_ZN9rocsparseL19gebsrmvn_3xn_kernelILj128ELj8ELj4EdEEvi20rocsparse_direction_NS_24const_host_device_scalarIT2_EEPKiS6_PKS3_S8_S4_PS3_21rocsparse_index_base_b,@function
_ZN9rocsparseL19gebsrmvn_3xn_kernelILj128ELj8ELj4EdEEvi20rocsparse_direction_NS_24const_host_device_scalarIT2_EEPKiS6_PKS3_S8_S4_PS3_21rocsparse_index_base_b: ; @_ZN9rocsparseL19gebsrmvn_3xn_kernelILj128ELj8ELj4EdEEvi20rocsparse_direction_NS_24const_host_device_scalarIT2_EEPKiS6_PKS3_S8_S4_PS3_21rocsparse_index_base_b
; %bb.0:
	s_load_dwordx2 s[12:13], s[0:1], 0x40
	s_load_dwordx2 s[8:9], s[0:1], 0x8
	;; [unrolled: 1-line block ×3, first 2 shown]
	s_waitcnt lgkmcnt(0)
	s_bitcmp1_b32 s13, 0
	s_cselect_b64 s[10:11], -1, 0
	s_xor_b64 s[6:7], s[10:11], -1
	s_and_b64 vcc, exec, s[10:11]
	v_mov_b64_e32 v[2:3], s[8:9]
	s_cbranch_vccnz .LBB67_2
; %bb.1:
	v_mov_b64_e32 v[2:3], s[8:9]
	flat_load_dwordx2 v[2:3], v[2:3]
.LBB67_2:
	s_andn2_b64 vcc, exec, s[6:7]
	v_mov_b64_e32 v[4:5], s[4:5]
	s_cbranch_vccnz .LBB67_4
; %bb.3:
	v_mov_b64_e32 v[4:5], s[4:5]
	flat_load_dwordx2 v[4:5], v[4:5]
.LBB67_4:
	s_waitcnt vmcnt(0) lgkmcnt(0)
	v_cmp_neq_f64_e32 vcc, 0, v[2:3]
	v_cmp_neq_f64_e64 s[4:5], 1.0, v[4:5]
	s_or_b64 s[4:5], vcc, s[4:5]
	s_and_saveexec_b64 s[6:7], s[4:5]
	s_cbranch_execz .LBB67_23
; %bb.5:
	s_load_dwordx2 s[14:15], s[0:1], 0x0
	v_lshrrev_b32_e32 v1, 2, v0
	v_lshl_or_b32 v6, s2, 5, v1
	s_waitcnt lgkmcnt(0)
	v_cmp_gt_i32_e32 vcc, s14, v6
	s_and_b64 exec, exec, vcc
	s_cbranch_execz .LBB67_23
; %bb.6:
	s_load_dwordx8 s[4:11], s[0:1], 0x10
	v_ashrrev_i32_e32 v7, 31, v6
	s_cmp_lg_u32 s15, 0
	s_waitcnt lgkmcnt(0)
	v_lshl_add_u64 v[8:9], v[6:7], 2, s[4:5]
	global_load_dwordx2 v[8:9], v[8:9], off
	v_and_b32_e32 v7, 3, v0
	s_waitcnt vmcnt(0)
	v_subrev_u32_e32 v0, s12, v8
	v_subrev_u32_e32 v22, s12, v9
	v_add_u32_e32 v10, v0, v7
	v_cmp_lt_i32_e64 s[2:3], v10, v22
	s_cbranch_scc0 .LBB67_12
; %bb.7:
	v_mov_b64_e32 v[0:1], 0
	s_mov_b64 s[4:5], 0
	v_mov_b64_e32 v[8:9], v[0:1]
	v_mov_b64_e32 v[12:13], v[0:1]
	s_and_saveexec_b64 s[14:15], s[2:3]
	s_cbranch_execz .LBB67_11
; %bb.8:
	v_mad_u64_u32 v[14:15], s[16:17], v10, 24, 23
	v_mov_b64_e32 v[0:1], 0
	s_mov_b64 s[16:17], 0
	v_mov_b32_e32 v17, 0
	v_mov_b32_e32 v18, v10
	v_mov_b64_e32 v[8:9], v[0:1]
	v_mov_b64_e32 v[12:13], v[0:1]
.LBB67_9:                               ; =>This Inner Loop Header: Depth=1
	v_ashrrev_i32_e32 v19, 31, v18
	v_subrev_u32_e32 v16, 23, v14
	v_lshl_add_u64 v[40:41], v[18:19], 2, s[6:7]
	v_lshl_add_u64 v[42:43], v[16:17], 3, s[8:9]
	global_load_dword v11, v[40:41], off
	global_load_dwordx4 v[24:27], v[42:43], off offset:48
	global_load_dwordx4 v[28:31], v[42:43], off offset:32
	;; [unrolled: 1-line block ×3, first 2 shown]
	global_load_dwordx4 v[36:39], v[42:43], off
	v_add_u32_e32 v16, -15, v14
	v_mov_b32_e32 v15, v17
	v_lshl_add_u64 v[40:41], v[16:17], 3, s[8:9]
	v_add_u32_e32 v16, -14, v14
	v_lshl_add_u64 v[44:45], v[14:15], 3, s[8:9]
	v_lshl_add_u64 v[42:43], v[16:17], 3, s[8:9]
	v_add_u32_e32 v16, -13, v14
	global_load_dwordx2 v[44:45], v[44:45], off
	v_mov_b32_e32 v21, v17
	global_load_dwordx2 v[48:49], v[42:43], off
	global_load_dwordx2 v[46:47], v[40:41], off
	v_lshl_add_u64 v[40:41], v[16:17], 3, s[8:9]
	v_add_u32_e32 v16, -12, v14
	v_lshl_add_u64 v[42:43], v[16:17], 3, s[8:9]
	v_add_u32_e32 v16, -11, v14
	global_load_dwordx2 v[50:51], v[40:41], off
	global_load_dwordx2 v[52:53], v[42:43], off
	v_lshl_add_u64 v[40:41], v[16:17], 3, s[8:9]
	v_add_u32_e32 v16, -10, v14
	v_lshl_add_u64 v[42:43], v[16:17], 3, s[8:9]
	v_add_u32_e32 v16, -9, v14
	global_load_dwordx2 v[54:55], v[40:41], off
	global_load_dwordx2 v[56:57], v[42:43], off
	v_lshl_add_u64 v[40:41], v[16:17], 3, s[8:9]
	v_add_u32_e32 v16, -8, v14
	v_lshl_add_u64 v[42:43], v[16:17], 3, s[8:9]
	global_load_dwordx2 v[58:59], v[40:41], off
	global_load_dwordx2 v[60:61], v[42:43], off
	v_add_u32_e32 v16, -7, v14
	v_add_u32_e32 v18, 4, v18
	v_cmp_ge_i32_e32 vcc, v18, v22
	s_or_b64 s[16:17], vcc, s[16:17]
	s_waitcnt vmcnt(13)
	v_subrev_u32_e32 v11, s12, v11
	v_lshlrev_b32_e32 v20, 3, v11
	v_lshl_add_u64 v[20:21], v[20:21], 3, s[10:11]
	global_load_dwordx4 v[40:43], v[20:21], off
	s_waitcnt vmcnt(0)
	v_fmac_f64_e32 v[0:1], v[36:37], v[40:41]
	v_lshl_add_u64 v[36:37], v[16:17], 3, s[8:9]
	v_add_u32_e32 v16, -6, v14
	v_fmac_f64_e32 v[12:13], v[38:39], v[40:41]
	v_lshl_add_u64 v[38:39], v[16:17], 3, s[8:9]
	v_add_u32_e32 v16, -5, v14
	;; [unrolled: 3-line block ×5, first 2 shown]
	global_load_dwordx2 v[36:37], v[36:37], off
	v_fmac_f64_e32 v[8:9], v[30:31], v[42:43]
	global_load_dwordx2 v[38:39], v[38:39], off
	s_nop 0
	global_load_dwordx2 v[40:41], v[32:33], off
	global_load_dwordx2 v[62:63], v[34:35], off
	v_lshl_add_u64 v[32:33], v[16:17], 3, s[8:9]
	global_load_dwordx2 v[42:43], v[28:29], off
	global_load_dwordx2 v[66:67], v[32:33], off
	v_add_u32_e32 v16, -1, v14
	global_load_dwordx4 v[28:31], v[20:21], off offset:16
	v_lshl_add_u64 v[64:65], v[16:17], 3, s[8:9]
	v_add_u32_e32 v14, 0x60, v14
	s_waitcnt vmcnt(0)
	v_fmac_f64_e32 v[0:1], v[24:25], v[28:29]
	v_fmac_f64_e32 v[12:13], v[26:27], v[28:29]
	global_load_dwordx4 v[24:27], v[20:21], off offset:32
	v_fmac_f64_e32 v[8:9], v[46:47], v[28:29]
	global_load_dwordx4 v[32:35], v[20:21], off offset:48
	global_load_dwordx2 v[28:29], v[64:65], off
	v_fmac_f64_e32 v[0:1], v[48:49], v[30:31]
	v_fmac_f64_e32 v[12:13], v[50:51], v[30:31]
	;; [unrolled: 1-line block ×3, first 2 shown]
	s_waitcnt vmcnt(2)
	v_fmac_f64_e32 v[0:1], v[54:55], v[24:25]
	v_fmac_f64_e32 v[12:13], v[56:57], v[24:25]
	;; [unrolled: 1-line block ×6, first 2 shown]
	s_waitcnt vmcnt(1)
	v_fmac_f64_e32 v[0:1], v[40:41], v[32:33]
	v_fmac_f64_e32 v[12:13], v[62:63], v[32:33]
	;; [unrolled: 1-line block ×4, first 2 shown]
	s_waitcnt vmcnt(0)
	v_fmac_f64_e32 v[12:13], v[28:29], v[34:35]
	v_fmac_f64_e32 v[8:9], v[44:45], v[34:35]
	s_andn2_b64 exec, exec, s[16:17]
	s_cbranch_execnz .LBB67_9
; %bb.10:
	s_or_b64 exec, exec, s[16:17]
.LBB67_11:
	s_or_b64 exec, exec, s[14:15]
	s_andn2_b64 vcc, exec, s[4:5]
	s_cbranch_vccz .LBB67_13
	s_branch .LBB67_18
.LBB67_12:
                                        ; implicit-def: $vgpr0_vgpr1
                                        ; implicit-def: $vgpr8_vgpr9
                                        ; implicit-def: $vgpr12_vgpr13
.LBB67_13:
	v_mov_b64_e32 v[0:1], 0
	v_mov_b64_e32 v[8:9], v[0:1]
	;; [unrolled: 1-line block ×3, first 2 shown]
	s_and_saveexec_b64 s[4:5], s[2:3]
	s_cbranch_execz .LBB67_17
; %bb.14:
	v_mad_u64_u32 v[14:15], s[2:3], v10, 24, 23
	v_mov_b64_e32 v[0:1], 0
	s_mov_b64 s[2:3], 0
	v_mov_b32_e32 v17, 0
	v_mov_b64_e32 v[8:9], v[0:1]
	v_mov_b64_e32 v[12:13], v[0:1]
.LBB67_15:                              ; =>This Inner Loop Header: Depth=1
	v_ashrrev_i32_e32 v11, 31, v10
	v_subrev_u32_e32 v16, 23, v14
	v_add_u32_e32 v18, -15, v14
	v_add_u32_e32 v20, -7, v14
	v_mov_b32_e32 v19, v17
	v_mov_b32_e32 v21, v17
	v_lshl_add_u64 v[38:39], v[10:11], 2, s[6:7]
	v_lshl_add_u64 v[40:41], v[16:17], 3, s[8:9]
	;; [unrolled: 1-line block ×4, first 2 shown]
	global_load_dword v11, v[38:39], off
	global_load_dwordx4 v[18:21], v[40:41], off offset:48
	global_load_dwordx4 v[24:27], v[40:41], off offset:32
	;; [unrolled: 1-line block ×3, first 2 shown]
	global_load_dwordx4 v[32:35], v[40:41], off
	v_add_u32_e32 v16, -14, v14
	v_mov_b32_e32 v15, v17
	v_lshl_add_u64 v[38:39], v[16:17], 3, s[8:9]
	v_add_u32_e32 v16, -6, v14
	v_lshl_add_u64 v[46:47], v[14:15], 3, s[8:9]
	global_load_dwordx2 v[40:41], v[42:43], off
	global_load_dwordx2 v[48:49], v[44:45], off
	;; [unrolled: 1-line block ×3, first 2 shown]
	v_lshl_add_u64 v[42:43], v[16:17], 3, s[8:9]
	v_add_u32_e32 v16, -13, v14
	global_load_dwordx2 v[44:45], v[38:39], off
	global_load_dwordx2 v[46:47], v[42:43], off
	v_lshl_add_u64 v[38:39], v[16:17], 3, s[8:9]
	v_add_u32_e32 v16, -5, v14
	v_lshl_add_u64 v[42:43], v[16:17], 3, s[8:9]
	v_add_u32_e32 v16, -12, v14
	global_load_dwordx2 v[52:53], v[38:39], off
	v_mov_b32_e32 v37, v17
	global_load_dwordx2 v[42:43], v[42:43], off
	v_lshl_add_u64 v[38:39], v[16:17], 3, s[8:9]
	v_add_u32_e32 v16, -4, v14
	v_lshl_add_u64 v[54:55], v[16:17], 3, s[8:9]
	global_load_dwordx2 v[56:57], v[38:39], off
	global_load_dwordx2 v[58:59], v[54:55], off
	v_add_u32_e32 v16, -11, v14
	v_add_u32_e32 v10, 4, v10
	v_cmp_ge_i32_e32 vcc, v10, v22
	s_or_b64 s[2:3], vcc, s[2:3]
	s_waitcnt vmcnt(13)
	v_subrev_u32_e32 v11, s12, v11
	v_lshlrev_b32_e32 v36, 3, v11
	v_lshl_add_u64 v[54:55], v[36:37], 3, s[10:11]
	global_load_dwordx4 v[36:39], v[54:55], off
	s_waitcnt vmcnt(0)
	v_fmac_f64_e32 v[0:1], v[32:33], v[36:37]
	v_lshl_add_u64 v[32:33], v[16:17], 3, s[8:9]
	v_add_u32_e32 v16, -3, v14
	v_fmac_f64_e32 v[0:1], v[34:35], v[38:39]
	v_lshl_add_u64 v[34:35], v[16:17], 3, s[8:9]
	v_add_u32_e32 v16, -10, v14
	global_load_dwordx2 v[60:61], v[32:33], off
	global_load_dwordx2 v[62:63], v[34:35], off
	v_lshl_add_u64 v[32:33], v[16:17], 3, s[8:9]
	v_add_u32_e32 v16, -2, v14
	v_lshl_add_u64 v[34:35], v[16:17], 3, s[8:9]
	v_add_u32_e32 v16, -9, v14
	v_fmac_f64_e32 v[12:13], v[40:41], v[36:37]
	v_fmac_f64_e32 v[8:9], v[48:49], v[36:37]
	v_lshl_add_u64 v[36:37], v[16:17], 3, s[8:9]
	v_add_u32_e32 v16, -1, v14
	global_load_dwordx2 v[40:41], v[32:33], off
	global_load_dwordx2 v[48:49], v[34:35], off
	v_fmac_f64_e32 v[12:13], v[44:45], v[38:39]
	v_fmac_f64_e32 v[8:9], v[46:47], v[38:39]
	v_lshl_add_u64 v[38:39], v[16:17], 3, s[8:9]
	global_load_dwordx2 v[44:45], v[36:37], off
	global_load_dwordx2 v[46:47], v[38:39], off
	global_load_dwordx4 v[32:35], v[54:55], off offset:16
	v_add_u32_e32 v16, -8, v14
	v_add_u32_e32 v14, 0x60, v14
	s_waitcnt vmcnt(0)
	v_fmac_f64_e32 v[0:1], v[28:29], v[32:33]
	v_fmac_f64_e32 v[0:1], v[30:31], v[34:35]
	global_load_dwordx4 v[28:31], v[54:55], off offset:32
	v_fmac_f64_e32 v[12:13], v[52:53], v[32:33]
	v_lshl_add_u64 v[52:53], v[16:17], 3, s[8:9]
	v_fmac_f64_e32 v[8:9], v[42:43], v[32:33]
	global_load_dwordx4 v[36:39], v[54:55], off offset:48
	global_load_dwordx2 v[32:33], v[52:53], off
	v_fmac_f64_e32 v[12:13], v[56:57], v[34:35]
	v_fmac_f64_e32 v[8:9], v[58:59], v[34:35]
	s_waitcnt vmcnt(2)
	v_fmac_f64_e32 v[0:1], v[24:25], v[28:29]
	v_fmac_f64_e32 v[12:13], v[60:61], v[28:29]
	;; [unrolled: 1-line block ×6, first 2 shown]
	s_waitcnt vmcnt(1)
	v_fmac_f64_e32 v[0:1], v[18:19], v[36:37]
	v_fmac_f64_e32 v[12:13], v[44:45], v[36:37]
	;; [unrolled: 1-line block ×4, first 2 shown]
	s_waitcnt vmcnt(0)
	v_fmac_f64_e32 v[12:13], v[32:33], v[38:39]
	v_fmac_f64_e32 v[8:9], v[50:51], v[38:39]
	s_andn2_b64 exec, exec, s[2:3]
	s_cbranch_execnz .LBB67_15
; %bb.16:
	s_or_b64 exec, exec, s[2:3]
.LBB67_17:
	s_or_b64 exec, exec, s[4:5]
.LBB67_18:
	v_mov_b32_dpp v10, v0 row_shr:1 row_mask:0xf bank_mask:0xf
	v_mov_b32_dpp v11, v1 row_shr:1 row_mask:0xf bank_mask:0xf
	v_mov_b32_dpp v14, v12 row_shr:1 row_mask:0xf bank_mask:0xf
	v_mov_b32_dpp v15, v13 row_shr:1 row_mask:0xf bank_mask:0xf
	v_mov_b32_dpp v16, v8 row_shr:1 row_mask:0xf bank_mask:0xf
	v_mov_b32_dpp v17, v9 row_shr:1 row_mask:0xf bank_mask:0xf
	v_add_f64 v[0:1], v[0:1], v[10:11]
	v_add_f64 v[12:13], v[12:13], v[14:15]
	;; [unrolled: 1-line block ×3, first 2 shown]
	v_mov_b32_dpp v10, v0 row_shr:2 row_mask:0xf bank_mask:0xf
	v_mov_b32_dpp v11, v1 row_shr:2 row_mask:0xf bank_mask:0xf
	;; [unrolled: 1-line block ×6, first 2 shown]
	v_cmp_eq_u32_e32 vcc, 3, v7
	s_and_b64 exec, exec, vcc
	s_cbranch_execz .LBB67_23
; %bb.19:
	s_load_dwordx2 s[0:1], s[0:1], 0x38
	v_add_f64 v[10:11], v[0:1], v[10:11]
	v_add_f64 v[8:9], v[12:13], v[14:15]
	;; [unrolled: 1-line block ×3, first 2 shown]
	v_cmp_eq_f64_e32 vcc, 0, v[4:5]
	s_and_saveexec_b64 s[2:3], vcc
	s_xor_b64 s[2:3], exec, s[2:3]
	s_cbranch_execz .LBB67_21
; %bb.20:
	v_lshl_add_u32 v6, v6, 1, v6
	v_ashrrev_i32_e32 v7, 31, v6
	v_mul_f64 v[4:5], v[2:3], v[10:11]
	s_waitcnt lgkmcnt(0)
	v_lshl_add_u64 v[10:11], v[6:7], 3, s[0:1]
	v_mul_f64 v[6:7], v[2:3], v[8:9]
	v_mul_f64 v[0:1], v[2:3], v[0:1]
	global_store_dwordx4 v[10:11], v[4:7], off
	global_store_dwordx2 v[10:11], v[0:1], off offset:16
                                        ; implicit-def: $vgpr6
                                        ; implicit-def: $vgpr2_vgpr3
                                        ; implicit-def: $vgpr10_vgpr11
                                        ; implicit-def: $vgpr4_vgpr5
                                        ; implicit-def: $vgpr8_vgpr9
                                        ; implicit-def: $vgpr0_vgpr1
.LBB67_21:
	s_andn2_saveexec_b64 s[2:3], s[2:3]
	s_cbranch_execz .LBB67_23
; %bb.22:
	v_lshl_add_u32 v6, v6, 1, v6
	v_ashrrev_i32_e32 v7, 31, v6
	s_waitcnt lgkmcnt(0)
	v_lshl_add_u64 v[16:17], v[6:7], 3, s[0:1]
	global_load_dwordx4 v[12:15], v[16:17], off
	global_load_dwordx2 v[18:19], v[16:17], off offset:16
	v_mul_f64 v[6:7], v[2:3], v[10:11]
	v_mul_f64 v[8:9], v[2:3], v[8:9]
	;; [unrolled: 1-line block ×3, first 2 shown]
	s_waitcnt vmcnt(1)
	v_fmac_f64_e32 v[6:7], v[4:5], v[12:13]
	v_fmac_f64_e32 v[8:9], v[4:5], v[14:15]
	s_waitcnt vmcnt(0)
	v_fmac_f64_e32 v[0:1], v[4:5], v[18:19]
	global_store_dwordx4 v[16:17], v[6:9], off
	global_store_dwordx2 v[16:17], v[0:1], off offset:16
.LBB67_23:
	s_endpgm
	.section	.rodata,"a",@progbits
	.p2align	6, 0x0
	.amdhsa_kernel _ZN9rocsparseL19gebsrmvn_3xn_kernelILj128ELj8ELj4EdEEvi20rocsparse_direction_NS_24const_host_device_scalarIT2_EEPKiS6_PKS3_S8_S4_PS3_21rocsparse_index_base_b
		.amdhsa_group_segment_fixed_size 0
		.amdhsa_private_segment_fixed_size 0
		.amdhsa_kernarg_size 72
		.amdhsa_user_sgpr_count 2
		.amdhsa_user_sgpr_dispatch_ptr 0
		.amdhsa_user_sgpr_queue_ptr 0
		.amdhsa_user_sgpr_kernarg_segment_ptr 1
		.amdhsa_user_sgpr_dispatch_id 0
		.amdhsa_user_sgpr_kernarg_preload_length 0
		.amdhsa_user_sgpr_kernarg_preload_offset 0
		.amdhsa_user_sgpr_private_segment_size 0
		.amdhsa_uses_dynamic_stack 0
		.amdhsa_enable_private_segment 0
		.amdhsa_system_sgpr_workgroup_id_x 1
		.amdhsa_system_sgpr_workgroup_id_y 0
		.amdhsa_system_sgpr_workgroup_id_z 0
		.amdhsa_system_sgpr_workgroup_info 0
		.amdhsa_system_vgpr_workitem_id 0
		.amdhsa_next_free_vgpr 68
		.amdhsa_next_free_sgpr 18
		.amdhsa_accum_offset 68
		.amdhsa_reserve_vcc 1
		.amdhsa_float_round_mode_32 0
		.amdhsa_float_round_mode_16_64 0
		.amdhsa_float_denorm_mode_32 3
		.amdhsa_float_denorm_mode_16_64 3
		.amdhsa_dx10_clamp 1
		.amdhsa_ieee_mode 1
		.amdhsa_fp16_overflow 0
		.amdhsa_tg_split 0
		.amdhsa_exception_fp_ieee_invalid_op 0
		.amdhsa_exception_fp_denorm_src 0
		.amdhsa_exception_fp_ieee_div_zero 0
		.amdhsa_exception_fp_ieee_overflow 0
		.amdhsa_exception_fp_ieee_underflow 0
		.amdhsa_exception_fp_ieee_inexact 0
		.amdhsa_exception_int_div_zero 0
	.end_amdhsa_kernel
	.section	.text._ZN9rocsparseL19gebsrmvn_3xn_kernelILj128ELj8ELj4EdEEvi20rocsparse_direction_NS_24const_host_device_scalarIT2_EEPKiS6_PKS3_S8_S4_PS3_21rocsparse_index_base_b,"axG",@progbits,_ZN9rocsparseL19gebsrmvn_3xn_kernelILj128ELj8ELj4EdEEvi20rocsparse_direction_NS_24const_host_device_scalarIT2_EEPKiS6_PKS3_S8_S4_PS3_21rocsparse_index_base_b,comdat
.Lfunc_end67:
	.size	_ZN9rocsparseL19gebsrmvn_3xn_kernelILj128ELj8ELj4EdEEvi20rocsparse_direction_NS_24const_host_device_scalarIT2_EEPKiS6_PKS3_S8_S4_PS3_21rocsparse_index_base_b, .Lfunc_end67-_ZN9rocsparseL19gebsrmvn_3xn_kernelILj128ELj8ELj4EdEEvi20rocsparse_direction_NS_24const_host_device_scalarIT2_EEPKiS6_PKS3_S8_S4_PS3_21rocsparse_index_base_b
                                        ; -- End function
	.section	.AMDGPU.csdata,"",@progbits
; Kernel info:
; codeLenInByte = 1888
; NumSgprs: 24
; NumVgprs: 68
; NumAgprs: 0
; TotalNumVgprs: 68
; ScratchSize: 0
; MemoryBound: 1
; FloatMode: 240
; IeeeMode: 1
; LDSByteSize: 0 bytes/workgroup (compile time only)
; SGPRBlocks: 2
; VGPRBlocks: 8
; NumSGPRsForWavesPerEU: 24
; NumVGPRsForWavesPerEU: 68
; AccumOffset: 68
; Occupancy: 7
; WaveLimiterHint : 1
; COMPUTE_PGM_RSRC2:SCRATCH_EN: 0
; COMPUTE_PGM_RSRC2:USER_SGPR: 2
; COMPUTE_PGM_RSRC2:TRAP_HANDLER: 0
; COMPUTE_PGM_RSRC2:TGID_X_EN: 1
; COMPUTE_PGM_RSRC2:TGID_Y_EN: 0
; COMPUTE_PGM_RSRC2:TGID_Z_EN: 0
; COMPUTE_PGM_RSRC2:TIDIG_COMP_CNT: 0
; COMPUTE_PGM_RSRC3_GFX90A:ACCUM_OFFSET: 16
; COMPUTE_PGM_RSRC3_GFX90A:TG_SPLIT: 0
	.section	.text._ZN9rocsparseL19gebsrmvn_3xn_kernelILj128ELj8ELj8EdEEvi20rocsparse_direction_NS_24const_host_device_scalarIT2_EEPKiS6_PKS3_S8_S4_PS3_21rocsparse_index_base_b,"axG",@progbits,_ZN9rocsparseL19gebsrmvn_3xn_kernelILj128ELj8ELj8EdEEvi20rocsparse_direction_NS_24const_host_device_scalarIT2_EEPKiS6_PKS3_S8_S4_PS3_21rocsparse_index_base_b,comdat
	.globl	_ZN9rocsparseL19gebsrmvn_3xn_kernelILj128ELj8ELj8EdEEvi20rocsparse_direction_NS_24const_host_device_scalarIT2_EEPKiS6_PKS3_S8_S4_PS3_21rocsparse_index_base_b ; -- Begin function _ZN9rocsparseL19gebsrmvn_3xn_kernelILj128ELj8ELj8EdEEvi20rocsparse_direction_NS_24const_host_device_scalarIT2_EEPKiS6_PKS3_S8_S4_PS3_21rocsparse_index_base_b
	.p2align	8
	.type	_ZN9rocsparseL19gebsrmvn_3xn_kernelILj128ELj8ELj8EdEEvi20rocsparse_direction_NS_24const_host_device_scalarIT2_EEPKiS6_PKS3_S8_S4_PS3_21rocsparse_index_base_b,@function
_ZN9rocsparseL19gebsrmvn_3xn_kernelILj128ELj8ELj8EdEEvi20rocsparse_direction_NS_24const_host_device_scalarIT2_EEPKiS6_PKS3_S8_S4_PS3_21rocsparse_index_base_b: ; @_ZN9rocsparseL19gebsrmvn_3xn_kernelILj128ELj8ELj8EdEEvi20rocsparse_direction_NS_24const_host_device_scalarIT2_EEPKiS6_PKS3_S8_S4_PS3_21rocsparse_index_base_b
; %bb.0:
	s_load_dwordx2 s[12:13], s[0:1], 0x40
	s_load_dwordx2 s[8:9], s[0:1], 0x8
	;; [unrolled: 1-line block ×3, first 2 shown]
	s_waitcnt lgkmcnt(0)
	s_bitcmp1_b32 s13, 0
	s_cselect_b64 s[10:11], -1, 0
	s_xor_b64 s[6:7], s[10:11], -1
	s_and_b64 vcc, exec, s[10:11]
	v_mov_b64_e32 v[2:3], s[8:9]
	s_cbranch_vccnz .LBB68_2
; %bb.1:
	v_mov_b64_e32 v[2:3], s[8:9]
	flat_load_dwordx2 v[2:3], v[2:3]
.LBB68_2:
	s_andn2_b64 vcc, exec, s[6:7]
	v_mov_b64_e32 v[4:5], s[4:5]
	s_cbranch_vccnz .LBB68_4
; %bb.3:
	v_mov_b64_e32 v[4:5], s[4:5]
	flat_load_dwordx2 v[4:5], v[4:5]
.LBB68_4:
	s_waitcnt vmcnt(0) lgkmcnt(0)
	v_cmp_neq_f64_e32 vcc, 0, v[2:3]
	v_cmp_neq_f64_e64 s[4:5], 1.0, v[4:5]
	s_or_b64 s[4:5], vcc, s[4:5]
	s_and_saveexec_b64 s[6:7], s[4:5]
	s_cbranch_execz .LBB68_23
; %bb.5:
	s_load_dwordx2 s[14:15], s[0:1], 0x0
	v_lshrrev_b32_e32 v1, 3, v0
	v_lshl_or_b32 v6, s2, 4, v1
	s_waitcnt lgkmcnt(0)
	v_cmp_gt_i32_e32 vcc, s14, v6
	s_and_b64 exec, exec, vcc
	s_cbranch_execz .LBB68_23
; %bb.6:
	s_load_dwordx8 s[4:11], s[0:1], 0x10
	v_ashrrev_i32_e32 v7, 31, v6
	s_cmp_lg_u32 s15, 0
	s_waitcnt lgkmcnt(0)
	v_lshl_add_u64 v[8:9], v[6:7], 2, s[4:5]
	global_load_dwordx2 v[8:9], v[8:9], off
	v_and_b32_e32 v7, 7, v0
	s_waitcnt vmcnt(0)
	v_subrev_u32_e32 v0, s12, v8
	v_subrev_u32_e32 v22, s12, v9
	v_add_u32_e32 v10, v0, v7
	v_cmp_lt_i32_e64 s[2:3], v10, v22
	s_cbranch_scc0 .LBB68_12
; %bb.7:
	v_mov_b64_e32 v[8:9], 0
	s_mov_b64 s[4:5], 0
	v_mov_b64_e32 v[0:1], v[8:9]
	v_mov_b64_e32 v[12:13], v[8:9]
	s_and_saveexec_b64 s[14:15], s[2:3]
	s_cbranch_execz .LBB68_11
; %bb.8:
	v_mad_u64_u32 v[14:15], s[16:17], v10, 24, 23
	v_mov_b64_e32 v[8:9], 0
	s_mov_b64 s[16:17], 0
	v_mov_b32_e32 v17, 0
	v_mov_b32_e32 v18, v10
	v_mov_b64_e32 v[0:1], v[8:9]
	v_mov_b64_e32 v[12:13], v[8:9]
.LBB68_9:                               ; =>This Inner Loop Header: Depth=1
	v_ashrrev_i32_e32 v19, 31, v18
	v_subrev_u32_e32 v16, 23, v14
	v_lshl_add_u64 v[40:41], v[18:19], 2, s[6:7]
	v_lshl_add_u64 v[42:43], v[16:17], 3, s[8:9]
	global_load_dword v11, v[40:41], off
	global_load_dwordx4 v[24:27], v[42:43], off offset:48
	global_load_dwordx4 v[28:31], v[42:43], off offset:32
	;; [unrolled: 1-line block ×3, first 2 shown]
	global_load_dwordx4 v[36:39], v[42:43], off
	v_add_u32_e32 v16, -15, v14
	v_mov_b32_e32 v15, v17
	v_lshl_add_u64 v[40:41], v[16:17], 3, s[8:9]
	v_add_u32_e32 v16, -14, v14
	v_lshl_add_u64 v[44:45], v[14:15], 3, s[8:9]
	v_lshl_add_u64 v[42:43], v[16:17], 3, s[8:9]
	v_add_u32_e32 v16, -13, v14
	global_load_dwordx2 v[44:45], v[44:45], off
	v_mov_b32_e32 v21, v17
	global_load_dwordx2 v[48:49], v[42:43], off
	global_load_dwordx2 v[46:47], v[40:41], off
	v_lshl_add_u64 v[40:41], v[16:17], 3, s[8:9]
	v_add_u32_e32 v16, -12, v14
	v_lshl_add_u64 v[42:43], v[16:17], 3, s[8:9]
	v_add_u32_e32 v16, -11, v14
	global_load_dwordx2 v[50:51], v[40:41], off
	global_load_dwordx2 v[52:53], v[42:43], off
	v_lshl_add_u64 v[40:41], v[16:17], 3, s[8:9]
	v_add_u32_e32 v16, -10, v14
	v_lshl_add_u64 v[42:43], v[16:17], 3, s[8:9]
	v_add_u32_e32 v16, -9, v14
	global_load_dwordx2 v[54:55], v[40:41], off
	global_load_dwordx2 v[56:57], v[42:43], off
	v_lshl_add_u64 v[40:41], v[16:17], 3, s[8:9]
	v_add_u32_e32 v16, -8, v14
	v_lshl_add_u64 v[42:43], v[16:17], 3, s[8:9]
	global_load_dwordx2 v[58:59], v[40:41], off
	global_load_dwordx2 v[60:61], v[42:43], off
	v_add_u32_e32 v16, -7, v14
	v_add_u32_e32 v18, 8, v18
	v_cmp_ge_i32_e32 vcc, v18, v22
	s_or_b64 s[16:17], vcc, s[16:17]
	s_waitcnt vmcnt(13)
	v_subrev_u32_e32 v11, s12, v11
	v_lshlrev_b32_e32 v20, 3, v11
	v_lshl_add_u64 v[20:21], v[20:21], 3, s[10:11]
	global_load_dwordx4 v[40:43], v[20:21], off
	s_waitcnt vmcnt(0)
	v_fmac_f64_e32 v[8:9], v[36:37], v[40:41]
	v_lshl_add_u64 v[36:37], v[16:17], 3, s[8:9]
	v_add_u32_e32 v16, -6, v14
	v_fmac_f64_e32 v[12:13], v[38:39], v[40:41]
	v_lshl_add_u64 v[38:39], v[16:17], 3, s[8:9]
	v_add_u32_e32 v16, -5, v14
	;; [unrolled: 3-line block ×5, first 2 shown]
	global_load_dwordx2 v[36:37], v[36:37], off
	v_fmac_f64_e32 v[0:1], v[30:31], v[42:43]
	global_load_dwordx2 v[38:39], v[38:39], off
	s_nop 0
	global_load_dwordx2 v[40:41], v[32:33], off
	global_load_dwordx2 v[62:63], v[34:35], off
	v_lshl_add_u64 v[32:33], v[16:17], 3, s[8:9]
	global_load_dwordx2 v[42:43], v[28:29], off
	global_load_dwordx2 v[66:67], v[32:33], off
	v_add_u32_e32 v16, -1, v14
	global_load_dwordx4 v[28:31], v[20:21], off offset:16
	v_lshl_add_u64 v[64:65], v[16:17], 3, s[8:9]
	v_add_u32_e32 v14, 0xc0, v14
	s_waitcnt vmcnt(0)
	v_fmac_f64_e32 v[8:9], v[24:25], v[28:29]
	v_fmac_f64_e32 v[12:13], v[26:27], v[28:29]
	global_load_dwordx4 v[24:27], v[20:21], off offset:32
	v_fmac_f64_e32 v[0:1], v[46:47], v[28:29]
	global_load_dwordx4 v[32:35], v[20:21], off offset:48
	global_load_dwordx2 v[28:29], v[64:65], off
	v_fmac_f64_e32 v[8:9], v[48:49], v[30:31]
	v_fmac_f64_e32 v[12:13], v[50:51], v[30:31]
	;; [unrolled: 1-line block ×3, first 2 shown]
	s_waitcnt vmcnt(2)
	v_fmac_f64_e32 v[8:9], v[54:55], v[24:25]
	v_fmac_f64_e32 v[12:13], v[56:57], v[24:25]
	;; [unrolled: 1-line block ×6, first 2 shown]
	s_waitcnt vmcnt(1)
	v_fmac_f64_e32 v[8:9], v[40:41], v[32:33]
	v_fmac_f64_e32 v[12:13], v[62:63], v[32:33]
	;; [unrolled: 1-line block ×4, first 2 shown]
	s_waitcnt vmcnt(0)
	v_fmac_f64_e32 v[12:13], v[28:29], v[34:35]
	v_fmac_f64_e32 v[0:1], v[44:45], v[34:35]
	s_andn2_b64 exec, exec, s[16:17]
	s_cbranch_execnz .LBB68_9
; %bb.10:
	s_or_b64 exec, exec, s[16:17]
.LBB68_11:
	s_or_b64 exec, exec, s[14:15]
	s_andn2_b64 vcc, exec, s[4:5]
	s_cbranch_vccz .LBB68_13
	s_branch .LBB68_18
.LBB68_12:
                                        ; implicit-def: $vgpr8_vgpr9
                                        ; implicit-def: $vgpr0_vgpr1
                                        ; implicit-def: $vgpr12_vgpr13
.LBB68_13:
	v_mov_b64_e32 v[8:9], 0
	v_mov_b64_e32 v[0:1], v[8:9]
	;; [unrolled: 1-line block ×3, first 2 shown]
	s_and_saveexec_b64 s[4:5], s[2:3]
	s_cbranch_execz .LBB68_17
; %bb.14:
	v_mad_u64_u32 v[14:15], s[2:3], v10, 24, 23
	v_mov_b64_e32 v[8:9], 0
	s_mov_b64 s[2:3], 0
	v_mov_b32_e32 v17, 0
	v_mov_b64_e32 v[0:1], v[8:9]
	v_mov_b64_e32 v[12:13], v[8:9]
.LBB68_15:                              ; =>This Inner Loop Header: Depth=1
	v_ashrrev_i32_e32 v11, 31, v10
	v_subrev_u32_e32 v16, 23, v14
	v_add_u32_e32 v18, -15, v14
	v_add_u32_e32 v20, -7, v14
	v_mov_b32_e32 v19, v17
	v_mov_b32_e32 v21, v17
	v_lshl_add_u64 v[38:39], v[10:11], 2, s[6:7]
	v_lshl_add_u64 v[40:41], v[16:17], 3, s[8:9]
	;; [unrolled: 1-line block ×4, first 2 shown]
	global_load_dword v11, v[38:39], off
	global_load_dwordx4 v[18:21], v[40:41], off offset:48
	global_load_dwordx4 v[24:27], v[40:41], off offset:32
	;; [unrolled: 1-line block ×3, first 2 shown]
	global_load_dwordx4 v[32:35], v[40:41], off
	v_add_u32_e32 v16, -14, v14
	v_mov_b32_e32 v15, v17
	v_lshl_add_u64 v[38:39], v[16:17], 3, s[8:9]
	v_add_u32_e32 v16, -6, v14
	v_lshl_add_u64 v[46:47], v[14:15], 3, s[8:9]
	global_load_dwordx2 v[40:41], v[42:43], off
	global_load_dwordx2 v[48:49], v[44:45], off
	global_load_dwordx2 v[50:51], v[46:47], off
	v_lshl_add_u64 v[42:43], v[16:17], 3, s[8:9]
	v_add_u32_e32 v16, -13, v14
	global_load_dwordx2 v[44:45], v[38:39], off
	global_load_dwordx2 v[46:47], v[42:43], off
	v_lshl_add_u64 v[38:39], v[16:17], 3, s[8:9]
	v_add_u32_e32 v16, -5, v14
	v_lshl_add_u64 v[42:43], v[16:17], 3, s[8:9]
	v_add_u32_e32 v16, -12, v14
	global_load_dwordx2 v[52:53], v[38:39], off
	v_mov_b32_e32 v37, v17
	global_load_dwordx2 v[42:43], v[42:43], off
	v_lshl_add_u64 v[38:39], v[16:17], 3, s[8:9]
	v_add_u32_e32 v16, -4, v14
	v_lshl_add_u64 v[54:55], v[16:17], 3, s[8:9]
	global_load_dwordx2 v[56:57], v[38:39], off
	global_load_dwordx2 v[58:59], v[54:55], off
	v_add_u32_e32 v16, -11, v14
	v_add_u32_e32 v10, 8, v10
	v_cmp_ge_i32_e32 vcc, v10, v22
	s_or_b64 s[2:3], vcc, s[2:3]
	s_waitcnt vmcnt(13)
	v_subrev_u32_e32 v11, s12, v11
	v_lshlrev_b32_e32 v36, 3, v11
	v_lshl_add_u64 v[54:55], v[36:37], 3, s[10:11]
	global_load_dwordx4 v[36:39], v[54:55], off
	s_waitcnt vmcnt(0)
	v_fmac_f64_e32 v[8:9], v[32:33], v[36:37]
	v_lshl_add_u64 v[32:33], v[16:17], 3, s[8:9]
	v_add_u32_e32 v16, -3, v14
	v_fmac_f64_e32 v[8:9], v[34:35], v[38:39]
	v_lshl_add_u64 v[34:35], v[16:17], 3, s[8:9]
	v_add_u32_e32 v16, -10, v14
	global_load_dwordx2 v[60:61], v[32:33], off
	global_load_dwordx2 v[62:63], v[34:35], off
	v_lshl_add_u64 v[32:33], v[16:17], 3, s[8:9]
	v_add_u32_e32 v16, -2, v14
	v_lshl_add_u64 v[34:35], v[16:17], 3, s[8:9]
	v_add_u32_e32 v16, -9, v14
	v_fmac_f64_e32 v[12:13], v[40:41], v[36:37]
	v_fmac_f64_e32 v[0:1], v[48:49], v[36:37]
	v_lshl_add_u64 v[36:37], v[16:17], 3, s[8:9]
	v_add_u32_e32 v16, -1, v14
	global_load_dwordx2 v[40:41], v[32:33], off
	global_load_dwordx2 v[48:49], v[34:35], off
	v_fmac_f64_e32 v[12:13], v[44:45], v[38:39]
	v_fmac_f64_e32 v[0:1], v[46:47], v[38:39]
	v_lshl_add_u64 v[38:39], v[16:17], 3, s[8:9]
	global_load_dwordx2 v[44:45], v[36:37], off
	global_load_dwordx2 v[46:47], v[38:39], off
	global_load_dwordx4 v[32:35], v[54:55], off offset:16
	v_add_u32_e32 v16, -8, v14
	v_add_u32_e32 v14, 0xc0, v14
	s_waitcnt vmcnt(0)
	v_fmac_f64_e32 v[8:9], v[28:29], v[32:33]
	v_fmac_f64_e32 v[8:9], v[30:31], v[34:35]
	global_load_dwordx4 v[28:31], v[54:55], off offset:32
	v_fmac_f64_e32 v[12:13], v[52:53], v[32:33]
	v_lshl_add_u64 v[52:53], v[16:17], 3, s[8:9]
	v_fmac_f64_e32 v[0:1], v[42:43], v[32:33]
	global_load_dwordx4 v[36:39], v[54:55], off offset:48
	global_load_dwordx2 v[32:33], v[52:53], off
	v_fmac_f64_e32 v[12:13], v[56:57], v[34:35]
	v_fmac_f64_e32 v[0:1], v[58:59], v[34:35]
	s_waitcnt vmcnt(2)
	v_fmac_f64_e32 v[8:9], v[24:25], v[28:29]
	v_fmac_f64_e32 v[12:13], v[60:61], v[28:29]
	;; [unrolled: 1-line block ×6, first 2 shown]
	s_waitcnt vmcnt(1)
	v_fmac_f64_e32 v[8:9], v[18:19], v[36:37]
	v_fmac_f64_e32 v[12:13], v[44:45], v[36:37]
	;; [unrolled: 1-line block ×4, first 2 shown]
	s_waitcnt vmcnt(0)
	v_fmac_f64_e32 v[12:13], v[32:33], v[38:39]
	v_fmac_f64_e32 v[0:1], v[50:51], v[38:39]
	s_andn2_b64 exec, exec, s[2:3]
	s_cbranch_execnz .LBB68_15
; %bb.16:
	s_or_b64 exec, exec, s[2:3]
.LBB68_17:
	s_or_b64 exec, exec, s[4:5]
.LBB68_18:
	v_mov_b32_dpp v10, v8 row_shr:1 row_mask:0xf bank_mask:0xf
	v_mov_b32_dpp v11, v9 row_shr:1 row_mask:0xf bank_mask:0xf
	;; [unrolled: 1-line block ×6, first 2 shown]
	v_add_f64 v[8:9], v[8:9], v[10:11]
	v_add_f64 v[12:13], v[12:13], v[14:15]
	v_add_f64 v[0:1], v[0:1], v[16:17]
	v_mov_b32_dpp v10, v8 row_shr:2 row_mask:0xf bank_mask:0xf
	v_mov_b32_dpp v11, v9 row_shr:2 row_mask:0xf bank_mask:0xf
	;; [unrolled: 1-line block ×6, first 2 shown]
	v_add_f64 v[8:9], v[8:9], v[10:11]
	v_add_f64 v[12:13], v[12:13], v[14:15]
	;; [unrolled: 1-line block ×3, first 2 shown]
	v_mov_b32_dpp v10, v8 row_shr:4 row_mask:0xf bank_mask:0xe
	v_mov_b32_dpp v11, v9 row_shr:4 row_mask:0xf bank_mask:0xe
	v_mov_b32_dpp v14, v12 row_shr:4 row_mask:0xf bank_mask:0xe
	v_mov_b32_dpp v15, v13 row_shr:4 row_mask:0xf bank_mask:0xe
	v_mov_b32_dpp v16, v0 row_shr:4 row_mask:0xf bank_mask:0xe
	v_mov_b32_dpp v17, v1 row_shr:4 row_mask:0xf bank_mask:0xe
	v_cmp_eq_u32_e32 vcc, 7, v7
	s_and_b64 exec, exec, vcc
	s_cbranch_execz .LBB68_23
; %bb.19:
	s_load_dwordx2 s[0:1], s[0:1], 0x38
	v_add_f64 v[10:11], v[8:9], v[10:11]
	v_add_f64 v[8:9], v[12:13], v[14:15]
	;; [unrolled: 1-line block ×3, first 2 shown]
	v_cmp_eq_f64_e32 vcc, 0, v[4:5]
	s_and_saveexec_b64 s[2:3], vcc
	s_xor_b64 s[2:3], exec, s[2:3]
	s_cbranch_execz .LBB68_21
; %bb.20:
	v_lshl_add_u32 v6, v6, 1, v6
	v_ashrrev_i32_e32 v7, 31, v6
	v_mul_f64 v[4:5], v[2:3], v[10:11]
	s_waitcnt lgkmcnt(0)
	v_lshl_add_u64 v[10:11], v[6:7], 3, s[0:1]
	v_mul_f64 v[6:7], v[2:3], v[8:9]
	v_mul_f64 v[0:1], v[2:3], v[0:1]
	global_store_dwordx4 v[10:11], v[4:7], off
	global_store_dwordx2 v[10:11], v[0:1], off offset:16
                                        ; implicit-def: $vgpr6
                                        ; implicit-def: $vgpr2_vgpr3
                                        ; implicit-def: $vgpr10_vgpr11
                                        ; implicit-def: $vgpr4_vgpr5
                                        ; implicit-def: $vgpr8_vgpr9
                                        ; implicit-def: $vgpr0_vgpr1
.LBB68_21:
	s_andn2_saveexec_b64 s[2:3], s[2:3]
	s_cbranch_execz .LBB68_23
; %bb.22:
	v_lshl_add_u32 v6, v6, 1, v6
	v_ashrrev_i32_e32 v7, 31, v6
	s_waitcnt lgkmcnt(0)
	v_lshl_add_u64 v[16:17], v[6:7], 3, s[0:1]
	global_load_dwordx4 v[12:15], v[16:17], off
	global_load_dwordx2 v[18:19], v[16:17], off offset:16
	v_mul_f64 v[6:7], v[2:3], v[10:11]
	v_mul_f64 v[8:9], v[2:3], v[8:9]
	;; [unrolled: 1-line block ×3, first 2 shown]
	s_waitcnt vmcnt(1)
	v_fmac_f64_e32 v[6:7], v[4:5], v[12:13]
	v_fmac_f64_e32 v[8:9], v[4:5], v[14:15]
	s_waitcnt vmcnt(0)
	v_fmac_f64_e32 v[0:1], v[4:5], v[18:19]
	global_store_dwordx4 v[16:17], v[6:9], off
	global_store_dwordx2 v[16:17], v[0:1], off offset:16
.LBB68_23:
	s_endpgm
	.section	.rodata,"a",@progbits
	.p2align	6, 0x0
	.amdhsa_kernel _ZN9rocsparseL19gebsrmvn_3xn_kernelILj128ELj8ELj8EdEEvi20rocsparse_direction_NS_24const_host_device_scalarIT2_EEPKiS6_PKS3_S8_S4_PS3_21rocsparse_index_base_b
		.amdhsa_group_segment_fixed_size 0
		.amdhsa_private_segment_fixed_size 0
		.amdhsa_kernarg_size 72
		.amdhsa_user_sgpr_count 2
		.amdhsa_user_sgpr_dispatch_ptr 0
		.amdhsa_user_sgpr_queue_ptr 0
		.amdhsa_user_sgpr_kernarg_segment_ptr 1
		.amdhsa_user_sgpr_dispatch_id 0
		.amdhsa_user_sgpr_kernarg_preload_length 0
		.amdhsa_user_sgpr_kernarg_preload_offset 0
		.amdhsa_user_sgpr_private_segment_size 0
		.amdhsa_uses_dynamic_stack 0
		.amdhsa_enable_private_segment 0
		.amdhsa_system_sgpr_workgroup_id_x 1
		.amdhsa_system_sgpr_workgroup_id_y 0
		.amdhsa_system_sgpr_workgroup_id_z 0
		.amdhsa_system_sgpr_workgroup_info 0
		.amdhsa_system_vgpr_workitem_id 0
		.amdhsa_next_free_vgpr 68
		.amdhsa_next_free_sgpr 18
		.amdhsa_accum_offset 68
		.amdhsa_reserve_vcc 1
		.amdhsa_float_round_mode_32 0
		.amdhsa_float_round_mode_16_64 0
		.amdhsa_float_denorm_mode_32 3
		.amdhsa_float_denorm_mode_16_64 3
		.amdhsa_dx10_clamp 1
		.amdhsa_ieee_mode 1
		.amdhsa_fp16_overflow 0
		.amdhsa_tg_split 0
		.amdhsa_exception_fp_ieee_invalid_op 0
		.amdhsa_exception_fp_denorm_src 0
		.amdhsa_exception_fp_ieee_div_zero 0
		.amdhsa_exception_fp_ieee_overflow 0
		.amdhsa_exception_fp_ieee_underflow 0
		.amdhsa_exception_fp_ieee_inexact 0
		.amdhsa_exception_int_div_zero 0
	.end_amdhsa_kernel
	.section	.text._ZN9rocsparseL19gebsrmvn_3xn_kernelILj128ELj8ELj8EdEEvi20rocsparse_direction_NS_24const_host_device_scalarIT2_EEPKiS6_PKS3_S8_S4_PS3_21rocsparse_index_base_b,"axG",@progbits,_ZN9rocsparseL19gebsrmvn_3xn_kernelILj128ELj8ELj8EdEEvi20rocsparse_direction_NS_24const_host_device_scalarIT2_EEPKiS6_PKS3_S8_S4_PS3_21rocsparse_index_base_b,comdat
.Lfunc_end68:
	.size	_ZN9rocsparseL19gebsrmvn_3xn_kernelILj128ELj8ELj8EdEEvi20rocsparse_direction_NS_24const_host_device_scalarIT2_EEPKiS6_PKS3_S8_S4_PS3_21rocsparse_index_base_b, .Lfunc_end68-_ZN9rocsparseL19gebsrmvn_3xn_kernelILj128ELj8ELj8EdEEvi20rocsparse_direction_NS_24const_host_device_scalarIT2_EEPKiS6_PKS3_S8_S4_PS3_21rocsparse_index_base_b
                                        ; -- End function
	.section	.AMDGPU.csdata,"",@progbits
; Kernel info:
; codeLenInByte = 1960
; NumSgprs: 24
; NumVgprs: 68
; NumAgprs: 0
; TotalNumVgprs: 68
; ScratchSize: 0
; MemoryBound: 1
; FloatMode: 240
; IeeeMode: 1
; LDSByteSize: 0 bytes/workgroup (compile time only)
; SGPRBlocks: 2
; VGPRBlocks: 8
; NumSGPRsForWavesPerEU: 24
; NumVGPRsForWavesPerEU: 68
; AccumOffset: 68
; Occupancy: 7
; WaveLimiterHint : 1
; COMPUTE_PGM_RSRC2:SCRATCH_EN: 0
; COMPUTE_PGM_RSRC2:USER_SGPR: 2
; COMPUTE_PGM_RSRC2:TRAP_HANDLER: 0
; COMPUTE_PGM_RSRC2:TGID_X_EN: 1
; COMPUTE_PGM_RSRC2:TGID_Y_EN: 0
; COMPUTE_PGM_RSRC2:TGID_Z_EN: 0
; COMPUTE_PGM_RSRC2:TIDIG_COMP_CNT: 0
; COMPUTE_PGM_RSRC3_GFX90A:ACCUM_OFFSET: 16
; COMPUTE_PGM_RSRC3_GFX90A:TG_SPLIT: 0
	.section	.text._ZN9rocsparseL19gebsrmvn_3xn_kernelILj128ELj8ELj16EdEEvi20rocsparse_direction_NS_24const_host_device_scalarIT2_EEPKiS6_PKS3_S8_S4_PS3_21rocsparse_index_base_b,"axG",@progbits,_ZN9rocsparseL19gebsrmvn_3xn_kernelILj128ELj8ELj16EdEEvi20rocsparse_direction_NS_24const_host_device_scalarIT2_EEPKiS6_PKS3_S8_S4_PS3_21rocsparse_index_base_b,comdat
	.globl	_ZN9rocsparseL19gebsrmvn_3xn_kernelILj128ELj8ELj16EdEEvi20rocsparse_direction_NS_24const_host_device_scalarIT2_EEPKiS6_PKS3_S8_S4_PS3_21rocsparse_index_base_b ; -- Begin function _ZN9rocsparseL19gebsrmvn_3xn_kernelILj128ELj8ELj16EdEEvi20rocsparse_direction_NS_24const_host_device_scalarIT2_EEPKiS6_PKS3_S8_S4_PS3_21rocsparse_index_base_b
	.p2align	8
	.type	_ZN9rocsparseL19gebsrmvn_3xn_kernelILj128ELj8ELj16EdEEvi20rocsparse_direction_NS_24const_host_device_scalarIT2_EEPKiS6_PKS3_S8_S4_PS3_21rocsparse_index_base_b,@function
_ZN9rocsparseL19gebsrmvn_3xn_kernelILj128ELj8ELj16EdEEvi20rocsparse_direction_NS_24const_host_device_scalarIT2_EEPKiS6_PKS3_S8_S4_PS3_21rocsparse_index_base_b: ; @_ZN9rocsparseL19gebsrmvn_3xn_kernelILj128ELj8ELj16EdEEvi20rocsparse_direction_NS_24const_host_device_scalarIT2_EEPKiS6_PKS3_S8_S4_PS3_21rocsparse_index_base_b
; %bb.0:
	s_load_dwordx2 s[12:13], s[0:1], 0x40
	s_load_dwordx2 s[8:9], s[0:1], 0x8
	;; [unrolled: 1-line block ×3, first 2 shown]
	s_waitcnt lgkmcnt(0)
	s_bitcmp1_b32 s13, 0
	s_cselect_b64 s[10:11], -1, 0
	s_xor_b64 s[6:7], s[10:11], -1
	s_and_b64 vcc, exec, s[10:11]
	v_mov_b64_e32 v[2:3], s[8:9]
	s_cbranch_vccnz .LBB69_2
; %bb.1:
	v_mov_b64_e32 v[2:3], s[8:9]
	flat_load_dwordx2 v[2:3], v[2:3]
.LBB69_2:
	s_andn2_b64 vcc, exec, s[6:7]
	v_mov_b64_e32 v[4:5], s[4:5]
	s_cbranch_vccnz .LBB69_4
; %bb.3:
	v_mov_b64_e32 v[4:5], s[4:5]
	flat_load_dwordx2 v[4:5], v[4:5]
.LBB69_4:
	s_waitcnt vmcnt(0) lgkmcnt(0)
	v_cmp_neq_f64_e32 vcc, 0, v[2:3]
	v_cmp_neq_f64_e64 s[4:5], 1.0, v[4:5]
	s_or_b64 s[4:5], vcc, s[4:5]
	s_and_saveexec_b64 s[6:7], s[4:5]
	s_cbranch_execz .LBB69_23
; %bb.5:
	s_load_dwordx2 s[14:15], s[0:1], 0x0
	v_lshrrev_b32_e32 v1, 4, v0
	v_lshl_or_b32 v6, s2, 3, v1
	s_waitcnt lgkmcnt(0)
	v_cmp_gt_i32_e32 vcc, s14, v6
	s_and_b64 exec, exec, vcc
	s_cbranch_execz .LBB69_23
; %bb.6:
	s_load_dwordx8 s[4:11], s[0:1], 0x10
	v_ashrrev_i32_e32 v7, 31, v6
	s_cmp_lg_u32 s15, 0
	s_waitcnt lgkmcnt(0)
	v_lshl_add_u64 v[8:9], v[6:7], 2, s[4:5]
	global_load_dwordx2 v[8:9], v[8:9], off
	v_and_b32_e32 v7, 15, v0
	s_waitcnt vmcnt(0)
	v_subrev_u32_e32 v0, s12, v8
	v_subrev_u32_e32 v22, s12, v9
	v_add_u32_e32 v12, v0, v7
	v_cmp_lt_i32_e64 s[2:3], v12, v22
	s_cbranch_scc0 .LBB69_12
; %bb.7:
	v_mov_b64_e32 v[8:9], 0
	s_mov_b64 s[4:5], 0
	v_mov_b64_e32 v[0:1], v[8:9]
	v_mov_b64_e32 v[10:11], v[8:9]
	s_and_saveexec_b64 s[14:15], s[2:3]
	s_cbranch_execz .LBB69_11
; %bb.8:
	v_mad_u64_u32 v[14:15], s[16:17], v12, 24, 23
	v_mov_b64_e32 v[8:9], 0
	s_mov_b64 s[16:17], 0
	v_mov_b32_e32 v17, 0
	v_mov_b32_e32 v18, v12
	v_mov_b64_e32 v[0:1], v[8:9]
	v_mov_b64_e32 v[10:11], v[8:9]
.LBB69_9:                               ; =>This Inner Loop Header: Depth=1
	v_ashrrev_i32_e32 v19, 31, v18
	v_subrev_u32_e32 v16, 23, v14
	v_lshl_add_u64 v[40:41], v[18:19], 2, s[6:7]
	v_lshl_add_u64 v[42:43], v[16:17], 3, s[8:9]
	global_load_dword v13, v[40:41], off
	global_load_dwordx4 v[24:27], v[42:43], off offset:48
	global_load_dwordx4 v[28:31], v[42:43], off offset:32
	;; [unrolled: 1-line block ×3, first 2 shown]
	global_load_dwordx4 v[36:39], v[42:43], off
	v_add_u32_e32 v16, -15, v14
	v_mov_b32_e32 v15, v17
	v_lshl_add_u64 v[40:41], v[16:17], 3, s[8:9]
	v_add_u32_e32 v16, -14, v14
	v_lshl_add_u64 v[44:45], v[14:15], 3, s[8:9]
	v_lshl_add_u64 v[42:43], v[16:17], 3, s[8:9]
	v_add_u32_e32 v16, -13, v14
	global_load_dwordx2 v[44:45], v[44:45], off
	v_mov_b32_e32 v21, v17
	global_load_dwordx2 v[48:49], v[42:43], off
	global_load_dwordx2 v[46:47], v[40:41], off
	v_lshl_add_u64 v[40:41], v[16:17], 3, s[8:9]
	v_add_u32_e32 v16, -12, v14
	v_lshl_add_u64 v[42:43], v[16:17], 3, s[8:9]
	v_add_u32_e32 v16, -11, v14
	global_load_dwordx2 v[50:51], v[40:41], off
	global_load_dwordx2 v[52:53], v[42:43], off
	v_lshl_add_u64 v[40:41], v[16:17], 3, s[8:9]
	v_add_u32_e32 v16, -10, v14
	v_lshl_add_u64 v[42:43], v[16:17], 3, s[8:9]
	v_add_u32_e32 v16, -9, v14
	global_load_dwordx2 v[54:55], v[40:41], off
	global_load_dwordx2 v[56:57], v[42:43], off
	v_lshl_add_u64 v[40:41], v[16:17], 3, s[8:9]
	v_add_u32_e32 v16, -8, v14
	v_lshl_add_u64 v[42:43], v[16:17], 3, s[8:9]
	global_load_dwordx2 v[58:59], v[40:41], off
	global_load_dwordx2 v[60:61], v[42:43], off
	v_add_u32_e32 v16, -7, v14
	v_add_u32_e32 v18, 16, v18
	v_cmp_ge_i32_e32 vcc, v18, v22
	s_or_b64 s[16:17], vcc, s[16:17]
	s_waitcnt vmcnt(13)
	v_subrev_u32_e32 v13, s12, v13
	v_lshlrev_b32_e32 v20, 3, v13
	v_lshl_add_u64 v[20:21], v[20:21], 3, s[10:11]
	global_load_dwordx4 v[40:43], v[20:21], off
	s_waitcnt vmcnt(0)
	v_fmac_f64_e32 v[8:9], v[36:37], v[40:41]
	v_lshl_add_u64 v[36:37], v[16:17], 3, s[8:9]
	v_add_u32_e32 v16, -6, v14
	v_fmac_f64_e32 v[10:11], v[38:39], v[40:41]
	v_lshl_add_u64 v[38:39], v[16:17], 3, s[8:9]
	v_add_u32_e32 v16, -5, v14
	;; [unrolled: 3-line block ×5, first 2 shown]
	global_load_dwordx2 v[36:37], v[36:37], off
	v_fmac_f64_e32 v[0:1], v[30:31], v[42:43]
	global_load_dwordx2 v[38:39], v[38:39], off
	s_nop 0
	global_load_dwordx2 v[40:41], v[32:33], off
	global_load_dwordx2 v[62:63], v[34:35], off
	v_lshl_add_u64 v[32:33], v[16:17], 3, s[8:9]
	global_load_dwordx2 v[42:43], v[28:29], off
	global_load_dwordx2 v[66:67], v[32:33], off
	v_add_u32_e32 v16, -1, v14
	global_load_dwordx4 v[28:31], v[20:21], off offset:16
	v_lshl_add_u64 v[64:65], v[16:17], 3, s[8:9]
	v_add_u32_e32 v14, 0x180, v14
	s_waitcnt vmcnt(0)
	v_fmac_f64_e32 v[8:9], v[24:25], v[28:29]
	v_fmac_f64_e32 v[10:11], v[26:27], v[28:29]
	global_load_dwordx4 v[24:27], v[20:21], off offset:32
	v_fmac_f64_e32 v[0:1], v[46:47], v[28:29]
	global_load_dwordx4 v[32:35], v[20:21], off offset:48
	global_load_dwordx2 v[28:29], v[64:65], off
	v_fmac_f64_e32 v[8:9], v[48:49], v[30:31]
	v_fmac_f64_e32 v[10:11], v[50:51], v[30:31]
	;; [unrolled: 1-line block ×3, first 2 shown]
	s_waitcnt vmcnt(2)
	v_fmac_f64_e32 v[8:9], v[54:55], v[24:25]
	v_fmac_f64_e32 v[10:11], v[56:57], v[24:25]
	;; [unrolled: 1-line block ×6, first 2 shown]
	s_waitcnt vmcnt(1)
	v_fmac_f64_e32 v[8:9], v[40:41], v[32:33]
	v_fmac_f64_e32 v[10:11], v[62:63], v[32:33]
	;; [unrolled: 1-line block ×4, first 2 shown]
	s_waitcnt vmcnt(0)
	v_fmac_f64_e32 v[10:11], v[28:29], v[34:35]
	v_fmac_f64_e32 v[0:1], v[44:45], v[34:35]
	s_andn2_b64 exec, exec, s[16:17]
	s_cbranch_execnz .LBB69_9
; %bb.10:
	s_or_b64 exec, exec, s[16:17]
.LBB69_11:
	s_or_b64 exec, exec, s[14:15]
	s_andn2_b64 vcc, exec, s[4:5]
	s_cbranch_vccz .LBB69_13
	s_branch .LBB69_18
.LBB69_12:
                                        ; implicit-def: $vgpr8_vgpr9
                                        ; implicit-def: $vgpr0_vgpr1
                                        ; implicit-def: $vgpr10_vgpr11
.LBB69_13:
	v_mov_b64_e32 v[8:9], 0
	v_mov_b64_e32 v[0:1], v[8:9]
	;; [unrolled: 1-line block ×3, first 2 shown]
	s_and_saveexec_b64 s[4:5], s[2:3]
	s_cbranch_execz .LBB69_17
; %bb.14:
	v_mad_u64_u32 v[14:15], s[2:3], v12, 24, 23
	v_mov_b64_e32 v[8:9], 0
	s_mov_b64 s[2:3], 0
	v_mov_b32_e32 v17, 0
	v_mov_b64_e32 v[0:1], v[8:9]
	v_mov_b64_e32 v[10:11], v[8:9]
.LBB69_15:                              ; =>This Inner Loop Header: Depth=1
	v_ashrrev_i32_e32 v13, 31, v12
	v_subrev_u32_e32 v16, 23, v14
	v_add_u32_e32 v18, -15, v14
	v_add_u32_e32 v20, -7, v14
	v_mov_b32_e32 v19, v17
	v_mov_b32_e32 v21, v17
	v_lshl_add_u64 v[38:39], v[12:13], 2, s[6:7]
	v_lshl_add_u64 v[40:41], v[16:17], 3, s[8:9]
	;; [unrolled: 1-line block ×4, first 2 shown]
	global_load_dword v13, v[38:39], off
	global_load_dwordx4 v[18:21], v[40:41], off offset:48
	global_load_dwordx4 v[24:27], v[40:41], off offset:32
	global_load_dwordx4 v[28:31], v[40:41], off offset:16
	global_load_dwordx4 v[32:35], v[40:41], off
	v_add_u32_e32 v16, -14, v14
	v_mov_b32_e32 v15, v17
	v_lshl_add_u64 v[38:39], v[16:17], 3, s[8:9]
	v_add_u32_e32 v16, -6, v14
	v_lshl_add_u64 v[46:47], v[14:15], 3, s[8:9]
	global_load_dwordx2 v[40:41], v[42:43], off
	global_load_dwordx2 v[48:49], v[44:45], off
	;; [unrolled: 1-line block ×3, first 2 shown]
	v_lshl_add_u64 v[42:43], v[16:17], 3, s[8:9]
	v_add_u32_e32 v16, -13, v14
	global_load_dwordx2 v[44:45], v[38:39], off
	global_load_dwordx2 v[46:47], v[42:43], off
	v_lshl_add_u64 v[38:39], v[16:17], 3, s[8:9]
	v_add_u32_e32 v16, -5, v14
	v_lshl_add_u64 v[42:43], v[16:17], 3, s[8:9]
	v_add_u32_e32 v16, -12, v14
	global_load_dwordx2 v[52:53], v[38:39], off
	v_mov_b32_e32 v37, v17
	global_load_dwordx2 v[42:43], v[42:43], off
	v_lshl_add_u64 v[38:39], v[16:17], 3, s[8:9]
	v_add_u32_e32 v16, -4, v14
	v_lshl_add_u64 v[54:55], v[16:17], 3, s[8:9]
	global_load_dwordx2 v[56:57], v[38:39], off
	global_load_dwordx2 v[58:59], v[54:55], off
	v_add_u32_e32 v16, -11, v14
	v_add_u32_e32 v12, 16, v12
	v_cmp_ge_i32_e32 vcc, v12, v22
	s_or_b64 s[2:3], vcc, s[2:3]
	s_waitcnt vmcnt(13)
	v_subrev_u32_e32 v13, s12, v13
	v_lshlrev_b32_e32 v36, 3, v13
	v_lshl_add_u64 v[54:55], v[36:37], 3, s[10:11]
	global_load_dwordx4 v[36:39], v[54:55], off
	s_waitcnt vmcnt(0)
	v_fmac_f64_e32 v[8:9], v[32:33], v[36:37]
	v_lshl_add_u64 v[32:33], v[16:17], 3, s[8:9]
	v_add_u32_e32 v16, -3, v14
	v_fmac_f64_e32 v[8:9], v[34:35], v[38:39]
	v_lshl_add_u64 v[34:35], v[16:17], 3, s[8:9]
	v_add_u32_e32 v16, -10, v14
	global_load_dwordx2 v[60:61], v[32:33], off
	global_load_dwordx2 v[62:63], v[34:35], off
	v_lshl_add_u64 v[32:33], v[16:17], 3, s[8:9]
	v_add_u32_e32 v16, -2, v14
	v_lshl_add_u64 v[34:35], v[16:17], 3, s[8:9]
	v_add_u32_e32 v16, -9, v14
	v_fmac_f64_e32 v[10:11], v[40:41], v[36:37]
	v_fmac_f64_e32 v[0:1], v[48:49], v[36:37]
	v_lshl_add_u64 v[36:37], v[16:17], 3, s[8:9]
	v_add_u32_e32 v16, -1, v14
	global_load_dwordx2 v[40:41], v[32:33], off
	global_load_dwordx2 v[48:49], v[34:35], off
	v_fmac_f64_e32 v[10:11], v[44:45], v[38:39]
	v_fmac_f64_e32 v[0:1], v[46:47], v[38:39]
	v_lshl_add_u64 v[38:39], v[16:17], 3, s[8:9]
	global_load_dwordx2 v[44:45], v[36:37], off
	global_load_dwordx2 v[46:47], v[38:39], off
	global_load_dwordx4 v[32:35], v[54:55], off offset:16
	v_add_u32_e32 v16, -8, v14
	v_add_u32_e32 v14, 0x180, v14
	s_waitcnt vmcnt(0)
	v_fmac_f64_e32 v[8:9], v[28:29], v[32:33]
	v_fmac_f64_e32 v[8:9], v[30:31], v[34:35]
	global_load_dwordx4 v[28:31], v[54:55], off offset:32
	v_fmac_f64_e32 v[10:11], v[52:53], v[32:33]
	v_lshl_add_u64 v[52:53], v[16:17], 3, s[8:9]
	v_fmac_f64_e32 v[0:1], v[42:43], v[32:33]
	global_load_dwordx4 v[36:39], v[54:55], off offset:48
	global_load_dwordx2 v[32:33], v[52:53], off
	v_fmac_f64_e32 v[10:11], v[56:57], v[34:35]
	v_fmac_f64_e32 v[0:1], v[58:59], v[34:35]
	s_waitcnt vmcnt(2)
	v_fmac_f64_e32 v[8:9], v[24:25], v[28:29]
	v_fmac_f64_e32 v[10:11], v[60:61], v[28:29]
	v_fmac_f64_e32 v[0:1], v[62:63], v[28:29]
	v_fmac_f64_e32 v[8:9], v[26:27], v[30:31]
	v_fmac_f64_e32 v[10:11], v[40:41], v[30:31]
	v_fmac_f64_e32 v[0:1], v[48:49], v[30:31]
	s_waitcnt vmcnt(1)
	v_fmac_f64_e32 v[8:9], v[18:19], v[36:37]
	v_fmac_f64_e32 v[10:11], v[44:45], v[36:37]
	;; [unrolled: 1-line block ×4, first 2 shown]
	s_waitcnt vmcnt(0)
	v_fmac_f64_e32 v[10:11], v[32:33], v[38:39]
	v_fmac_f64_e32 v[0:1], v[50:51], v[38:39]
	s_andn2_b64 exec, exec, s[2:3]
	s_cbranch_execnz .LBB69_15
; %bb.16:
	s_or_b64 exec, exec, s[2:3]
.LBB69_17:
	s_or_b64 exec, exec, s[4:5]
.LBB69_18:
	v_mov_b32_dpp v14, v10 row_shr:1 row_mask:0xf bank_mask:0xf
	v_mov_b32_dpp v15, v11 row_shr:1 row_mask:0xf bank_mask:0xf
	v_add_f64 v[10:11], v[10:11], v[14:15]
	v_mov_b32_dpp v12, v8 row_shr:1 row_mask:0xf bank_mask:0xf
	v_mov_b32_dpp v13, v9 row_shr:1 row_mask:0xf bank_mask:0xf
	;; [unrolled: 1-line block ×4, first 2 shown]
	v_add_f64 v[10:11], v[10:11], v[14:15]
	v_add_f64 v[8:9], v[8:9], v[12:13]
	v_cmp_eq_u32_e32 vcc, 15, v7
	v_mov_b32_dpp v14, v10 row_shr:4 row_mask:0xf bank_mask:0xe
	v_mov_b32_dpp v15, v11 row_shr:4 row_mask:0xf bank_mask:0xe
	v_add_f64 v[14:15], v[10:11], v[14:15]
	v_mov_b32_dpp v10, v0 row_shr:1 row_mask:0xf bank_mask:0xf
	v_mov_b32_dpp v11, v1 row_shr:1 row_mask:0xf bank_mask:0xf
	v_add_f64 v[0:1], v[0:1], v[10:11]
	v_mov_b32_dpp v12, v8 row_shr:2 row_mask:0xf bank_mask:0xf
	v_mov_b32_dpp v13, v9 row_shr:2 row_mask:0xf bank_mask:0xf
	;; [unrolled: 1-line block ×4, first 2 shown]
	v_add_f64 v[8:9], v[8:9], v[12:13]
	v_add_f64 v[0:1], v[0:1], v[10:11]
	v_mov_b32_dpp v16, v14 row_shr:8 row_mask:0xf bank_mask:0xc
	v_mov_b32_dpp v12, v8 row_shr:4 row_mask:0xf bank_mask:0xe
	;; [unrolled: 1-line block ×5, first 2 shown]
	v_add_f64 v[8:9], v[8:9], v[12:13]
	v_add_f64 v[0:1], v[0:1], v[10:11]
	v_mov_b32_dpp v17, v15 row_shr:8 row_mask:0xf bank_mask:0xc
	v_mov_b32_dpp v12, v8 row_shr:8 row_mask:0xf bank_mask:0xc
	;; [unrolled: 1-line block ×5, first 2 shown]
	s_and_b64 exec, exec, vcc
	s_cbranch_execz .LBB69_23
; %bb.19:
	s_load_dwordx2 s[0:1], s[0:1], 0x38
	v_add_f64 v[10:11], v[8:9], v[12:13]
	v_add_f64 v[8:9], v[14:15], v[16:17]
	;; [unrolled: 1-line block ×3, first 2 shown]
	v_cmp_eq_f64_e32 vcc, 0, v[4:5]
	s_and_saveexec_b64 s[2:3], vcc
	s_xor_b64 s[2:3], exec, s[2:3]
	s_cbranch_execz .LBB69_21
; %bb.20:
	v_lshl_add_u32 v6, v6, 1, v6
	v_ashrrev_i32_e32 v7, 31, v6
	v_mul_f64 v[4:5], v[2:3], v[10:11]
	s_waitcnt lgkmcnt(0)
	v_lshl_add_u64 v[10:11], v[6:7], 3, s[0:1]
	v_mul_f64 v[6:7], v[2:3], v[8:9]
	v_mul_f64 v[0:1], v[2:3], v[0:1]
	global_store_dwordx4 v[10:11], v[4:7], off
	global_store_dwordx2 v[10:11], v[0:1], off offset:16
                                        ; implicit-def: $vgpr6
                                        ; implicit-def: $vgpr2_vgpr3
                                        ; implicit-def: $vgpr10_vgpr11
                                        ; implicit-def: $vgpr4_vgpr5
                                        ; implicit-def: $vgpr8_vgpr9
                                        ; implicit-def: $vgpr0_vgpr1
.LBB69_21:
	s_andn2_saveexec_b64 s[2:3], s[2:3]
	s_cbranch_execz .LBB69_23
; %bb.22:
	v_lshl_add_u32 v6, v6, 1, v6
	v_ashrrev_i32_e32 v7, 31, v6
	s_waitcnt lgkmcnt(0)
	v_lshl_add_u64 v[16:17], v[6:7], 3, s[0:1]
	global_load_dwordx4 v[12:15], v[16:17], off
	global_load_dwordx2 v[18:19], v[16:17], off offset:16
	v_mul_f64 v[6:7], v[2:3], v[10:11]
	v_mul_f64 v[8:9], v[2:3], v[8:9]
	;; [unrolled: 1-line block ×3, first 2 shown]
	s_waitcnt vmcnt(1)
	v_fmac_f64_e32 v[6:7], v[4:5], v[12:13]
	v_fmac_f64_e32 v[8:9], v[4:5], v[14:15]
	s_waitcnt vmcnt(0)
	v_fmac_f64_e32 v[0:1], v[4:5], v[18:19]
	global_store_dwordx4 v[16:17], v[6:9], off
	global_store_dwordx2 v[16:17], v[0:1], off offset:16
.LBB69_23:
	s_endpgm
	.section	.rodata,"a",@progbits
	.p2align	6, 0x0
	.amdhsa_kernel _ZN9rocsparseL19gebsrmvn_3xn_kernelILj128ELj8ELj16EdEEvi20rocsparse_direction_NS_24const_host_device_scalarIT2_EEPKiS6_PKS3_S8_S4_PS3_21rocsparse_index_base_b
		.amdhsa_group_segment_fixed_size 0
		.amdhsa_private_segment_fixed_size 0
		.amdhsa_kernarg_size 72
		.amdhsa_user_sgpr_count 2
		.amdhsa_user_sgpr_dispatch_ptr 0
		.amdhsa_user_sgpr_queue_ptr 0
		.amdhsa_user_sgpr_kernarg_segment_ptr 1
		.amdhsa_user_sgpr_dispatch_id 0
		.amdhsa_user_sgpr_kernarg_preload_length 0
		.amdhsa_user_sgpr_kernarg_preload_offset 0
		.amdhsa_user_sgpr_private_segment_size 0
		.amdhsa_uses_dynamic_stack 0
		.amdhsa_enable_private_segment 0
		.amdhsa_system_sgpr_workgroup_id_x 1
		.amdhsa_system_sgpr_workgroup_id_y 0
		.amdhsa_system_sgpr_workgroup_id_z 0
		.amdhsa_system_sgpr_workgroup_info 0
		.amdhsa_system_vgpr_workitem_id 0
		.amdhsa_next_free_vgpr 68
		.amdhsa_next_free_sgpr 18
		.amdhsa_accum_offset 68
		.amdhsa_reserve_vcc 1
		.amdhsa_float_round_mode_32 0
		.amdhsa_float_round_mode_16_64 0
		.amdhsa_float_denorm_mode_32 3
		.amdhsa_float_denorm_mode_16_64 3
		.amdhsa_dx10_clamp 1
		.amdhsa_ieee_mode 1
		.amdhsa_fp16_overflow 0
		.amdhsa_tg_split 0
		.amdhsa_exception_fp_ieee_invalid_op 0
		.amdhsa_exception_fp_denorm_src 0
		.amdhsa_exception_fp_ieee_div_zero 0
		.amdhsa_exception_fp_ieee_overflow 0
		.amdhsa_exception_fp_ieee_underflow 0
		.amdhsa_exception_fp_ieee_inexact 0
		.amdhsa_exception_int_div_zero 0
	.end_amdhsa_kernel
	.section	.text._ZN9rocsparseL19gebsrmvn_3xn_kernelILj128ELj8ELj16EdEEvi20rocsparse_direction_NS_24const_host_device_scalarIT2_EEPKiS6_PKS3_S8_S4_PS3_21rocsparse_index_base_b,"axG",@progbits,_ZN9rocsparseL19gebsrmvn_3xn_kernelILj128ELj8ELj16EdEEvi20rocsparse_direction_NS_24const_host_device_scalarIT2_EEPKiS6_PKS3_S8_S4_PS3_21rocsparse_index_base_b,comdat
.Lfunc_end69:
	.size	_ZN9rocsparseL19gebsrmvn_3xn_kernelILj128ELj8ELj16EdEEvi20rocsparse_direction_NS_24const_host_device_scalarIT2_EEPKiS6_PKS3_S8_S4_PS3_21rocsparse_index_base_b, .Lfunc_end69-_ZN9rocsparseL19gebsrmvn_3xn_kernelILj128ELj8ELj16EdEEvi20rocsparse_direction_NS_24const_host_device_scalarIT2_EEPKiS6_PKS3_S8_S4_PS3_21rocsparse_index_base_b
                                        ; -- End function
	.section	.AMDGPU.csdata,"",@progbits
; Kernel info:
; codeLenInByte = 2032
; NumSgprs: 24
; NumVgprs: 68
; NumAgprs: 0
; TotalNumVgprs: 68
; ScratchSize: 0
; MemoryBound: 1
; FloatMode: 240
; IeeeMode: 1
; LDSByteSize: 0 bytes/workgroup (compile time only)
; SGPRBlocks: 2
; VGPRBlocks: 8
; NumSGPRsForWavesPerEU: 24
; NumVGPRsForWavesPerEU: 68
; AccumOffset: 68
; Occupancy: 7
; WaveLimiterHint : 1
; COMPUTE_PGM_RSRC2:SCRATCH_EN: 0
; COMPUTE_PGM_RSRC2:USER_SGPR: 2
; COMPUTE_PGM_RSRC2:TRAP_HANDLER: 0
; COMPUTE_PGM_RSRC2:TGID_X_EN: 1
; COMPUTE_PGM_RSRC2:TGID_Y_EN: 0
; COMPUTE_PGM_RSRC2:TGID_Z_EN: 0
; COMPUTE_PGM_RSRC2:TIDIG_COMP_CNT: 0
; COMPUTE_PGM_RSRC3_GFX90A:ACCUM_OFFSET: 16
; COMPUTE_PGM_RSRC3_GFX90A:TG_SPLIT: 0
	.section	.text._ZN9rocsparseL19gebsrmvn_3xn_kernelILj128ELj8ELj32EdEEvi20rocsparse_direction_NS_24const_host_device_scalarIT2_EEPKiS6_PKS3_S8_S4_PS3_21rocsparse_index_base_b,"axG",@progbits,_ZN9rocsparseL19gebsrmvn_3xn_kernelILj128ELj8ELj32EdEEvi20rocsparse_direction_NS_24const_host_device_scalarIT2_EEPKiS6_PKS3_S8_S4_PS3_21rocsparse_index_base_b,comdat
	.globl	_ZN9rocsparseL19gebsrmvn_3xn_kernelILj128ELj8ELj32EdEEvi20rocsparse_direction_NS_24const_host_device_scalarIT2_EEPKiS6_PKS3_S8_S4_PS3_21rocsparse_index_base_b ; -- Begin function _ZN9rocsparseL19gebsrmvn_3xn_kernelILj128ELj8ELj32EdEEvi20rocsparse_direction_NS_24const_host_device_scalarIT2_EEPKiS6_PKS3_S8_S4_PS3_21rocsparse_index_base_b
	.p2align	8
	.type	_ZN9rocsparseL19gebsrmvn_3xn_kernelILj128ELj8ELj32EdEEvi20rocsparse_direction_NS_24const_host_device_scalarIT2_EEPKiS6_PKS3_S8_S4_PS3_21rocsparse_index_base_b,@function
_ZN9rocsparseL19gebsrmvn_3xn_kernelILj128ELj8ELj32EdEEvi20rocsparse_direction_NS_24const_host_device_scalarIT2_EEPKiS6_PKS3_S8_S4_PS3_21rocsparse_index_base_b: ; @_ZN9rocsparseL19gebsrmvn_3xn_kernelILj128ELj8ELj32EdEEvi20rocsparse_direction_NS_24const_host_device_scalarIT2_EEPKiS6_PKS3_S8_S4_PS3_21rocsparse_index_base_b
; %bb.0:
	s_load_dwordx2 s[12:13], s[0:1], 0x40
	s_load_dwordx2 s[8:9], s[0:1], 0x8
	;; [unrolled: 1-line block ×3, first 2 shown]
	s_waitcnt lgkmcnt(0)
	s_bitcmp1_b32 s13, 0
	s_cselect_b64 s[10:11], -1, 0
	s_xor_b64 s[6:7], s[10:11], -1
	s_and_b64 vcc, exec, s[10:11]
	v_mov_b64_e32 v[2:3], s[8:9]
	s_cbranch_vccnz .LBB70_2
; %bb.1:
	v_mov_b64_e32 v[2:3], s[8:9]
	flat_load_dwordx2 v[2:3], v[2:3]
.LBB70_2:
	s_andn2_b64 vcc, exec, s[6:7]
	v_mov_b64_e32 v[4:5], s[4:5]
	s_cbranch_vccnz .LBB70_4
; %bb.3:
	v_mov_b64_e32 v[4:5], s[4:5]
	flat_load_dwordx2 v[4:5], v[4:5]
.LBB70_4:
	s_waitcnt vmcnt(0) lgkmcnt(0)
	v_cmp_neq_f64_e32 vcc, 0, v[2:3]
	v_cmp_neq_f64_e64 s[4:5], 1.0, v[4:5]
	s_or_b64 s[4:5], vcc, s[4:5]
	s_and_saveexec_b64 s[6:7], s[4:5]
	s_cbranch_execz .LBB70_23
; %bb.5:
	s_load_dwordx2 s[14:15], s[0:1], 0x0
	v_lshrrev_b32_e32 v1, 5, v0
	v_lshl_or_b32 v6, s2, 2, v1
	s_waitcnt lgkmcnt(0)
	v_cmp_gt_i32_e32 vcc, s14, v6
	s_and_b64 exec, exec, vcc
	s_cbranch_execz .LBB70_23
; %bb.6:
	s_load_dwordx8 s[4:11], s[0:1], 0x10
	v_ashrrev_i32_e32 v7, 31, v6
	s_cmp_lg_u32 s15, 0
	s_waitcnt lgkmcnt(0)
	v_lshl_add_u64 v[8:9], v[6:7], 2, s[4:5]
	global_load_dwordx2 v[8:9], v[8:9], off
	v_and_b32_e32 v7, 31, v0
	s_waitcnt vmcnt(0)
	v_subrev_u32_e32 v0, s12, v8
	v_subrev_u32_e32 v22, s12, v9
	v_add_u32_e32 v12, v0, v7
	v_cmp_lt_i32_e64 s[2:3], v12, v22
	s_cbranch_scc0 .LBB70_12
; %bb.7:
	v_mov_b64_e32 v[8:9], 0
	s_mov_b64 s[4:5], 0
	v_mov_b64_e32 v[0:1], v[8:9]
	v_mov_b64_e32 v[10:11], v[8:9]
	s_and_saveexec_b64 s[14:15], s[2:3]
	s_cbranch_execz .LBB70_11
; %bb.8:
	v_mad_u64_u32 v[14:15], s[16:17], v12, 24, 23
	v_mov_b64_e32 v[8:9], 0
	s_mov_b64 s[16:17], 0
	v_mov_b32_e32 v17, 0
	v_mov_b32_e32 v18, v12
	v_mov_b64_e32 v[0:1], v[8:9]
	v_mov_b64_e32 v[10:11], v[8:9]
.LBB70_9:                               ; =>This Inner Loop Header: Depth=1
	v_ashrrev_i32_e32 v19, 31, v18
	v_subrev_u32_e32 v16, 23, v14
	v_lshl_add_u64 v[40:41], v[18:19], 2, s[6:7]
	v_lshl_add_u64 v[42:43], v[16:17], 3, s[8:9]
	global_load_dword v13, v[40:41], off
	global_load_dwordx4 v[24:27], v[42:43], off offset:48
	global_load_dwordx4 v[28:31], v[42:43], off offset:32
	;; [unrolled: 1-line block ×3, first 2 shown]
	global_load_dwordx4 v[36:39], v[42:43], off
	v_add_u32_e32 v16, -15, v14
	v_mov_b32_e32 v15, v17
	v_lshl_add_u64 v[40:41], v[16:17], 3, s[8:9]
	v_add_u32_e32 v16, -14, v14
	v_lshl_add_u64 v[44:45], v[14:15], 3, s[8:9]
	v_lshl_add_u64 v[42:43], v[16:17], 3, s[8:9]
	v_add_u32_e32 v16, -13, v14
	global_load_dwordx2 v[44:45], v[44:45], off
	v_mov_b32_e32 v21, v17
	global_load_dwordx2 v[48:49], v[42:43], off
	global_load_dwordx2 v[46:47], v[40:41], off
	v_lshl_add_u64 v[40:41], v[16:17], 3, s[8:9]
	v_add_u32_e32 v16, -12, v14
	v_lshl_add_u64 v[42:43], v[16:17], 3, s[8:9]
	v_add_u32_e32 v16, -11, v14
	global_load_dwordx2 v[50:51], v[40:41], off
	global_load_dwordx2 v[52:53], v[42:43], off
	v_lshl_add_u64 v[40:41], v[16:17], 3, s[8:9]
	v_add_u32_e32 v16, -10, v14
	v_lshl_add_u64 v[42:43], v[16:17], 3, s[8:9]
	v_add_u32_e32 v16, -9, v14
	global_load_dwordx2 v[54:55], v[40:41], off
	global_load_dwordx2 v[56:57], v[42:43], off
	v_lshl_add_u64 v[40:41], v[16:17], 3, s[8:9]
	v_add_u32_e32 v16, -8, v14
	v_lshl_add_u64 v[42:43], v[16:17], 3, s[8:9]
	global_load_dwordx2 v[58:59], v[40:41], off
	global_load_dwordx2 v[60:61], v[42:43], off
	v_add_u32_e32 v16, -7, v14
	v_add_u32_e32 v18, 32, v18
	v_cmp_ge_i32_e32 vcc, v18, v22
	s_or_b64 s[16:17], vcc, s[16:17]
	s_waitcnt vmcnt(13)
	v_subrev_u32_e32 v13, s12, v13
	v_lshlrev_b32_e32 v20, 3, v13
	v_lshl_add_u64 v[20:21], v[20:21], 3, s[10:11]
	global_load_dwordx4 v[40:43], v[20:21], off
	s_waitcnt vmcnt(0)
	v_fmac_f64_e32 v[8:9], v[36:37], v[40:41]
	v_lshl_add_u64 v[36:37], v[16:17], 3, s[8:9]
	v_add_u32_e32 v16, -6, v14
	v_fmac_f64_e32 v[10:11], v[38:39], v[40:41]
	v_lshl_add_u64 v[38:39], v[16:17], 3, s[8:9]
	v_add_u32_e32 v16, -5, v14
	;; [unrolled: 3-line block ×5, first 2 shown]
	global_load_dwordx2 v[36:37], v[36:37], off
	v_fmac_f64_e32 v[0:1], v[30:31], v[42:43]
	global_load_dwordx2 v[38:39], v[38:39], off
	s_nop 0
	global_load_dwordx2 v[40:41], v[32:33], off
	global_load_dwordx2 v[62:63], v[34:35], off
	v_lshl_add_u64 v[32:33], v[16:17], 3, s[8:9]
	global_load_dwordx2 v[42:43], v[28:29], off
	global_load_dwordx2 v[66:67], v[32:33], off
	v_add_u32_e32 v16, -1, v14
	global_load_dwordx4 v[28:31], v[20:21], off offset:16
	v_lshl_add_u64 v[64:65], v[16:17], 3, s[8:9]
	v_add_u32_e32 v14, 0x300, v14
	s_waitcnt vmcnt(0)
	v_fmac_f64_e32 v[8:9], v[24:25], v[28:29]
	v_fmac_f64_e32 v[10:11], v[26:27], v[28:29]
	global_load_dwordx4 v[24:27], v[20:21], off offset:32
	v_fmac_f64_e32 v[0:1], v[46:47], v[28:29]
	global_load_dwordx4 v[32:35], v[20:21], off offset:48
	global_load_dwordx2 v[28:29], v[64:65], off
	v_fmac_f64_e32 v[8:9], v[48:49], v[30:31]
	v_fmac_f64_e32 v[10:11], v[50:51], v[30:31]
	v_fmac_f64_e32 v[0:1], v[52:53], v[30:31]
	s_waitcnt vmcnt(2)
	v_fmac_f64_e32 v[8:9], v[54:55], v[24:25]
	v_fmac_f64_e32 v[10:11], v[56:57], v[24:25]
	v_fmac_f64_e32 v[0:1], v[58:59], v[24:25]
	v_fmac_f64_e32 v[8:9], v[60:61], v[26:27]
	v_fmac_f64_e32 v[10:11], v[36:37], v[26:27]
	v_fmac_f64_e32 v[0:1], v[38:39], v[26:27]
	s_waitcnt vmcnt(1)
	v_fmac_f64_e32 v[8:9], v[40:41], v[32:33]
	v_fmac_f64_e32 v[10:11], v[62:63], v[32:33]
	;; [unrolled: 1-line block ×4, first 2 shown]
	s_waitcnt vmcnt(0)
	v_fmac_f64_e32 v[10:11], v[28:29], v[34:35]
	v_fmac_f64_e32 v[0:1], v[44:45], v[34:35]
	s_andn2_b64 exec, exec, s[16:17]
	s_cbranch_execnz .LBB70_9
; %bb.10:
	s_or_b64 exec, exec, s[16:17]
.LBB70_11:
	s_or_b64 exec, exec, s[14:15]
	s_andn2_b64 vcc, exec, s[4:5]
	s_cbranch_vccz .LBB70_13
	s_branch .LBB70_18
.LBB70_12:
                                        ; implicit-def: $vgpr8_vgpr9
                                        ; implicit-def: $vgpr0_vgpr1
                                        ; implicit-def: $vgpr10_vgpr11
.LBB70_13:
	v_mov_b64_e32 v[8:9], 0
	v_mov_b64_e32 v[0:1], v[8:9]
	;; [unrolled: 1-line block ×3, first 2 shown]
	s_and_saveexec_b64 s[4:5], s[2:3]
	s_cbranch_execz .LBB70_17
; %bb.14:
	v_mad_u64_u32 v[14:15], s[2:3], v12, 24, 23
	v_mov_b64_e32 v[8:9], 0
	s_mov_b64 s[2:3], 0
	v_mov_b32_e32 v17, 0
	v_mov_b64_e32 v[0:1], v[8:9]
	v_mov_b64_e32 v[10:11], v[8:9]
.LBB70_15:                              ; =>This Inner Loop Header: Depth=1
	v_ashrrev_i32_e32 v13, 31, v12
	v_subrev_u32_e32 v16, 23, v14
	v_add_u32_e32 v18, -15, v14
	v_add_u32_e32 v20, -7, v14
	v_mov_b32_e32 v19, v17
	v_mov_b32_e32 v21, v17
	v_lshl_add_u64 v[38:39], v[12:13], 2, s[6:7]
	v_lshl_add_u64 v[40:41], v[16:17], 3, s[8:9]
	;; [unrolled: 1-line block ×4, first 2 shown]
	global_load_dword v13, v[38:39], off
	global_load_dwordx4 v[18:21], v[40:41], off offset:48
	global_load_dwordx4 v[24:27], v[40:41], off offset:32
	;; [unrolled: 1-line block ×3, first 2 shown]
	global_load_dwordx4 v[32:35], v[40:41], off
	v_add_u32_e32 v16, -14, v14
	v_mov_b32_e32 v15, v17
	v_lshl_add_u64 v[38:39], v[16:17], 3, s[8:9]
	v_add_u32_e32 v16, -6, v14
	v_lshl_add_u64 v[46:47], v[14:15], 3, s[8:9]
	global_load_dwordx2 v[40:41], v[42:43], off
	global_load_dwordx2 v[48:49], v[44:45], off
	;; [unrolled: 1-line block ×3, first 2 shown]
	v_lshl_add_u64 v[42:43], v[16:17], 3, s[8:9]
	v_add_u32_e32 v16, -13, v14
	global_load_dwordx2 v[44:45], v[38:39], off
	global_load_dwordx2 v[46:47], v[42:43], off
	v_lshl_add_u64 v[38:39], v[16:17], 3, s[8:9]
	v_add_u32_e32 v16, -5, v14
	v_lshl_add_u64 v[42:43], v[16:17], 3, s[8:9]
	v_add_u32_e32 v16, -12, v14
	global_load_dwordx2 v[52:53], v[38:39], off
	v_mov_b32_e32 v37, v17
	global_load_dwordx2 v[42:43], v[42:43], off
	v_lshl_add_u64 v[38:39], v[16:17], 3, s[8:9]
	v_add_u32_e32 v16, -4, v14
	v_lshl_add_u64 v[54:55], v[16:17], 3, s[8:9]
	global_load_dwordx2 v[56:57], v[38:39], off
	global_load_dwordx2 v[58:59], v[54:55], off
	v_add_u32_e32 v16, -11, v14
	v_add_u32_e32 v12, 32, v12
	v_cmp_ge_i32_e32 vcc, v12, v22
	s_or_b64 s[2:3], vcc, s[2:3]
	s_waitcnt vmcnt(13)
	v_subrev_u32_e32 v13, s12, v13
	v_lshlrev_b32_e32 v36, 3, v13
	v_lshl_add_u64 v[54:55], v[36:37], 3, s[10:11]
	global_load_dwordx4 v[36:39], v[54:55], off
	s_waitcnt vmcnt(0)
	v_fmac_f64_e32 v[8:9], v[32:33], v[36:37]
	v_lshl_add_u64 v[32:33], v[16:17], 3, s[8:9]
	v_add_u32_e32 v16, -3, v14
	v_fmac_f64_e32 v[8:9], v[34:35], v[38:39]
	v_lshl_add_u64 v[34:35], v[16:17], 3, s[8:9]
	v_add_u32_e32 v16, -10, v14
	global_load_dwordx2 v[60:61], v[32:33], off
	global_load_dwordx2 v[62:63], v[34:35], off
	v_lshl_add_u64 v[32:33], v[16:17], 3, s[8:9]
	v_add_u32_e32 v16, -2, v14
	v_lshl_add_u64 v[34:35], v[16:17], 3, s[8:9]
	v_add_u32_e32 v16, -9, v14
	v_fmac_f64_e32 v[10:11], v[40:41], v[36:37]
	v_fmac_f64_e32 v[0:1], v[48:49], v[36:37]
	v_lshl_add_u64 v[36:37], v[16:17], 3, s[8:9]
	v_add_u32_e32 v16, -1, v14
	global_load_dwordx2 v[40:41], v[32:33], off
	global_load_dwordx2 v[48:49], v[34:35], off
	v_fmac_f64_e32 v[10:11], v[44:45], v[38:39]
	v_fmac_f64_e32 v[0:1], v[46:47], v[38:39]
	v_lshl_add_u64 v[38:39], v[16:17], 3, s[8:9]
	global_load_dwordx2 v[44:45], v[36:37], off
	global_load_dwordx2 v[46:47], v[38:39], off
	global_load_dwordx4 v[32:35], v[54:55], off offset:16
	v_add_u32_e32 v16, -8, v14
	v_add_u32_e32 v14, 0x300, v14
	s_waitcnt vmcnt(0)
	v_fmac_f64_e32 v[8:9], v[28:29], v[32:33]
	v_fmac_f64_e32 v[8:9], v[30:31], v[34:35]
	global_load_dwordx4 v[28:31], v[54:55], off offset:32
	v_fmac_f64_e32 v[10:11], v[52:53], v[32:33]
	v_lshl_add_u64 v[52:53], v[16:17], 3, s[8:9]
	v_fmac_f64_e32 v[0:1], v[42:43], v[32:33]
	global_load_dwordx4 v[36:39], v[54:55], off offset:48
	global_load_dwordx2 v[32:33], v[52:53], off
	v_fmac_f64_e32 v[10:11], v[56:57], v[34:35]
	v_fmac_f64_e32 v[0:1], v[58:59], v[34:35]
	s_waitcnt vmcnt(2)
	v_fmac_f64_e32 v[8:9], v[24:25], v[28:29]
	v_fmac_f64_e32 v[10:11], v[60:61], v[28:29]
	;; [unrolled: 1-line block ×6, first 2 shown]
	s_waitcnt vmcnt(1)
	v_fmac_f64_e32 v[8:9], v[18:19], v[36:37]
	v_fmac_f64_e32 v[10:11], v[44:45], v[36:37]
	;; [unrolled: 1-line block ×4, first 2 shown]
	s_waitcnt vmcnt(0)
	v_fmac_f64_e32 v[10:11], v[32:33], v[38:39]
	v_fmac_f64_e32 v[0:1], v[50:51], v[38:39]
	s_andn2_b64 exec, exec, s[2:3]
	s_cbranch_execnz .LBB70_15
; %bb.16:
	s_or_b64 exec, exec, s[2:3]
.LBB70_17:
	s_or_b64 exec, exec, s[4:5]
.LBB70_18:
	v_mov_b32_dpp v14, v10 row_shr:1 row_mask:0xf bank_mask:0xf
	v_mov_b32_dpp v15, v11 row_shr:1 row_mask:0xf bank_mask:0xf
	v_add_f64 v[10:11], v[10:11], v[14:15]
	v_mov_b32_dpp v12, v8 row_shr:1 row_mask:0xf bank_mask:0xf
	v_mov_b32_dpp v13, v9 row_shr:1 row_mask:0xf bank_mask:0xf
	;; [unrolled: 1-line block ×4, first 2 shown]
	v_add_f64 v[10:11], v[10:11], v[14:15]
	v_add_f64 v[8:9], v[8:9], v[12:13]
	v_cmp_eq_u32_e32 vcc, 31, v7
	v_mov_b32_dpp v14, v10 row_shr:4 row_mask:0xf bank_mask:0xe
	v_mov_b32_dpp v15, v11 row_shr:4 row_mask:0xf bank_mask:0xe
	v_add_f64 v[10:11], v[10:11], v[14:15]
	v_mov_b32_dpp v12, v8 row_shr:2 row_mask:0xf bank_mask:0xf
	v_mov_b32_dpp v13, v9 row_shr:2 row_mask:0xf bank_mask:0xf
	;; [unrolled: 1-line block ×4, first 2 shown]
	v_add_f64 v[14:15], v[10:11], v[14:15]
	v_mov_b32_dpp v10, v0 row_shr:1 row_mask:0xf bank_mask:0xf
	v_mov_b32_dpp v11, v1 row_shr:1 row_mask:0xf bank_mask:0xf
	v_add_f64 v[0:1], v[0:1], v[10:11]
	v_add_f64 v[8:9], v[8:9], v[12:13]
	v_mov_b32_dpp v16, v14 row_bcast:15 row_mask:0xa bank_mask:0xf
	v_mov_b32_dpp v10, v0 row_shr:2 row_mask:0xf bank_mask:0xf
	v_mov_b32_dpp v11, v1 row_shr:2 row_mask:0xf bank_mask:0xf
	v_add_f64 v[0:1], v[0:1], v[10:11]
	v_mov_b32_dpp v12, v8 row_shr:4 row_mask:0xf bank_mask:0xe
	v_mov_b32_dpp v13, v9 row_shr:4 row_mask:0xf bank_mask:0xe
	;; [unrolled: 1-line block ×4, first 2 shown]
	v_add_f64 v[8:9], v[8:9], v[12:13]
	v_add_f64 v[0:1], v[0:1], v[10:11]
	v_mov_b32_dpp v17, v15 row_bcast:15 row_mask:0xa bank_mask:0xf
	v_mov_b32_dpp v12, v8 row_shr:8 row_mask:0xf bank_mask:0xc
	v_mov_b32_dpp v13, v9 row_shr:8 row_mask:0xf bank_mask:0xc
	;; [unrolled: 1-line block ×4, first 2 shown]
	v_add_f64 v[8:9], v[8:9], v[12:13]
	v_add_f64 v[0:1], v[0:1], v[10:11]
	s_nop 0
	v_mov_b32_dpp v12, v8 row_bcast:15 row_mask:0xa bank_mask:0xf
	v_mov_b32_dpp v13, v9 row_bcast:15 row_mask:0xa bank_mask:0xf
	;; [unrolled: 1-line block ×4, first 2 shown]
	s_and_b64 exec, exec, vcc
	s_cbranch_execz .LBB70_23
; %bb.19:
	s_load_dwordx2 s[0:1], s[0:1], 0x38
	v_add_f64 v[10:11], v[8:9], v[12:13]
	v_add_f64 v[8:9], v[14:15], v[16:17]
	;; [unrolled: 1-line block ×3, first 2 shown]
	v_cmp_eq_f64_e32 vcc, 0, v[4:5]
	s_and_saveexec_b64 s[2:3], vcc
	s_xor_b64 s[2:3], exec, s[2:3]
	s_cbranch_execz .LBB70_21
; %bb.20:
	v_lshl_add_u32 v6, v6, 1, v6
	v_ashrrev_i32_e32 v7, 31, v6
	v_mul_f64 v[4:5], v[2:3], v[10:11]
	s_waitcnt lgkmcnt(0)
	v_lshl_add_u64 v[10:11], v[6:7], 3, s[0:1]
	v_mul_f64 v[6:7], v[2:3], v[8:9]
	v_mul_f64 v[0:1], v[2:3], v[0:1]
	global_store_dwordx4 v[10:11], v[4:7], off
	global_store_dwordx2 v[10:11], v[0:1], off offset:16
                                        ; implicit-def: $vgpr6
                                        ; implicit-def: $vgpr2_vgpr3
                                        ; implicit-def: $vgpr10_vgpr11
                                        ; implicit-def: $vgpr4_vgpr5
                                        ; implicit-def: $vgpr8_vgpr9
                                        ; implicit-def: $vgpr0_vgpr1
.LBB70_21:
	s_andn2_saveexec_b64 s[2:3], s[2:3]
	s_cbranch_execz .LBB70_23
; %bb.22:
	v_lshl_add_u32 v6, v6, 1, v6
	v_ashrrev_i32_e32 v7, 31, v6
	s_waitcnt lgkmcnt(0)
	v_lshl_add_u64 v[16:17], v[6:7], 3, s[0:1]
	global_load_dwordx4 v[12:15], v[16:17], off
	global_load_dwordx2 v[18:19], v[16:17], off offset:16
	v_mul_f64 v[6:7], v[2:3], v[10:11]
	v_mul_f64 v[8:9], v[2:3], v[8:9]
	;; [unrolled: 1-line block ×3, first 2 shown]
	s_waitcnt vmcnt(1)
	v_fmac_f64_e32 v[6:7], v[4:5], v[12:13]
	v_fmac_f64_e32 v[8:9], v[4:5], v[14:15]
	s_waitcnt vmcnt(0)
	v_fmac_f64_e32 v[0:1], v[4:5], v[18:19]
	global_store_dwordx4 v[16:17], v[6:9], off
	global_store_dwordx2 v[16:17], v[0:1], off offset:16
.LBB70_23:
	s_endpgm
	.section	.rodata,"a",@progbits
	.p2align	6, 0x0
	.amdhsa_kernel _ZN9rocsparseL19gebsrmvn_3xn_kernelILj128ELj8ELj32EdEEvi20rocsparse_direction_NS_24const_host_device_scalarIT2_EEPKiS6_PKS3_S8_S4_PS3_21rocsparse_index_base_b
		.amdhsa_group_segment_fixed_size 0
		.amdhsa_private_segment_fixed_size 0
		.amdhsa_kernarg_size 72
		.amdhsa_user_sgpr_count 2
		.amdhsa_user_sgpr_dispatch_ptr 0
		.amdhsa_user_sgpr_queue_ptr 0
		.amdhsa_user_sgpr_kernarg_segment_ptr 1
		.amdhsa_user_sgpr_dispatch_id 0
		.amdhsa_user_sgpr_kernarg_preload_length 0
		.amdhsa_user_sgpr_kernarg_preload_offset 0
		.amdhsa_user_sgpr_private_segment_size 0
		.amdhsa_uses_dynamic_stack 0
		.amdhsa_enable_private_segment 0
		.amdhsa_system_sgpr_workgroup_id_x 1
		.amdhsa_system_sgpr_workgroup_id_y 0
		.amdhsa_system_sgpr_workgroup_id_z 0
		.amdhsa_system_sgpr_workgroup_info 0
		.amdhsa_system_vgpr_workitem_id 0
		.amdhsa_next_free_vgpr 68
		.amdhsa_next_free_sgpr 18
		.amdhsa_accum_offset 68
		.amdhsa_reserve_vcc 1
		.amdhsa_float_round_mode_32 0
		.amdhsa_float_round_mode_16_64 0
		.amdhsa_float_denorm_mode_32 3
		.amdhsa_float_denorm_mode_16_64 3
		.amdhsa_dx10_clamp 1
		.amdhsa_ieee_mode 1
		.amdhsa_fp16_overflow 0
		.amdhsa_tg_split 0
		.amdhsa_exception_fp_ieee_invalid_op 0
		.amdhsa_exception_fp_denorm_src 0
		.amdhsa_exception_fp_ieee_div_zero 0
		.amdhsa_exception_fp_ieee_overflow 0
		.amdhsa_exception_fp_ieee_underflow 0
		.amdhsa_exception_fp_ieee_inexact 0
		.amdhsa_exception_int_div_zero 0
	.end_amdhsa_kernel
	.section	.text._ZN9rocsparseL19gebsrmvn_3xn_kernelILj128ELj8ELj32EdEEvi20rocsparse_direction_NS_24const_host_device_scalarIT2_EEPKiS6_PKS3_S8_S4_PS3_21rocsparse_index_base_b,"axG",@progbits,_ZN9rocsparseL19gebsrmvn_3xn_kernelILj128ELj8ELj32EdEEvi20rocsparse_direction_NS_24const_host_device_scalarIT2_EEPKiS6_PKS3_S8_S4_PS3_21rocsparse_index_base_b,comdat
.Lfunc_end70:
	.size	_ZN9rocsparseL19gebsrmvn_3xn_kernelILj128ELj8ELj32EdEEvi20rocsparse_direction_NS_24const_host_device_scalarIT2_EEPKiS6_PKS3_S8_S4_PS3_21rocsparse_index_base_b, .Lfunc_end70-_ZN9rocsparseL19gebsrmvn_3xn_kernelILj128ELj8ELj32EdEEvi20rocsparse_direction_NS_24const_host_device_scalarIT2_EEPKiS6_PKS3_S8_S4_PS3_21rocsparse_index_base_b
                                        ; -- End function
	.section	.AMDGPU.csdata,"",@progbits
; Kernel info:
; codeLenInByte = 2108
; NumSgprs: 24
; NumVgprs: 68
; NumAgprs: 0
; TotalNumVgprs: 68
; ScratchSize: 0
; MemoryBound: 1
; FloatMode: 240
; IeeeMode: 1
; LDSByteSize: 0 bytes/workgroup (compile time only)
; SGPRBlocks: 2
; VGPRBlocks: 8
; NumSGPRsForWavesPerEU: 24
; NumVGPRsForWavesPerEU: 68
; AccumOffset: 68
; Occupancy: 7
; WaveLimiterHint : 1
; COMPUTE_PGM_RSRC2:SCRATCH_EN: 0
; COMPUTE_PGM_RSRC2:USER_SGPR: 2
; COMPUTE_PGM_RSRC2:TRAP_HANDLER: 0
; COMPUTE_PGM_RSRC2:TGID_X_EN: 1
; COMPUTE_PGM_RSRC2:TGID_Y_EN: 0
; COMPUTE_PGM_RSRC2:TGID_Z_EN: 0
; COMPUTE_PGM_RSRC2:TIDIG_COMP_CNT: 0
; COMPUTE_PGM_RSRC3_GFX90A:ACCUM_OFFSET: 16
; COMPUTE_PGM_RSRC3_GFX90A:TG_SPLIT: 0
	.section	.text._ZN9rocsparseL19gebsrmvn_3xn_kernelILj128ELj8ELj64EdEEvi20rocsparse_direction_NS_24const_host_device_scalarIT2_EEPKiS6_PKS3_S8_S4_PS3_21rocsparse_index_base_b,"axG",@progbits,_ZN9rocsparseL19gebsrmvn_3xn_kernelILj128ELj8ELj64EdEEvi20rocsparse_direction_NS_24const_host_device_scalarIT2_EEPKiS6_PKS3_S8_S4_PS3_21rocsparse_index_base_b,comdat
	.globl	_ZN9rocsparseL19gebsrmvn_3xn_kernelILj128ELj8ELj64EdEEvi20rocsparse_direction_NS_24const_host_device_scalarIT2_EEPKiS6_PKS3_S8_S4_PS3_21rocsparse_index_base_b ; -- Begin function _ZN9rocsparseL19gebsrmvn_3xn_kernelILj128ELj8ELj64EdEEvi20rocsparse_direction_NS_24const_host_device_scalarIT2_EEPKiS6_PKS3_S8_S4_PS3_21rocsparse_index_base_b
	.p2align	8
	.type	_ZN9rocsparseL19gebsrmvn_3xn_kernelILj128ELj8ELj64EdEEvi20rocsparse_direction_NS_24const_host_device_scalarIT2_EEPKiS6_PKS3_S8_S4_PS3_21rocsparse_index_base_b,@function
_ZN9rocsparseL19gebsrmvn_3xn_kernelILj128ELj8ELj64EdEEvi20rocsparse_direction_NS_24const_host_device_scalarIT2_EEPKiS6_PKS3_S8_S4_PS3_21rocsparse_index_base_b: ; @_ZN9rocsparseL19gebsrmvn_3xn_kernelILj128ELj8ELj64EdEEvi20rocsparse_direction_NS_24const_host_device_scalarIT2_EEPKiS6_PKS3_S8_S4_PS3_21rocsparse_index_base_b
; %bb.0:
	s_load_dwordx2 s[12:13], s[0:1], 0x40
	s_load_dwordx2 s[8:9], s[0:1], 0x8
	s_load_dwordx2 s[4:5], s[0:1], 0x30
	s_waitcnt lgkmcnt(0)
	s_bitcmp1_b32 s13, 0
	s_cselect_b64 s[10:11], -1, 0
	s_xor_b64 s[6:7], s[10:11], -1
	s_and_b64 vcc, exec, s[10:11]
	v_mov_b64_e32 v[2:3], s[8:9]
	s_cbranch_vccnz .LBB71_2
; %bb.1:
	v_mov_b64_e32 v[2:3], s[8:9]
	flat_load_dwordx2 v[2:3], v[2:3]
.LBB71_2:
	s_andn2_b64 vcc, exec, s[6:7]
	v_mov_b64_e32 v[4:5], s[4:5]
	s_cbranch_vccnz .LBB71_4
; %bb.3:
	v_mov_b64_e32 v[4:5], s[4:5]
	flat_load_dwordx2 v[4:5], v[4:5]
.LBB71_4:
	s_waitcnt vmcnt(0) lgkmcnt(0)
	v_cmp_neq_f64_e32 vcc, 0, v[2:3]
	v_cmp_neq_f64_e64 s[4:5], 1.0, v[4:5]
	s_or_b64 s[4:5], vcc, s[4:5]
	s_and_saveexec_b64 s[6:7], s[4:5]
	s_cbranch_execz .LBB71_23
; %bb.5:
	s_load_dwordx2 s[14:15], s[0:1], 0x0
	v_lshrrev_b32_e32 v1, 6, v0
	v_lshl_or_b32 v6, s2, 1, v1
	s_waitcnt lgkmcnt(0)
	v_cmp_gt_i32_e32 vcc, s14, v6
	s_and_b64 exec, exec, vcc
	s_cbranch_execz .LBB71_23
; %bb.6:
	s_load_dwordx8 s[4:11], s[0:1], 0x10
	v_ashrrev_i32_e32 v7, 31, v6
	s_cmp_lg_u32 s15, 0
	s_waitcnt lgkmcnt(0)
	v_lshl_add_u64 v[8:9], v[6:7], 2, s[4:5]
	global_load_dwordx2 v[8:9], v[8:9], off
	v_and_b32_e32 v7, 63, v0
	s_waitcnt vmcnt(0)
	v_subrev_u32_e32 v0, s12, v8
	v_subrev_u32_e32 v22, s12, v9
	v_add_u32_e32 v12, v0, v7
	v_cmp_lt_i32_e64 s[2:3], v12, v22
	s_cbranch_scc0 .LBB71_12
; %bb.7:
	v_mov_b64_e32 v[10:11], 0
	s_mov_b64 s[4:5], 0
	v_mov_b64_e32 v[0:1], v[10:11]
	v_mov_b64_e32 v[8:9], v[10:11]
	s_and_saveexec_b64 s[14:15], s[2:3]
	s_cbranch_execz .LBB71_11
; %bb.8:
	v_mad_u64_u32 v[14:15], s[16:17], v12, 24, 23
	v_mov_b64_e32 v[10:11], 0
	s_mov_b64 s[16:17], 0
	v_mov_b32_e32 v17, 0
	v_mov_b32_e32 v18, v12
	v_mov_b64_e32 v[0:1], v[10:11]
	v_mov_b64_e32 v[8:9], v[10:11]
.LBB71_9:                               ; =>This Inner Loop Header: Depth=1
	v_ashrrev_i32_e32 v19, 31, v18
	v_subrev_u32_e32 v16, 23, v14
	v_lshl_add_u64 v[40:41], v[18:19], 2, s[6:7]
	v_lshl_add_u64 v[42:43], v[16:17], 3, s[8:9]
	global_load_dword v13, v[40:41], off
	global_load_dwordx4 v[24:27], v[42:43], off offset:48
	global_load_dwordx4 v[28:31], v[42:43], off offset:32
	;; [unrolled: 1-line block ×3, first 2 shown]
	global_load_dwordx4 v[36:39], v[42:43], off
	v_add_u32_e32 v16, -15, v14
	v_mov_b32_e32 v15, v17
	v_lshl_add_u64 v[40:41], v[16:17], 3, s[8:9]
	v_add_u32_e32 v16, -14, v14
	v_lshl_add_u64 v[44:45], v[14:15], 3, s[8:9]
	v_lshl_add_u64 v[42:43], v[16:17], 3, s[8:9]
	v_add_u32_e32 v16, -13, v14
	global_load_dwordx2 v[44:45], v[44:45], off
	v_mov_b32_e32 v21, v17
	global_load_dwordx2 v[48:49], v[42:43], off
	global_load_dwordx2 v[46:47], v[40:41], off
	v_lshl_add_u64 v[40:41], v[16:17], 3, s[8:9]
	v_add_u32_e32 v16, -12, v14
	v_lshl_add_u64 v[42:43], v[16:17], 3, s[8:9]
	v_add_u32_e32 v16, -11, v14
	global_load_dwordx2 v[50:51], v[40:41], off
	global_load_dwordx2 v[52:53], v[42:43], off
	v_lshl_add_u64 v[40:41], v[16:17], 3, s[8:9]
	v_add_u32_e32 v16, -10, v14
	v_lshl_add_u64 v[42:43], v[16:17], 3, s[8:9]
	v_add_u32_e32 v16, -9, v14
	global_load_dwordx2 v[54:55], v[40:41], off
	global_load_dwordx2 v[56:57], v[42:43], off
	v_lshl_add_u64 v[40:41], v[16:17], 3, s[8:9]
	v_add_u32_e32 v16, -8, v14
	v_lshl_add_u64 v[42:43], v[16:17], 3, s[8:9]
	global_load_dwordx2 v[58:59], v[40:41], off
	global_load_dwordx2 v[60:61], v[42:43], off
	v_add_u32_e32 v16, -7, v14
	v_add_u32_e32 v18, 64, v18
	v_cmp_ge_i32_e32 vcc, v18, v22
	s_or_b64 s[16:17], vcc, s[16:17]
	s_waitcnt vmcnt(13)
	v_subrev_u32_e32 v13, s12, v13
	v_lshlrev_b32_e32 v20, 3, v13
	v_lshl_add_u64 v[20:21], v[20:21], 3, s[10:11]
	global_load_dwordx4 v[40:43], v[20:21], off
	s_waitcnt vmcnt(0)
	v_fmac_f64_e32 v[10:11], v[36:37], v[40:41]
	v_lshl_add_u64 v[36:37], v[16:17], 3, s[8:9]
	v_add_u32_e32 v16, -6, v14
	v_fmac_f64_e32 v[8:9], v[38:39], v[40:41]
	v_lshl_add_u64 v[38:39], v[16:17], 3, s[8:9]
	v_add_u32_e32 v16, -5, v14
	;; [unrolled: 3-line block ×5, first 2 shown]
	global_load_dwordx2 v[36:37], v[36:37], off
	v_fmac_f64_e32 v[0:1], v[30:31], v[42:43]
	global_load_dwordx2 v[38:39], v[38:39], off
	s_nop 0
	global_load_dwordx2 v[40:41], v[32:33], off
	global_load_dwordx2 v[62:63], v[34:35], off
	v_lshl_add_u64 v[32:33], v[16:17], 3, s[8:9]
	global_load_dwordx2 v[42:43], v[28:29], off
	global_load_dwordx2 v[66:67], v[32:33], off
	v_add_u32_e32 v16, -1, v14
	global_load_dwordx4 v[28:31], v[20:21], off offset:16
	v_lshl_add_u64 v[64:65], v[16:17], 3, s[8:9]
	v_add_u32_e32 v14, 0x600, v14
	s_waitcnt vmcnt(0)
	v_fmac_f64_e32 v[10:11], v[24:25], v[28:29]
	v_fmac_f64_e32 v[8:9], v[26:27], v[28:29]
	global_load_dwordx4 v[24:27], v[20:21], off offset:32
	v_fmac_f64_e32 v[0:1], v[46:47], v[28:29]
	global_load_dwordx4 v[32:35], v[20:21], off offset:48
	global_load_dwordx2 v[28:29], v[64:65], off
	v_fmac_f64_e32 v[10:11], v[48:49], v[30:31]
	v_fmac_f64_e32 v[8:9], v[50:51], v[30:31]
	;; [unrolled: 1-line block ×3, first 2 shown]
	s_waitcnt vmcnt(2)
	v_fmac_f64_e32 v[10:11], v[54:55], v[24:25]
	v_fmac_f64_e32 v[8:9], v[56:57], v[24:25]
	v_fmac_f64_e32 v[0:1], v[58:59], v[24:25]
	v_fmac_f64_e32 v[10:11], v[60:61], v[26:27]
	v_fmac_f64_e32 v[8:9], v[36:37], v[26:27]
	v_fmac_f64_e32 v[0:1], v[38:39], v[26:27]
	s_waitcnt vmcnt(1)
	v_fmac_f64_e32 v[10:11], v[40:41], v[32:33]
	v_fmac_f64_e32 v[8:9], v[62:63], v[32:33]
	;; [unrolled: 1-line block ×4, first 2 shown]
	s_waitcnt vmcnt(0)
	v_fmac_f64_e32 v[8:9], v[28:29], v[34:35]
	v_fmac_f64_e32 v[0:1], v[44:45], v[34:35]
	s_andn2_b64 exec, exec, s[16:17]
	s_cbranch_execnz .LBB71_9
; %bb.10:
	s_or_b64 exec, exec, s[16:17]
.LBB71_11:
	s_or_b64 exec, exec, s[14:15]
	s_andn2_b64 vcc, exec, s[4:5]
	s_cbranch_vccz .LBB71_13
	s_branch .LBB71_18
.LBB71_12:
                                        ; implicit-def: $vgpr10_vgpr11
                                        ; implicit-def: $vgpr0_vgpr1
                                        ; implicit-def: $vgpr8_vgpr9
.LBB71_13:
	v_mov_b64_e32 v[10:11], 0
	v_mov_b64_e32 v[0:1], v[10:11]
	;; [unrolled: 1-line block ×3, first 2 shown]
	s_and_saveexec_b64 s[4:5], s[2:3]
	s_cbranch_execz .LBB71_17
; %bb.14:
	v_mad_u64_u32 v[14:15], s[2:3], v12, 24, 23
	v_mov_b64_e32 v[10:11], 0
	s_mov_b64 s[2:3], 0
	v_mov_b32_e32 v17, 0
	v_mov_b64_e32 v[0:1], v[10:11]
	v_mov_b64_e32 v[8:9], v[10:11]
.LBB71_15:                              ; =>This Inner Loop Header: Depth=1
	v_ashrrev_i32_e32 v13, 31, v12
	v_subrev_u32_e32 v16, 23, v14
	v_add_u32_e32 v18, -15, v14
	v_add_u32_e32 v20, -7, v14
	v_mov_b32_e32 v19, v17
	v_mov_b32_e32 v21, v17
	v_lshl_add_u64 v[38:39], v[12:13], 2, s[6:7]
	v_lshl_add_u64 v[40:41], v[16:17], 3, s[8:9]
	;; [unrolled: 1-line block ×4, first 2 shown]
	global_load_dword v13, v[38:39], off
	global_load_dwordx4 v[18:21], v[40:41], off offset:48
	global_load_dwordx4 v[24:27], v[40:41], off offset:32
	;; [unrolled: 1-line block ×3, first 2 shown]
	global_load_dwordx4 v[32:35], v[40:41], off
	v_add_u32_e32 v16, -14, v14
	v_mov_b32_e32 v15, v17
	v_lshl_add_u64 v[38:39], v[16:17], 3, s[8:9]
	v_add_u32_e32 v16, -6, v14
	v_lshl_add_u64 v[46:47], v[14:15], 3, s[8:9]
	global_load_dwordx2 v[40:41], v[42:43], off
	global_load_dwordx2 v[48:49], v[44:45], off
	;; [unrolled: 1-line block ×3, first 2 shown]
	v_lshl_add_u64 v[42:43], v[16:17], 3, s[8:9]
	v_add_u32_e32 v16, -13, v14
	global_load_dwordx2 v[44:45], v[38:39], off
	global_load_dwordx2 v[46:47], v[42:43], off
	v_lshl_add_u64 v[38:39], v[16:17], 3, s[8:9]
	v_add_u32_e32 v16, -5, v14
	v_lshl_add_u64 v[42:43], v[16:17], 3, s[8:9]
	v_add_u32_e32 v16, -12, v14
	global_load_dwordx2 v[52:53], v[38:39], off
	v_mov_b32_e32 v37, v17
	global_load_dwordx2 v[42:43], v[42:43], off
	v_lshl_add_u64 v[38:39], v[16:17], 3, s[8:9]
	v_add_u32_e32 v16, -4, v14
	v_lshl_add_u64 v[54:55], v[16:17], 3, s[8:9]
	global_load_dwordx2 v[56:57], v[38:39], off
	global_load_dwordx2 v[58:59], v[54:55], off
	v_add_u32_e32 v16, -11, v14
	v_add_u32_e32 v12, 64, v12
	v_cmp_ge_i32_e32 vcc, v12, v22
	s_or_b64 s[2:3], vcc, s[2:3]
	s_waitcnt vmcnt(13)
	v_subrev_u32_e32 v13, s12, v13
	v_lshlrev_b32_e32 v36, 3, v13
	v_lshl_add_u64 v[54:55], v[36:37], 3, s[10:11]
	global_load_dwordx4 v[36:39], v[54:55], off
	s_waitcnt vmcnt(0)
	v_fmac_f64_e32 v[10:11], v[32:33], v[36:37]
	v_lshl_add_u64 v[32:33], v[16:17], 3, s[8:9]
	v_add_u32_e32 v16, -3, v14
	v_fmac_f64_e32 v[10:11], v[34:35], v[38:39]
	v_lshl_add_u64 v[34:35], v[16:17], 3, s[8:9]
	v_add_u32_e32 v16, -10, v14
	global_load_dwordx2 v[60:61], v[32:33], off
	global_load_dwordx2 v[62:63], v[34:35], off
	v_lshl_add_u64 v[32:33], v[16:17], 3, s[8:9]
	v_add_u32_e32 v16, -2, v14
	v_lshl_add_u64 v[34:35], v[16:17], 3, s[8:9]
	v_add_u32_e32 v16, -9, v14
	v_fmac_f64_e32 v[8:9], v[40:41], v[36:37]
	v_fmac_f64_e32 v[0:1], v[48:49], v[36:37]
	v_lshl_add_u64 v[36:37], v[16:17], 3, s[8:9]
	v_add_u32_e32 v16, -1, v14
	global_load_dwordx2 v[40:41], v[32:33], off
	global_load_dwordx2 v[48:49], v[34:35], off
	v_fmac_f64_e32 v[8:9], v[44:45], v[38:39]
	v_fmac_f64_e32 v[0:1], v[46:47], v[38:39]
	v_lshl_add_u64 v[38:39], v[16:17], 3, s[8:9]
	global_load_dwordx2 v[44:45], v[36:37], off
	global_load_dwordx2 v[46:47], v[38:39], off
	global_load_dwordx4 v[32:35], v[54:55], off offset:16
	v_add_u32_e32 v16, -8, v14
	v_add_u32_e32 v14, 0x600, v14
	s_waitcnt vmcnt(0)
	v_fmac_f64_e32 v[10:11], v[28:29], v[32:33]
	v_fmac_f64_e32 v[10:11], v[30:31], v[34:35]
	global_load_dwordx4 v[28:31], v[54:55], off offset:32
	v_fmac_f64_e32 v[8:9], v[52:53], v[32:33]
	v_lshl_add_u64 v[52:53], v[16:17], 3, s[8:9]
	v_fmac_f64_e32 v[0:1], v[42:43], v[32:33]
	global_load_dwordx4 v[36:39], v[54:55], off offset:48
	global_load_dwordx2 v[32:33], v[52:53], off
	v_fmac_f64_e32 v[8:9], v[56:57], v[34:35]
	v_fmac_f64_e32 v[0:1], v[58:59], v[34:35]
	s_waitcnt vmcnt(2)
	v_fmac_f64_e32 v[10:11], v[24:25], v[28:29]
	v_fmac_f64_e32 v[8:9], v[60:61], v[28:29]
	;; [unrolled: 1-line block ×6, first 2 shown]
	s_waitcnt vmcnt(1)
	v_fmac_f64_e32 v[10:11], v[18:19], v[36:37]
	v_fmac_f64_e32 v[8:9], v[44:45], v[36:37]
	;; [unrolled: 1-line block ×4, first 2 shown]
	s_waitcnt vmcnt(0)
	v_fmac_f64_e32 v[8:9], v[32:33], v[38:39]
	v_fmac_f64_e32 v[0:1], v[50:51], v[38:39]
	s_andn2_b64 exec, exec, s[2:3]
	s_cbranch_execnz .LBB71_15
; %bb.16:
	s_or_b64 exec, exec, s[2:3]
.LBB71_17:
	s_or_b64 exec, exec, s[4:5]
.LBB71_18:
	v_mov_b32_dpp v12, v10 row_shr:1 row_mask:0xf bank_mask:0xf
	v_mov_b32_dpp v13, v11 row_shr:1 row_mask:0xf bank_mask:0xf
	v_mov_b32_dpp v14, v8 row_shr:1 row_mask:0xf bank_mask:0xf
	v_mov_b32_dpp v15, v9 row_shr:1 row_mask:0xf bank_mask:0xf
	v_mov_b32_dpp v16, v0 row_shr:1 row_mask:0xf bank_mask:0xf
	v_mov_b32_dpp v17, v1 row_shr:1 row_mask:0xf bank_mask:0xf
	v_add_f64 v[10:11], v[10:11], v[12:13]
	v_add_f64 v[8:9], v[8:9], v[14:15]
	v_add_f64 v[0:1], v[0:1], v[16:17]
	v_mov_b32_dpp v12, v10 row_shr:2 row_mask:0xf bank_mask:0xf
	v_mov_b32_dpp v13, v11 row_shr:2 row_mask:0xf bank_mask:0xf
	v_mov_b32_dpp v14, v8 row_shr:2 row_mask:0xf bank_mask:0xf
	v_mov_b32_dpp v15, v9 row_shr:2 row_mask:0xf bank_mask:0xf
	v_mov_b32_dpp v16, v0 row_shr:2 row_mask:0xf bank_mask:0xf
	v_mov_b32_dpp v17, v1 row_shr:2 row_mask:0xf bank_mask:0xf
	v_add_f64 v[10:11], v[10:11], v[12:13]
	v_add_f64 v[8:9], v[8:9], v[14:15]
	v_add_f64 v[0:1], v[0:1], v[16:17]
	;; [unrolled: 9-line block ×4, first 2 shown]
	v_mov_b32_dpp v12, v10 row_bcast:15 row_mask:0xa bank_mask:0xf
	v_mov_b32_dpp v13, v11 row_bcast:15 row_mask:0xa bank_mask:0xf
	v_mov_b32_dpp v14, v8 row_bcast:15 row_mask:0xa bank_mask:0xf
	v_mov_b32_dpp v15, v9 row_bcast:15 row_mask:0xa bank_mask:0xf
	v_mov_b32_dpp v16, v0 row_bcast:15 row_mask:0xa bank_mask:0xf
	v_mov_b32_dpp v17, v1 row_bcast:15 row_mask:0xa bank_mask:0xf
	v_add_f64 v[10:11], v[10:11], v[12:13]
	v_add_f64 v[8:9], v[8:9], v[14:15]
	;; [unrolled: 1-line block ×3, first 2 shown]
	v_mov_b32_dpp v12, v10 row_bcast:31 row_mask:0xc bank_mask:0xf
	v_mov_b32_dpp v13, v11 row_bcast:31 row_mask:0xc bank_mask:0xf
	;; [unrolled: 1-line block ×6, first 2 shown]
	v_cmp_eq_u32_e32 vcc, 63, v7
	s_and_b64 exec, exec, vcc
	s_cbranch_execz .LBB71_23
; %bb.19:
	s_load_dwordx2 s[0:1], s[0:1], 0x38
	v_add_f64 v[10:11], v[10:11], v[12:13]
	v_add_f64 v[8:9], v[8:9], v[14:15]
	;; [unrolled: 1-line block ×3, first 2 shown]
	v_cmp_eq_f64_e32 vcc, 0, v[4:5]
	s_and_saveexec_b64 s[2:3], vcc
	s_xor_b64 s[2:3], exec, s[2:3]
	s_cbranch_execz .LBB71_21
; %bb.20:
	v_lshl_add_u32 v6, v6, 1, v6
	v_ashrrev_i32_e32 v7, 31, v6
	v_mul_f64 v[4:5], v[2:3], v[10:11]
	s_waitcnt lgkmcnt(0)
	v_lshl_add_u64 v[10:11], v[6:7], 3, s[0:1]
	v_mul_f64 v[6:7], v[2:3], v[8:9]
	v_mul_f64 v[0:1], v[2:3], v[0:1]
	global_store_dwordx4 v[10:11], v[4:7], off
	global_store_dwordx2 v[10:11], v[0:1], off offset:16
                                        ; implicit-def: $vgpr6
                                        ; implicit-def: $vgpr2_vgpr3
                                        ; implicit-def: $vgpr10_vgpr11
                                        ; implicit-def: $vgpr4_vgpr5
                                        ; implicit-def: $vgpr8_vgpr9
                                        ; implicit-def: $vgpr0_vgpr1
.LBB71_21:
	s_andn2_saveexec_b64 s[2:3], s[2:3]
	s_cbranch_execz .LBB71_23
; %bb.22:
	v_lshl_add_u32 v6, v6, 1, v6
	v_ashrrev_i32_e32 v7, 31, v6
	s_waitcnt lgkmcnt(0)
	v_lshl_add_u64 v[16:17], v[6:7], 3, s[0:1]
	global_load_dwordx4 v[12:15], v[16:17], off
	global_load_dwordx2 v[18:19], v[16:17], off offset:16
	v_mul_f64 v[6:7], v[2:3], v[10:11]
	v_mul_f64 v[8:9], v[2:3], v[8:9]
	v_mul_f64 v[0:1], v[2:3], v[0:1]
	s_waitcnt vmcnt(1)
	v_fmac_f64_e32 v[6:7], v[4:5], v[12:13]
	v_fmac_f64_e32 v[8:9], v[4:5], v[14:15]
	s_waitcnt vmcnt(0)
	v_fmac_f64_e32 v[0:1], v[4:5], v[18:19]
	global_store_dwordx4 v[16:17], v[6:9], off
	global_store_dwordx2 v[16:17], v[0:1], off offset:16
.LBB71_23:
	s_endpgm
	.section	.rodata,"a",@progbits
	.p2align	6, 0x0
	.amdhsa_kernel _ZN9rocsparseL19gebsrmvn_3xn_kernelILj128ELj8ELj64EdEEvi20rocsparse_direction_NS_24const_host_device_scalarIT2_EEPKiS6_PKS3_S8_S4_PS3_21rocsparse_index_base_b
		.amdhsa_group_segment_fixed_size 0
		.amdhsa_private_segment_fixed_size 0
		.amdhsa_kernarg_size 72
		.amdhsa_user_sgpr_count 2
		.amdhsa_user_sgpr_dispatch_ptr 0
		.amdhsa_user_sgpr_queue_ptr 0
		.amdhsa_user_sgpr_kernarg_segment_ptr 1
		.amdhsa_user_sgpr_dispatch_id 0
		.amdhsa_user_sgpr_kernarg_preload_length 0
		.amdhsa_user_sgpr_kernarg_preload_offset 0
		.amdhsa_user_sgpr_private_segment_size 0
		.amdhsa_uses_dynamic_stack 0
		.amdhsa_enable_private_segment 0
		.amdhsa_system_sgpr_workgroup_id_x 1
		.amdhsa_system_sgpr_workgroup_id_y 0
		.amdhsa_system_sgpr_workgroup_id_z 0
		.amdhsa_system_sgpr_workgroup_info 0
		.amdhsa_system_vgpr_workitem_id 0
		.amdhsa_next_free_vgpr 68
		.amdhsa_next_free_sgpr 18
		.amdhsa_accum_offset 68
		.amdhsa_reserve_vcc 1
		.amdhsa_float_round_mode_32 0
		.amdhsa_float_round_mode_16_64 0
		.amdhsa_float_denorm_mode_32 3
		.amdhsa_float_denorm_mode_16_64 3
		.amdhsa_dx10_clamp 1
		.amdhsa_ieee_mode 1
		.amdhsa_fp16_overflow 0
		.amdhsa_tg_split 0
		.amdhsa_exception_fp_ieee_invalid_op 0
		.amdhsa_exception_fp_denorm_src 0
		.amdhsa_exception_fp_ieee_div_zero 0
		.amdhsa_exception_fp_ieee_overflow 0
		.amdhsa_exception_fp_ieee_underflow 0
		.amdhsa_exception_fp_ieee_inexact 0
		.amdhsa_exception_int_div_zero 0
	.end_amdhsa_kernel
	.section	.text._ZN9rocsparseL19gebsrmvn_3xn_kernelILj128ELj8ELj64EdEEvi20rocsparse_direction_NS_24const_host_device_scalarIT2_EEPKiS6_PKS3_S8_S4_PS3_21rocsparse_index_base_b,"axG",@progbits,_ZN9rocsparseL19gebsrmvn_3xn_kernelILj128ELj8ELj64EdEEvi20rocsparse_direction_NS_24const_host_device_scalarIT2_EEPKiS6_PKS3_S8_S4_PS3_21rocsparse_index_base_b,comdat
.Lfunc_end71:
	.size	_ZN9rocsparseL19gebsrmvn_3xn_kernelILj128ELj8ELj64EdEEvi20rocsparse_direction_NS_24const_host_device_scalarIT2_EEPKiS6_PKS3_S8_S4_PS3_21rocsparse_index_base_b, .Lfunc_end71-_ZN9rocsparseL19gebsrmvn_3xn_kernelILj128ELj8ELj64EdEEvi20rocsparse_direction_NS_24const_host_device_scalarIT2_EEPKiS6_PKS3_S8_S4_PS3_21rocsparse_index_base_b
                                        ; -- End function
	.section	.AMDGPU.csdata,"",@progbits
; Kernel info:
; codeLenInByte = 2176
; NumSgprs: 24
; NumVgprs: 68
; NumAgprs: 0
; TotalNumVgprs: 68
; ScratchSize: 0
; MemoryBound: 1
; FloatMode: 240
; IeeeMode: 1
; LDSByteSize: 0 bytes/workgroup (compile time only)
; SGPRBlocks: 2
; VGPRBlocks: 8
; NumSGPRsForWavesPerEU: 24
; NumVGPRsForWavesPerEU: 68
; AccumOffset: 68
; Occupancy: 7
; WaveLimiterHint : 1
; COMPUTE_PGM_RSRC2:SCRATCH_EN: 0
; COMPUTE_PGM_RSRC2:USER_SGPR: 2
; COMPUTE_PGM_RSRC2:TRAP_HANDLER: 0
; COMPUTE_PGM_RSRC2:TGID_X_EN: 1
; COMPUTE_PGM_RSRC2:TGID_Y_EN: 0
; COMPUTE_PGM_RSRC2:TGID_Z_EN: 0
; COMPUTE_PGM_RSRC2:TIDIG_COMP_CNT: 0
; COMPUTE_PGM_RSRC3_GFX90A:ACCUM_OFFSET: 16
; COMPUTE_PGM_RSRC3_GFX90A:TG_SPLIT: 0
	.section	.text._ZN9rocsparseL23gebsrmvn_general_kernelILj48ELj16EdEEvi20rocsparse_direction_NS_24const_host_device_scalarIT1_EEPKiS6_PKS3_iiS8_S4_PS3_21rocsparse_index_base_b,"axG",@progbits,_ZN9rocsparseL23gebsrmvn_general_kernelILj48ELj16EdEEvi20rocsparse_direction_NS_24const_host_device_scalarIT1_EEPKiS6_PKS3_iiS8_S4_PS3_21rocsparse_index_base_b,comdat
	.globl	_ZN9rocsparseL23gebsrmvn_general_kernelILj48ELj16EdEEvi20rocsparse_direction_NS_24const_host_device_scalarIT1_EEPKiS6_PKS3_iiS8_S4_PS3_21rocsparse_index_base_b ; -- Begin function _ZN9rocsparseL23gebsrmvn_general_kernelILj48ELj16EdEEvi20rocsparse_direction_NS_24const_host_device_scalarIT1_EEPKiS6_PKS3_iiS8_S4_PS3_21rocsparse_index_base_b
	.p2align	8
	.type	_ZN9rocsparseL23gebsrmvn_general_kernelILj48ELj16EdEEvi20rocsparse_direction_NS_24const_host_device_scalarIT1_EEPKiS6_PKS3_iiS8_S4_PS3_21rocsparse_index_base_b,@function
_ZN9rocsparseL23gebsrmvn_general_kernelILj48ELj16EdEEvi20rocsparse_direction_NS_24const_host_device_scalarIT1_EEPKiS6_PKS3_iiS8_S4_PS3_21rocsparse_index_base_b: ; @_ZN9rocsparseL23gebsrmvn_general_kernelILj48ELj16EdEEvi20rocsparse_direction_NS_24const_host_device_scalarIT1_EEPKiS6_PKS3_iiS8_S4_PS3_21rocsparse_index_base_b
; %bb.0:
	s_load_dwordx2 s[12:13], s[0:1], 0x48
	s_load_dwordx2 s[8:9], s[0:1], 0x8
	;; [unrolled: 1-line block ×3, first 2 shown]
	s_waitcnt lgkmcnt(0)
	s_bitcmp1_b32 s13, 0
	s_cselect_b64 s[10:11], -1, 0
	s_xor_b64 s[6:7], s[10:11], -1
	s_and_b64 vcc, exec, s[10:11]
	v_mov_b64_e32 v[2:3], s[8:9]
	s_cbranch_vccnz .LBB72_2
; %bb.1:
	v_mov_b64_e32 v[2:3], s[8:9]
	flat_load_dwordx2 v[2:3], v[2:3]
.LBB72_2:
	s_andn2_b64 vcc, exec, s[6:7]
	v_mov_b64_e32 v[4:5], s[4:5]
	s_cbranch_vccnz .LBB72_4
; %bb.3:
	v_mov_b64_e32 v[4:5], s[4:5]
	flat_load_dwordx2 v[4:5], v[4:5]
.LBB72_4:
	s_waitcnt vmcnt(0) lgkmcnt(0)
	v_cmp_neq_f64_e32 vcc, 0, v[2:3]
	v_cmp_neq_f64_e64 s[4:5], 1.0, v[4:5]
	s_or_b64 s[4:5], vcc, s[4:5]
	s_and_saveexec_b64 s[6:7], s[4:5]
	s_cbranch_execz .LBB72_24
; %bb.5:
	s_load_dwordx2 s[14:15], s[0:1], 0x28
	v_lshrrev_b32_e32 v6, 4, v0
	s_waitcnt lgkmcnt(0)
	v_cmp_gt_i32_e32 vcc, s14, v6
	s_and_b64 exec, exec, vcc
	s_cbranch_execz .LBB72_24
; %bb.6:
	s_load_dwordx4 s[8:11], s[0:1], 0x10
	s_load_dword s22, s[0:1], 0x4
	s_ashr_i32 s3, s2, 31
	s_lshl_b64 s[4:5], s[2:3], 2
	s_mul_i32 s34, s2, s14
	s_waitcnt lgkmcnt(0)
	s_add_u32 s4, s8, s4
	s_addc_u32 s5, s9, s5
	s_load_dwordx2 s[6:7], s[4:5], 0x0
	s_load_dwordx2 s[16:17], s[0:1], 0x20
	;; [unrolled: 1-line block ×4, first 2 shown]
	v_and_b32_e32 v7, 15, v0
	s_waitcnt lgkmcnt(0)
	s_sub_i32 s13, s6, s12
	s_sub_i32 s33, s7, s12
	s_cmp_lt_i32 s6, s7
	s_mul_i32 s2, s14, s13
	s_cselect_b64 s[6:7], -1, 0
	v_add_u32_e32 v0, s2, v6
	s_cmp_lg_u32 s22, 0
	v_mul_lo_u32 v10, s15, v0
	v_cndmask_b32_e64 v0, 0, 1, s[6:7]
	v_cmp_gt_i32_e64 s[0:1], s15, v7
	s_cselect_b64 s[22:23], -1, 0
	v_cmp_eq_u32_e64 s[8:9], 15, v7
	s_mov_b64 s[24:25], 0
	v_cmp_eq_f64_e64 s[4:5], 0, v[4:5]
	s_mul_i32 s35, s15, 3
	s_mul_i32 s36, s15, s14
	v_cmp_ne_u32_e64 s[6:7], 1, v0
	s_branch .LBB72_8
.LBB72_7:                               ;   in Loop: Header=BB72_8 Depth=1
	s_or_b64 exec, exec, s[2:3]
	v_add_u32_e32 v6, 3, v6
	v_cmp_le_i32_e32 vcc, s14, v6
	s_or_b64 s[24:25], vcc, s[24:25]
	v_add_u32_e32 v10, s35, v10
	s_andn2_b64 exec, exec, s[24:25]
	s_cbranch_execz .LBB72_24
.LBB72_8:                               ; =>This Loop Header: Depth=1
                                        ;     Child Loop BB72_12 Depth 2
                                        ;       Child Loop BB72_15 Depth 3
	s_and_b64 vcc, exec, s[6:7]
	v_mov_b64_e32 v[0:1], 0
	s_cbranch_vccnz .LBB72_19
; %bb.9:                                ;   in Loop: Header=BB72_8 Depth=1
	v_mov_b64_e32 v[0:1], 0
	v_mov_b32_e32 v11, v10
	s_mov_b32 s2, s13
	s_branch .LBB72_12
.LBB72_10:                              ;   in Loop: Header=BB72_12 Depth=2
	s_or_b64 exec, exec, s[28:29]
.LBB72_11:                              ;   in Loop: Header=BB72_12 Depth=2
	s_or_b64 exec, exec, s[26:27]
	s_add_i32 s2, s2, 1
	s_cmp_ge_i32 s2, s33
	v_add_u32_e32 v11, s36, v11
	s_cbranch_scc1 .LBB72_19
.LBB72_12:                              ;   Parent Loop BB72_8 Depth=1
                                        ; =>  This Loop Header: Depth=2
                                        ;       Child Loop BB72_15 Depth 3
	s_and_saveexec_b64 s[26:27], s[0:1]
	s_cbranch_execz .LBB72_11
; %bb.13:                               ;   in Loop: Header=BB72_12 Depth=2
	s_ashr_i32 s3, s2, 31
	s_lshl_b64 s[28:29], s[2:3], 2
	s_add_u32 s28, s10, s28
	s_addc_u32 s29, s11, s29
	s_load_dword s30, s[28:29], 0x0
	s_mul_i32 s3, s2, s15
	s_mov_b64 s[28:29], 0
	v_mov_b32_e32 v12, v7
	s_waitcnt lgkmcnt(0)
	s_sub_i32 s37, s30, s12
	s_mul_i32 s37, s37, s15
	s_branch .LBB72_15
.LBB72_14:                              ;   in Loop: Header=BB72_15 Depth=3
	v_add_u32_e32 v14, s37, v12
	v_ashrrev_i32_e32 v9, 31, v8
	v_ashrrev_i32_e32 v15, 31, v14
	v_lshl_add_u64 v[8:9], v[8:9], 3, s[16:17]
	v_lshl_add_u64 v[14:15], v[14:15], 3, s[18:19]
	global_load_dwordx2 v[8:9], v[8:9], off
	v_add_u32_e32 v12, 16, v12
	global_load_dwordx2 v[14:15], v[14:15], off
	v_cmp_le_i32_e32 vcc, s15, v12
	s_or_b64 s[28:29], vcc, s[28:29]
	s_waitcnt vmcnt(0)
	v_fmac_f64_e32 v[0:1], v[8:9], v[14:15]
	s_andn2_b64 exec, exec, s[28:29]
	s_cbranch_execz .LBB72_10
.LBB72_15:                              ;   Parent Loop BB72_8 Depth=1
                                        ;     Parent Loop BB72_12 Depth=2
                                        ; =>    This Inner Loop Header: Depth=3
	s_and_b64 vcc, exec, s[22:23]
	s_cbranch_vccz .LBB72_17
; %bb.16:                               ;   in Loop: Header=BB72_15 Depth=3
	v_add_u32_e32 v8, s3, v12
	v_mad_u64_u32 v[8:9], s[30:31], v8, s14, v[6:7]
	s_cbranch_execnz .LBB72_14
	s_branch .LBB72_18
.LBB72_17:                              ;   in Loop: Header=BB72_15 Depth=3
                                        ; implicit-def: $vgpr8
.LBB72_18:                              ;   in Loop: Header=BB72_15 Depth=3
	v_add_u32_e32 v8, v11, v12
	s_branch .LBB72_14
.LBB72_19:                              ;   in Loop: Header=BB72_8 Depth=1
	s_nop 0
	v_mov_b32_dpp v8, v0 row_shr:1 row_mask:0xf bank_mask:0xf
	v_mov_b32_dpp v9, v1 row_shr:1 row_mask:0xf bank_mask:0xf
	v_add_f64 v[0:1], v[0:1], v[8:9]
	s_nop 1
	v_mov_b32_dpp v8, v0 row_shr:2 row_mask:0xf bank_mask:0xf
	v_mov_b32_dpp v9, v1 row_shr:2 row_mask:0xf bank_mask:0xf
	v_add_f64 v[0:1], v[0:1], v[8:9]
	;; [unrolled: 4-line block ×3, first 2 shown]
	s_nop 1
	v_mov_b32_dpp v8, v0 row_shr:8 row_mask:0xf bank_mask:0xc
	v_mov_b32_dpp v9, v1 row_shr:8 row_mask:0xf bank_mask:0xc
	s_and_saveexec_b64 s[2:3], s[8:9]
	s_cbranch_execz .LBB72_7
; %bb.20:                               ;   in Loop: Header=BB72_8 Depth=1
	v_add_f64 v[0:1], v[0:1], v[8:9]
	v_add_u32_e32 v8, s34, v6
	v_mul_f64 v[0:1], v[2:3], v[0:1]
	v_ashrrev_i32_e32 v9, 31, v8
	s_and_saveexec_b64 s[26:27], s[4:5]
	s_xor_b64 s[26:27], exec, s[26:27]
	s_cbranch_execz .LBB72_22
; %bb.21:                               ;   in Loop: Header=BB72_8 Depth=1
	v_lshl_add_u64 v[8:9], v[8:9], 3, s[20:21]
	global_store_dwordx2 v[8:9], v[0:1], off
                                        ; implicit-def: $vgpr8
                                        ; implicit-def: $vgpr0_vgpr1
.LBB72_22:                              ;   in Loop: Header=BB72_8 Depth=1
	s_andn2_saveexec_b64 s[26:27], s[26:27]
	s_cbranch_execz .LBB72_7
; %bb.23:                               ;   in Loop: Header=BB72_8 Depth=1
	v_lshl_add_u64 v[8:9], v[8:9], 3, s[20:21]
	global_load_dwordx2 v[12:13], v[8:9], off
	s_waitcnt vmcnt(0)
	v_fmac_f64_e32 v[0:1], v[4:5], v[12:13]
	global_store_dwordx2 v[8:9], v[0:1], off
	s_branch .LBB72_7
.LBB72_24:
	s_endpgm
	.section	.rodata,"a",@progbits
	.p2align	6, 0x0
	.amdhsa_kernel _ZN9rocsparseL23gebsrmvn_general_kernelILj48ELj16EdEEvi20rocsparse_direction_NS_24const_host_device_scalarIT1_EEPKiS6_PKS3_iiS8_S4_PS3_21rocsparse_index_base_b
		.amdhsa_group_segment_fixed_size 0
		.amdhsa_private_segment_fixed_size 0
		.amdhsa_kernarg_size 80
		.amdhsa_user_sgpr_count 2
		.amdhsa_user_sgpr_dispatch_ptr 0
		.amdhsa_user_sgpr_queue_ptr 0
		.amdhsa_user_sgpr_kernarg_segment_ptr 1
		.amdhsa_user_sgpr_dispatch_id 0
		.amdhsa_user_sgpr_kernarg_preload_length 0
		.amdhsa_user_sgpr_kernarg_preload_offset 0
		.amdhsa_user_sgpr_private_segment_size 0
		.amdhsa_uses_dynamic_stack 0
		.amdhsa_enable_private_segment 0
		.amdhsa_system_sgpr_workgroup_id_x 1
		.amdhsa_system_sgpr_workgroup_id_y 0
		.amdhsa_system_sgpr_workgroup_id_z 0
		.amdhsa_system_sgpr_workgroup_info 0
		.amdhsa_system_vgpr_workitem_id 0
		.amdhsa_next_free_vgpr 16
		.amdhsa_next_free_sgpr 38
		.amdhsa_accum_offset 16
		.amdhsa_reserve_vcc 1
		.amdhsa_float_round_mode_32 0
		.amdhsa_float_round_mode_16_64 0
		.amdhsa_float_denorm_mode_32 3
		.amdhsa_float_denorm_mode_16_64 3
		.amdhsa_dx10_clamp 1
		.amdhsa_ieee_mode 1
		.amdhsa_fp16_overflow 0
		.amdhsa_tg_split 0
		.amdhsa_exception_fp_ieee_invalid_op 0
		.amdhsa_exception_fp_denorm_src 0
		.amdhsa_exception_fp_ieee_div_zero 0
		.amdhsa_exception_fp_ieee_overflow 0
		.amdhsa_exception_fp_ieee_underflow 0
		.amdhsa_exception_fp_ieee_inexact 0
		.amdhsa_exception_int_div_zero 0
	.end_amdhsa_kernel
	.section	.text._ZN9rocsparseL23gebsrmvn_general_kernelILj48ELj16EdEEvi20rocsparse_direction_NS_24const_host_device_scalarIT1_EEPKiS6_PKS3_iiS8_S4_PS3_21rocsparse_index_base_b,"axG",@progbits,_ZN9rocsparseL23gebsrmvn_general_kernelILj48ELj16EdEEvi20rocsparse_direction_NS_24const_host_device_scalarIT1_EEPKiS6_PKS3_iiS8_S4_PS3_21rocsparse_index_base_b,comdat
.Lfunc_end72:
	.size	_ZN9rocsparseL23gebsrmvn_general_kernelILj48ELj16EdEEvi20rocsparse_direction_NS_24const_host_device_scalarIT1_EEPKiS6_PKS3_iiS8_S4_PS3_21rocsparse_index_base_b, .Lfunc_end72-_ZN9rocsparseL23gebsrmvn_general_kernelILj48ELj16EdEEvi20rocsparse_direction_NS_24const_host_device_scalarIT1_EEPKiS6_PKS3_iiS8_S4_PS3_21rocsparse_index_base_b
                                        ; -- End function
	.section	.AMDGPU.csdata,"",@progbits
; Kernel info:
; codeLenInByte = 780
; NumSgprs: 44
; NumVgprs: 16
; NumAgprs: 0
; TotalNumVgprs: 16
; ScratchSize: 0
; MemoryBound: 0
; FloatMode: 240
; IeeeMode: 1
; LDSByteSize: 0 bytes/workgroup (compile time only)
; SGPRBlocks: 5
; VGPRBlocks: 1
; NumSGPRsForWavesPerEU: 44
; NumVGPRsForWavesPerEU: 16
; AccumOffset: 16
; Occupancy: 8
; WaveLimiterHint : 1
; COMPUTE_PGM_RSRC2:SCRATCH_EN: 0
; COMPUTE_PGM_RSRC2:USER_SGPR: 2
; COMPUTE_PGM_RSRC2:TRAP_HANDLER: 0
; COMPUTE_PGM_RSRC2:TGID_X_EN: 1
; COMPUTE_PGM_RSRC2:TGID_Y_EN: 0
; COMPUTE_PGM_RSRC2:TGID_Z_EN: 0
; COMPUTE_PGM_RSRC2:TIDIG_COMP_CNT: 0
; COMPUTE_PGM_RSRC3_GFX90A:ACCUM_OFFSET: 3
; COMPUTE_PGM_RSRC3_GFX90A:TG_SPLIT: 0
	.section	.text._ZN9rocsparseL23gebsrmvn_general_kernelILj96ELj32EdEEvi20rocsparse_direction_NS_24const_host_device_scalarIT1_EEPKiS6_PKS3_iiS8_S4_PS3_21rocsparse_index_base_b,"axG",@progbits,_ZN9rocsparseL23gebsrmvn_general_kernelILj96ELj32EdEEvi20rocsparse_direction_NS_24const_host_device_scalarIT1_EEPKiS6_PKS3_iiS8_S4_PS3_21rocsparse_index_base_b,comdat
	.globl	_ZN9rocsparseL23gebsrmvn_general_kernelILj96ELj32EdEEvi20rocsparse_direction_NS_24const_host_device_scalarIT1_EEPKiS6_PKS3_iiS8_S4_PS3_21rocsparse_index_base_b ; -- Begin function _ZN9rocsparseL23gebsrmvn_general_kernelILj96ELj32EdEEvi20rocsparse_direction_NS_24const_host_device_scalarIT1_EEPKiS6_PKS3_iiS8_S4_PS3_21rocsparse_index_base_b
	.p2align	8
	.type	_ZN9rocsparseL23gebsrmvn_general_kernelILj96ELj32EdEEvi20rocsparse_direction_NS_24const_host_device_scalarIT1_EEPKiS6_PKS3_iiS8_S4_PS3_21rocsparse_index_base_b,@function
_ZN9rocsparseL23gebsrmvn_general_kernelILj96ELj32EdEEvi20rocsparse_direction_NS_24const_host_device_scalarIT1_EEPKiS6_PKS3_iiS8_S4_PS3_21rocsparse_index_base_b: ; @_ZN9rocsparseL23gebsrmvn_general_kernelILj96ELj32EdEEvi20rocsparse_direction_NS_24const_host_device_scalarIT1_EEPKiS6_PKS3_iiS8_S4_PS3_21rocsparse_index_base_b
; %bb.0:
	s_load_dwordx2 s[12:13], s[0:1], 0x48
	s_load_dwordx2 s[8:9], s[0:1], 0x8
	;; [unrolled: 1-line block ×3, first 2 shown]
	s_waitcnt lgkmcnt(0)
	s_bitcmp1_b32 s13, 0
	s_cselect_b64 s[10:11], -1, 0
	s_xor_b64 s[6:7], s[10:11], -1
	s_and_b64 vcc, exec, s[10:11]
	v_mov_b64_e32 v[2:3], s[8:9]
	s_cbranch_vccnz .LBB73_2
; %bb.1:
	v_mov_b64_e32 v[2:3], s[8:9]
	flat_load_dwordx2 v[2:3], v[2:3]
.LBB73_2:
	s_andn2_b64 vcc, exec, s[6:7]
	v_mov_b64_e32 v[4:5], s[4:5]
	s_cbranch_vccnz .LBB73_4
; %bb.3:
	v_mov_b64_e32 v[4:5], s[4:5]
	flat_load_dwordx2 v[4:5], v[4:5]
.LBB73_4:
	s_waitcnt vmcnt(0) lgkmcnt(0)
	v_cmp_neq_f64_e32 vcc, 0, v[2:3]
	v_cmp_neq_f64_e64 s[4:5], 1.0, v[4:5]
	s_or_b64 s[4:5], vcc, s[4:5]
	s_and_saveexec_b64 s[6:7], s[4:5]
	s_cbranch_execz .LBB73_24
; %bb.5:
	s_load_dwordx2 s[14:15], s[0:1], 0x28
	v_lshrrev_b32_e32 v6, 5, v0
	s_waitcnt lgkmcnt(0)
	v_cmp_gt_i32_e32 vcc, s14, v6
	s_and_b64 exec, exec, vcc
	s_cbranch_execz .LBB73_24
; %bb.6:
	s_load_dwordx4 s[8:11], s[0:1], 0x10
	s_load_dword s22, s[0:1], 0x4
	s_ashr_i32 s3, s2, 31
	s_lshl_b64 s[4:5], s[2:3], 2
	s_mul_i32 s34, s2, s14
	s_waitcnt lgkmcnt(0)
	s_add_u32 s4, s8, s4
	s_addc_u32 s5, s9, s5
	s_load_dwordx2 s[6:7], s[4:5], 0x0
	s_load_dwordx2 s[16:17], s[0:1], 0x20
	;; [unrolled: 1-line block ×4, first 2 shown]
	v_and_b32_e32 v7, 31, v0
	s_waitcnt lgkmcnt(0)
	s_sub_i32 s13, s6, s12
	s_sub_i32 s33, s7, s12
	s_cmp_lt_i32 s6, s7
	s_mul_i32 s2, s14, s13
	s_cselect_b64 s[6:7], -1, 0
	v_add_u32_e32 v0, s2, v6
	s_cmp_lg_u32 s22, 0
	v_mul_lo_u32 v10, s15, v0
	v_cndmask_b32_e64 v0, 0, 1, s[6:7]
	v_cmp_gt_i32_e64 s[0:1], s15, v7
	s_cselect_b64 s[22:23], -1, 0
	v_cmp_eq_u32_e64 s[8:9], 31, v7
	s_mov_b64 s[24:25], 0
	v_cmp_eq_f64_e64 s[4:5], 0, v[4:5]
	s_mul_i32 s35, s15, 3
	s_mul_i32 s36, s15, s14
	v_cmp_ne_u32_e64 s[6:7], 1, v0
	s_branch .LBB73_8
.LBB73_7:                               ;   in Loop: Header=BB73_8 Depth=1
	s_or_b64 exec, exec, s[2:3]
	v_add_u32_e32 v6, 3, v6
	v_cmp_le_i32_e32 vcc, s14, v6
	s_or_b64 s[24:25], vcc, s[24:25]
	v_add_u32_e32 v10, s35, v10
	s_andn2_b64 exec, exec, s[24:25]
	s_cbranch_execz .LBB73_24
.LBB73_8:                               ; =>This Loop Header: Depth=1
                                        ;     Child Loop BB73_12 Depth 2
                                        ;       Child Loop BB73_15 Depth 3
	s_and_b64 vcc, exec, s[6:7]
	v_mov_b64_e32 v[0:1], 0
	s_cbranch_vccnz .LBB73_19
; %bb.9:                                ;   in Loop: Header=BB73_8 Depth=1
	v_mov_b64_e32 v[0:1], 0
	v_mov_b32_e32 v11, v10
	s_mov_b32 s2, s13
	s_branch .LBB73_12
.LBB73_10:                              ;   in Loop: Header=BB73_12 Depth=2
	s_or_b64 exec, exec, s[28:29]
.LBB73_11:                              ;   in Loop: Header=BB73_12 Depth=2
	s_or_b64 exec, exec, s[26:27]
	s_add_i32 s2, s2, 1
	s_cmp_ge_i32 s2, s33
	v_add_u32_e32 v11, s36, v11
	s_cbranch_scc1 .LBB73_19
.LBB73_12:                              ;   Parent Loop BB73_8 Depth=1
                                        ; =>  This Loop Header: Depth=2
                                        ;       Child Loop BB73_15 Depth 3
	s_and_saveexec_b64 s[26:27], s[0:1]
	s_cbranch_execz .LBB73_11
; %bb.13:                               ;   in Loop: Header=BB73_12 Depth=2
	s_ashr_i32 s3, s2, 31
	s_lshl_b64 s[28:29], s[2:3], 2
	s_add_u32 s28, s10, s28
	s_addc_u32 s29, s11, s29
	s_load_dword s30, s[28:29], 0x0
	s_mul_i32 s3, s2, s15
	s_mov_b64 s[28:29], 0
	v_mov_b32_e32 v12, v7
	s_waitcnt lgkmcnt(0)
	s_sub_i32 s37, s30, s12
	s_mul_i32 s37, s37, s15
	s_branch .LBB73_15
.LBB73_14:                              ;   in Loop: Header=BB73_15 Depth=3
	v_add_u32_e32 v14, s37, v12
	v_ashrrev_i32_e32 v9, 31, v8
	v_ashrrev_i32_e32 v15, 31, v14
	v_lshl_add_u64 v[8:9], v[8:9], 3, s[16:17]
	v_lshl_add_u64 v[14:15], v[14:15], 3, s[18:19]
	global_load_dwordx2 v[8:9], v[8:9], off
	v_add_u32_e32 v12, 32, v12
	global_load_dwordx2 v[14:15], v[14:15], off
	v_cmp_le_i32_e32 vcc, s15, v12
	s_or_b64 s[28:29], vcc, s[28:29]
	s_waitcnt vmcnt(0)
	v_fmac_f64_e32 v[0:1], v[8:9], v[14:15]
	s_andn2_b64 exec, exec, s[28:29]
	s_cbranch_execz .LBB73_10
.LBB73_15:                              ;   Parent Loop BB73_8 Depth=1
                                        ;     Parent Loop BB73_12 Depth=2
                                        ; =>    This Inner Loop Header: Depth=3
	s_and_b64 vcc, exec, s[22:23]
	s_cbranch_vccz .LBB73_17
; %bb.16:                               ;   in Loop: Header=BB73_15 Depth=3
	v_add_u32_e32 v8, s3, v12
	v_mad_u64_u32 v[8:9], s[30:31], v8, s14, v[6:7]
	s_cbranch_execnz .LBB73_14
	s_branch .LBB73_18
.LBB73_17:                              ;   in Loop: Header=BB73_15 Depth=3
                                        ; implicit-def: $vgpr8
.LBB73_18:                              ;   in Loop: Header=BB73_15 Depth=3
	v_add_u32_e32 v8, v11, v12
	s_branch .LBB73_14
.LBB73_19:                              ;   in Loop: Header=BB73_8 Depth=1
	s_nop 0
	v_mov_b32_dpp v8, v0 row_shr:1 row_mask:0xf bank_mask:0xf
	v_mov_b32_dpp v9, v1 row_shr:1 row_mask:0xf bank_mask:0xf
	v_add_f64 v[0:1], v[0:1], v[8:9]
	s_nop 1
	v_mov_b32_dpp v8, v0 row_shr:2 row_mask:0xf bank_mask:0xf
	v_mov_b32_dpp v9, v1 row_shr:2 row_mask:0xf bank_mask:0xf
	v_add_f64 v[0:1], v[0:1], v[8:9]
	;; [unrolled: 4-line block ×4, first 2 shown]
	s_nop 1
	v_mov_b32_dpp v8, v0 row_bcast:15 row_mask:0xa bank_mask:0xf
	v_mov_b32_dpp v9, v1 row_bcast:15 row_mask:0xa bank_mask:0xf
	s_and_saveexec_b64 s[2:3], s[8:9]
	s_cbranch_execz .LBB73_7
; %bb.20:                               ;   in Loop: Header=BB73_8 Depth=1
	v_add_f64 v[0:1], v[0:1], v[8:9]
	v_add_u32_e32 v8, s34, v6
	v_mul_f64 v[0:1], v[2:3], v[0:1]
	v_ashrrev_i32_e32 v9, 31, v8
	s_and_saveexec_b64 s[26:27], s[4:5]
	s_xor_b64 s[26:27], exec, s[26:27]
	s_cbranch_execz .LBB73_22
; %bb.21:                               ;   in Loop: Header=BB73_8 Depth=1
	v_lshl_add_u64 v[8:9], v[8:9], 3, s[20:21]
	global_store_dwordx2 v[8:9], v[0:1], off
                                        ; implicit-def: $vgpr8
                                        ; implicit-def: $vgpr0_vgpr1
.LBB73_22:                              ;   in Loop: Header=BB73_8 Depth=1
	s_andn2_saveexec_b64 s[26:27], s[26:27]
	s_cbranch_execz .LBB73_7
; %bb.23:                               ;   in Loop: Header=BB73_8 Depth=1
	v_lshl_add_u64 v[8:9], v[8:9], 3, s[20:21]
	global_load_dwordx2 v[12:13], v[8:9], off
	s_waitcnt vmcnt(0)
	v_fmac_f64_e32 v[0:1], v[4:5], v[12:13]
	global_store_dwordx2 v[8:9], v[0:1], off
	s_branch .LBB73_7
.LBB73_24:
	s_endpgm
	.section	.rodata,"a",@progbits
	.p2align	6, 0x0
	.amdhsa_kernel _ZN9rocsparseL23gebsrmvn_general_kernelILj96ELj32EdEEvi20rocsparse_direction_NS_24const_host_device_scalarIT1_EEPKiS6_PKS3_iiS8_S4_PS3_21rocsparse_index_base_b
		.amdhsa_group_segment_fixed_size 0
		.amdhsa_private_segment_fixed_size 0
		.amdhsa_kernarg_size 80
		.amdhsa_user_sgpr_count 2
		.amdhsa_user_sgpr_dispatch_ptr 0
		.amdhsa_user_sgpr_queue_ptr 0
		.amdhsa_user_sgpr_kernarg_segment_ptr 1
		.amdhsa_user_sgpr_dispatch_id 0
		.amdhsa_user_sgpr_kernarg_preload_length 0
		.amdhsa_user_sgpr_kernarg_preload_offset 0
		.amdhsa_user_sgpr_private_segment_size 0
		.amdhsa_uses_dynamic_stack 0
		.amdhsa_enable_private_segment 0
		.amdhsa_system_sgpr_workgroup_id_x 1
		.amdhsa_system_sgpr_workgroup_id_y 0
		.amdhsa_system_sgpr_workgroup_id_z 0
		.amdhsa_system_sgpr_workgroup_info 0
		.amdhsa_system_vgpr_workitem_id 0
		.amdhsa_next_free_vgpr 16
		.amdhsa_next_free_sgpr 38
		.amdhsa_accum_offset 16
		.amdhsa_reserve_vcc 1
		.amdhsa_float_round_mode_32 0
		.amdhsa_float_round_mode_16_64 0
		.amdhsa_float_denorm_mode_32 3
		.amdhsa_float_denorm_mode_16_64 3
		.amdhsa_dx10_clamp 1
		.amdhsa_ieee_mode 1
		.amdhsa_fp16_overflow 0
		.amdhsa_tg_split 0
		.amdhsa_exception_fp_ieee_invalid_op 0
		.amdhsa_exception_fp_denorm_src 0
		.amdhsa_exception_fp_ieee_div_zero 0
		.amdhsa_exception_fp_ieee_overflow 0
		.amdhsa_exception_fp_ieee_underflow 0
		.amdhsa_exception_fp_ieee_inexact 0
		.amdhsa_exception_int_div_zero 0
	.end_amdhsa_kernel
	.section	.text._ZN9rocsparseL23gebsrmvn_general_kernelILj96ELj32EdEEvi20rocsparse_direction_NS_24const_host_device_scalarIT1_EEPKiS6_PKS3_iiS8_S4_PS3_21rocsparse_index_base_b,"axG",@progbits,_ZN9rocsparseL23gebsrmvn_general_kernelILj96ELj32EdEEvi20rocsparse_direction_NS_24const_host_device_scalarIT1_EEPKiS6_PKS3_iiS8_S4_PS3_21rocsparse_index_base_b,comdat
.Lfunc_end73:
	.size	_ZN9rocsparseL23gebsrmvn_general_kernelILj96ELj32EdEEvi20rocsparse_direction_NS_24const_host_device_scalarIT1_EEPKiS6_PKS3_iiS8_S4_PS3_21rocsparse_index_base_b, .Lfunc_end73-_ZN9rocsparseL23gebsrmvn_general_kernelILj96ELj32EdEEvi20rocsparse_direction_NS_24const_host_device_scalarIT1_EEPKiS6_PKS3_iiS8_S4_PS3_21rocsparse_index_base_b
                                        ; -- End function
	.section	.AMDGPU.csdata,"",@progbits
; Kernel info:
; codeLenInByte = 808
; NumSgprs: 44
; NumVgprs: 16
; NumAgprs: 0
; TotalNumVgprs: 16
; ScratchSize: 0
; MemoryBound: 0
; FloatMode: 240
; IeeeMode: 1
; LDSByteSize: 0 bytes/workgroup (compile time only)
; SGPRBlocks: 5
; VGPRBlocks: 1
; NumSGPRsForWavesPerEU: 44
; NumVGPRsForWavesPerEU: 16
; AccumOffset: 16
; Occupancy: 8
; WaveLimiterHint : 1
; COMPUTE_PGM_RSRC2:SCRATCH_EN: 0
; COMPUTE_PGM_RSRC2:USER_SGPR: 2
; COMPUTE_PGM_RSRC2:TRAP_HANDLER: 0
; COMPUTE_PGM_RSRC2:TGID_X_EN: 1
; COMPUTE_PGM_RSRC2:TGID_Y_EN: 0
; COMPUTE_PGM_RSRC2:TGID_Z_EN: 0
; COMPUTE_PGM_RSRC2:TIDIG_COMP_CNT: 0
; COMPUTE_PGM_RSRC3_GFX90A:ACCUM_OFFSET: 3
; COMPUTE_PGM_RSRC3_GFX90A:TG_SPLIT: 0
	.section	.text._ZN9rocsparseL19gebsrmvn_3xn_kernelILj128ELj1ELj4E21rocsparse_complex_numIfEEEvi20rocsparse_direction_NS_24const_host_device_scalarIT2_EEPKiS8_PKS5_SA_S6_PS5_21rocsparse_index_base_b,"axG",@progbits,_ZN9rocsparseL19gebsrmvn_3xn_kernelILj128ELj1ELj4E21rocsparse_complex_numIfEEEvi20rocsparse_direction_NS_24const_host_device_scalarIT2_EEPKiS8_PKS5_SA_S6_PS5_21rocsparse_index_base_b,comdat
	.globl	_ZN9rocsparseL19gebsrmvn_3xn_kernelILj128ELj1ELj4E21rocsparse_complex_numIfEEEvi20rocsparse_direction_NS_24const_host_device_scalarIT2_EEPKiS8_PKS5_SA_S6_PS5_21rocsparse_index_base_b ; -- Begin function _ZN9rocsparseL19gebsrmvn_3xn_kernelILj128ELj1ELj4E21rocsparse_complex_numIfEEEvi20rocsparse_direction_NS_24const_host_device_scalarIT2_EEPKiS8_PKS5_SA_S6_PS5_21rocsparse_index_base_b
	.p2align	8
	.type	_ZN9rocsparseL19gebsrmvn_3xn_kernelILj128ELj1ELj4E21rocsparse_complex_numIfEEEvi20rocsparse_direction_NS_24const_host_device_scalarIT2_EEPKiS8_PKS5_SA_S6_PS5_21rocsparse_index_base_b,@function
_ZN9rocsparseL19gebsrmvn_3xn_kernelILj128ELj1ELj4E21rocsparse_complex_numIfEEEvi20rocsparse_direction_NS_24const_host_device_scalarIT2_EEPKiS8_PKS5_SA_S6_PS5_21rocsparse_index_base_b: ; @_ZN9rocsparseL19gebsrmvn_3xn_kernelILj128ELj1ELj4E21rocsparse_complex_numIfEEEvi20rocsparse_direction_NS_24const_host_device_scalarIT2_EEPKiS8_PKS5_SA_S6_PS5_21rocsparse_index_base_b
; %bb.0:
	s_load_dwordx2 s[12:13], s[0:1], 0x40
	s_load_dwordx2 s[8:9], s[0:1], 0x8
	;; [unrolled: 1-line block ×3, first 2 shown]
	s_waitcnt lgkmcnt(0)
	s_bitcmp1_b32 s13, 0
	s_cselect_b64 s[4:5], -1, 0
	s_xor_b64 s[10:11], s[4:5], -1
	s_and_b64 vcc, exec, s[4:5]
	v_mov_b32_e32 v2, s8
	s_cbranch_vccnz .LBB74_2
; %bb.1:
	v_mov_b64_e32 v[2:3], s[8:9]
	flat_load_dword v2, v[2:3]
.LBB74_2:
	v_cndmask_b32_e64 v1, 0, 1, s[10:11]
	v_cmp_ne_u32_e64 s[4:5], 1, v1
	s_andn2_b64 vcc, exec, s[10:11]
	v_mov_b32_e32 v3, s9
	s_cbranch_vccz .LBB74_16
; %bb.3:
	s_and_b64 vcc, exec, s[4:5]
	v_mov_b32_e32 v4, s6
	s_cbranch_vccz .LBB74_17
.LBB74_4:
	s_and_b64 vcc, exec, s[4:5]
	v_mov_b32_e32 v5, s7
	s_cbranch_vccnz .LBB74_6
.LBB74_5:
	v_mov_b64_e32 v[6:7], s[6:7]
	flat_load_dword v5, v[6:7] offset:4
.LBB74_6:
	s_waitcnt vmcnt(0) lgkmcnt(0)
	v_and_b32_e32 v1, 0x7fffffff, v2
	v_cmp_eq_u32_e32 vcc, 0, v1
	v_cmp_eq_f32_e64 s[4:5], 0, v3
	s_and_b64 s[8:9], vcc, s[4:5]
	s_mov_b64 s[4:5], -1
	s_and_saveexec_b64 s[6:7], s[8:9]
; %bb.7:
	v_and_b32_e32 v1, 0x7fffffff, v5
	v_cmp_neq_f32_e32 vcc, 1.0, v4
	v_cmp_ne_u32_e64 s[4:5], 0, v1
	s_or_b64 s[4:5], vcc, s[4:5]
	s_orn2_b64 s[4:5], s[4:5], exec
; %bb.8:
	s_or_b64 exec, exec, s[6:7]
	s_and_saveexec_b64 s[6:7], s[4:5]
	s_cbranch_execz .LBB74_29
; %bb.9:
	s_load_dwordx2 s[14:15], s[0:1], 0x0
	v_lshrrev_b32_e32 v1, 2, v0
	v_lshl_or_b32 v6, s2, 5, v1
	s_waitcnt lgkmcnt(0)
	v_cmp_gt_i32_e32 vcc, s14, v6
	s_and_b64 exec, exec, vcc
	s_cbranch_execz .LBB74_29
; %bb.10:
	s_load_dwordx8 s[4:11], s[0:1], 0x10
	v_ashrrev_i32_e32 v7, 31, v6
	s_cmp_lg_u32 s15, 0
	s_waitcnt lgkmcnt(0)
	v_lshl_add_u64 v[8:9], v[6:7], 2, s[4:5]
	global_load_dwordx2 v[8:9], v[8:9], off
	v_and_b32_e32 v7, 3, v0
	s_waitcnt vmcnt(0)
	v_subrev_u32_e32 v0, s12, v8
	v_subrev_u32_e32 v18, s12, v9
	v_add_u32_e32 v8, v0, v7
	v_cmp_lt_i32_e64 s[2:3], v8, v18
	s_cbranch_scc0 .LBB74_18
; %bb.11:
	v_mov_b32_e32 v13, 0
	v_mov_b32_e32 v12, v13
	;; [unrolled: 1-line block ×6, first 2 shown]
	s_and_saveexec_b64 s[4:5], s[2:3]
	s_cbranch_execz .LBB74_15
; %bb.12:
	v_mov_b32_e32 v15, 0
	v_lshl_add_u32 v14, v8, 1, v8
	s_mov_b64 s[14:15], 0
	v_mov_b32_e32 v16, v8
	v_mov_b32_e32 v10, v15
	;; [unrolled: 1-line block ×7, first 2 shown]
.LBB74_13:                              ; =>This Inner Loop Header: Depth=1
	v_ashrrev_i32_e32 v17, 31, v16
	v_lshl_add_u64 v[20:21], v[16:17], 2, s[6:7]
	global_load_dword v9, v[20:21], off
	v_mov_b32_e32 v23, v15
	v_add_u32_e32 v24, 1, v14
	v_mov_b32_e32 v25, v15
	v_lshl_add_u64 v[20:21], v[14:15], 3, s[8:9]
	v_add_u32_e32 v26, 2, v14
	v_mov_b32_e32 v27, v15
	v_lshl_add_u64 v[24:25], v[24:25], 3, s[8:9]
	global_load_dwordx2 v[20:21], v[20:21], off
	v_lshl_add_u64 v[26:27], v[26:27], 3, s[8:9]
	global_load_dwordx2 v[28:29], v[24:25], off
	global_load_dwordx2 v[30:31], v[26:27], off
	v_add_u32_e32 v16, 4, v16
	v_cmp_ge_i32_e32 vcc, v16, v18
	v_add_u32_e32 v14, 12, v14
	s_or_b64 s[14:15], vcc, s[14:15]
	s_waitcnt vmcnt(3)
	v_subrev_u32_e32 v22, s12, v9
	v_lshl_add_u64 v[22:23], v[22:23], 3, s[10:11]
	global_load_dwordx2 v[22:23], v[22:23], off
	s_waitcnt vmcnt(0)
	v_pk_fma_f32 v[12:13], v[20:21], v[22:23], v[12:13] op_sel_hi:[1,0,1]
	v_pk_fma_f32 v[10:11], v[28:29], v[22:23], v[10:11] op_sel_hi:[1,0,1]
	;; [unrolled: 1-line block ×3, first 2 shown]
	v_pk_fma_f32 v[12:13], v[20:21], v[22:23], v[12:13] op_sel:[1,1,0] op_sel_hi:[0,1,1] neg_lo:[1,0,0]
	v_pk_fma_f32 v[10:11], v[28:29], v[22:23], v[10:11] op_sel:[1,1,0] op_sel_hi:[0,1,1] neg_lo:[1,0,0]
	;; [unrolled: 1-line block ×3, first 2 shown]
	s_andn2_b64 exec, exec, s[14:15]
	s_cbranch_execnz .LBB74_13
; %bb.14:
	s_or_b64 exec, exec, s[14:15]
.LBB74_15:
	s_or_b64 exec, exec, s[4:5]
	s_cbranch_execz .LBB74_19
	s_branch .LBB74_24
.LBB74_16:
	v_mov_b64_e32 v[4:5], s[8:9]
	flat_load_dword v3, v[4:5] offset:4
	s_and_b64 vcc, exec, s[4:5]
	v_mov_b32_e32 v4, s6
	s_cbranch_vccnz .LBB74_4
.LBB74_17:
	v_mov_b64_e32 v[4:5], s[6:7]
	flat_load_dword v4, v[4:5]
	s_and_b64 vcc, exec, s[4:5]
	v_mov_b32_e32 v5, s7
	s_cbranch_vccz .LBB74_5
	s_branch .LBB74_6
.LBB74_18:
                                        ; implicit-def: $vgpr13
                                        ; implicit-def: $vgpr1
                                        ; implicit-def: $vgpr11
.LBB74_19:
	v_mov_b32_e32 v13, 0
	v_mov_b32_e32 v12, v13
	;; [unrolled: 1-line block ×6, first 2 shown]
	s_and_saveexec_b64 s[4:5], s[2:3]
	s_cbranch_execz .LBB74_23
; %bb.20:
	v_mov_b32_e32 v15, 0
	v_lshl_add_u32 v14, v8, 1, v8
	s_mov_b64 s[2:3], 0
	v_mov_b32_e32 v10, v15
	v_mov_b32_e32 v11, v15
	;; [unrolled: 1-line block ×6, first 2 shown]
.LBB74_21:                              ; =>This Inner Loop Header: Depth=1
	v_ashrrev_i32_e32 v9, 31, v8
	v_lshl_add_u64 v[16:17], v[8:9], 2, s[6:7]
	global_load_dword v9, v[16:17], off
	v_mov_b32_e32 v21, v15
	v_add_u32_e32 v22, 1, v14
	v_mov_b32_e32 v23, v15
	v_lshl_add_u64 v[16:17], v[14:15], 3, s[8:9]
	v_add_u32_e32 v24, 2, v14
	v_mov_b32_e32 v25, v15
	v_lshl_add_u64 v[22:23], v[22:23], 3, s[8:9]
	global_load_dwordx2 v[16:17], v[16:17], off
	v_lshl_add_u64 v[24:25], v[24:25], 3, s[8:9]
	global_load_dwordx2 v[26:27], v[22:23], off
	global_load_dwordx2 v[28:29], v[24:25], off
	v_add_u32_e32 v8, 4, v8
	v_cmp_ge_i32_e32 vcc, v8, v18
	v_add_u32_e32 v14, 12, v14
	s_or_b64 s[2:3], vcc, s[2:3]
	s_waitcnt vmcnt(3)
	v_subrev_u32_e32 v20, s12, v9
	v_lshl_add_u64 v[20:21], v[20:21], 3, s[10:11]
	global_load_dwordx2 v[20:21], v[20:21], off
	s_waitcnt vmcnt(0)
	v_pk_fma_f32 v[12:13], v[16:17], v[20:21], v[12:13] op_sel_hi:[1,0,1]
	v_pk_fma_f32 v[10:11], v[26:27], v[20:21], v[10:11] op_sel_hi:[1,0,1]
	;; [unrolled: 1-line block ×3, first 2 shown]
	v_pk_fma_f32 v[12:13], v[16:17], v[20:21], v[12:13] op_sel:[1,1,0] op_sel_hi:[0,1,1] neg_lo:[1,0,0]
	v_pk_fma_f32 v[10:11], v[26:27], v[20:21], v[10:11] op_sel:[1,1,0] op_sel_hi:[0,1,1] neg_lo:[1,0,0]
	;; [unrolled: 1-line block ×3, first 2 shown]
	s_andn2_b64 exec, exec, s[2:3]
	s_cbranch_execnz .LBB74_21
; %bb.22:
	s_or_b64 exec, exec, s[2:3]
.LBB74_23:
	s_or_b64 exec, exec, s[4:5]
.LBB74_24:
	v_mov_b32_dpp v8, v12 row_shr:1 row_mask:0xf bank_mask:0xf
	v_add_f32_e32 v8, v12, v8
	v_mov_b32_dpp v12, v13 row_shr:1 row_mask:0xf bank_mask:0xf
	v_add_f32_e32 v13, v13, v12
	v_mov_b32_dpp v9, v8 row_shr:2 row_mask:0xf bank_mask:0xf
	v_mov_b32_dpp v12, v10 row_shr:1 row_mask:0xf bank_mask:0xf
	v_add_f32_e32 v10, v10, v12
	v_mov_b32_dpp v14, v13 row_shr:2 row_mask:0xf bank_mask:0xf
	;; [unrolled: 3-line block ×5, first 2 shown]
	v_cmp_eq_u32_e32 vcc, 3, v7
	v_mov_b32_dpp v19, v1 row_shr:2 row_mask:0xf bank_mask:0xf
	s_and_b64 exec, exec, vcc
	s_cbranch_execz .LBB74_29
; %bb.25:
	s_load_dwordx2 s[2:3], s[0:1], 0x38
	v_add_f32_e32 v12, v8, v9
	v_add_f32_e32 v8, v1, v19
	v_and_b32_e32 v1, 0x7fffffff, v4
	v_cmp_eq_u32_e32 vcc, 0, v1
	v_cmp_eq_f32_e64 s[0:1], 0, v5
	v_add_f32_e32 v16, v13, v14
	v_add_f32_e32 v10, v10, v15
	;; [unrolled: 1-line block ×4, first 2 shown]
	s_and_b64 s[0:1], vcc, s[0:1]
	s_and_saveexec_b64 s[4:5], s[0:1]
	s_xor_b64 s[0:1], exec, s[4:5]
	s_cbranch_execz .LBB74_27
; %bb.26:
	v_lshl_add_u32 v4, v6, 1, v6
	v_xor_b32_e32 v18, 0x80000000, v3
	v_ashrrev_i32_e32 v5, 31, v4
	v_mov_b32_e32 v19, v2
	s_waitcnt lgkmcnt(0)
	v_lshl_add_u64 v[20:21], v[4:5], 3, s[2:3]
	v_pk_mul_f32 v[4:5], v[16:17], v[18:19] op_sel_hi:[0,1]
	v_pk_mul_f32 v[6:7], v[14:15], v[18:19] op_sel_hi:[0,1]
	v_pk_fma_f32 v[4:5], v[2:3], v[12:13], v[4:5] op_sel_hi:[1,0,1]
	v_pk_fma_f32 v[6:7], v[2:3], v[10:11], v[6:7] op_sel_hi:[1,0,1]
	global_store_dwordx4 v[20:21], v[4:7], off
                                        ; implicit-def: $vgpr6
                                        ; implicit-def: $vgpr12
                                        ; implicit-def: $vgpr16
                                        ; implicit-def: $vgpr10
                                        ; implicit-def: $vgpr14
	s_nop 1
	v_pk_mul_f32 v[4:5], v[8:9], v[18:19] op_sel_hi:[0,1]
	v_pk_fma_f32 v[0:1], v[2:3], v[0:1], v[4:5] op_sel_hi:[1,0,1]
	global_store_dwordx2 v[20:21], v[0:1], off offset:16
                                        ; implicit-def: $vgpr3
                                        ; implicit-def: $vgpr4
                                        ; implicit-def: $vgpr0
                                        ; implicit-def: $vgpr8
.LBB74_27:
	s_andn2_saveexec_b64 s[0:1], s[0:1]
	s_cbranch_execz .LBB74_29
; %bb.28:
	v_lshl_add_u32 v6, v6, 1, v6
	v_ashrrev_i32_e32 v7, 31, v6
	s_waitcnt lgkmcnt(0)
	v_lshl_add_u64 v[6:7], v[6:7], 3, s[2:3]
	global_load_dwordx4 v[18:21], v[6:7], off
	global_load_dwordx2 v[22:23], v[6:7], off offset:16
	v_xor_b32_e32 v24, 0x80000000, v3
	v_mov_b32_e32 v25, v2
	v_pk_mul_f32 v[16:17], v[16:17], v[24:25] op_sel_hi:[0,1]
	v_pk_mul_f32 v[14:15], v[14:15], v[24:25] op_sel_hi:[0,1]
	;; [unrolled: 1-line block ×3, first 2 shown]
	v_pk_fma_f32 v[12:13], v[2:3], v[12:13], v[16:17] op_sel_hi:[1,0,1]
	v_pk_fma_f32 v[10:11], v[2:3], v[10:11], v[14:15] op_sel_hi:[1,0,1]
	v_xor_b32_e32 v26, 0x80000000, v5
	v_mov_b32_e32 v27, v4
	v_pk_fma_f32 v[0:1], v[2:3], v[0:1], v[8:9] op_sel_hi:[1,0,1]
	s_waitcnt vmcnt(1)
	v_pk_fma_f32 v[2:3], v[4:5], v[18:19], v[12:13] op_sel_hi:[1,0,1]
	v_pk_fma_f32 v[8:9], v[4:5], v[20:21], v[10:11] op_sel_hi:[1,0,1]
	v_mov_b32_e32 v10, v21
	s_waitcnt vmcnt(0)
	v_pk_fma_f32 v[4:5], v[4:5], v[22:23], v[0:1] op_sel_hi:[1,0,1]
	v_pk_fma_f32 v[0:1], v[26:27], v[18:19], v[2:3] op_sel:[0,1,0]
	v_pk_fma_f32 v[2:3], v[26:27], v[10:11], v[8:9] op_sel_hi:[1,0,1]
	v_pk_fma_f32 v[4:5], v[26:27], v[22:23], v[4:5] op_sel:[0,1,0]
	global_store_dwordx4 v[6:7], v[0:3], off
	global_store_dwordx2 v[6:7], v[4:5], off offset:16
.LBB74_29:
	s_endpgm
	.section	.rodata,"a",@progbits
	.p2align	6, 0x0
	.amdhsa_kernel _ZN9rocsparseL19gebsrmvn_3xn_kernelILj128ELj1ELj4E21rocsparse_complex_numIfEEEvi20rocsparse_direction_NS_24const_host_device_scalarIT2_EEPKiS8_PKS5_SA_S6_PS5_21rocsparse_index_base_b
		.amdhsa_group_segment_fixed_size 0
		.amdhsa_private_segment_fixed_size 0
		.amdhsa_kernarg_size 72
		.amdhsa_user_sgpr_count 2
		.amdhsa_user_sgpr_dispatch_ptr 0
		.amdhsa_user_sgpr_queue_ptr 0
		.amdhsa_user_sgpr_kernarg_segment_ptr 1
		.amdhsa_user_sgpr_dispatch_id 0
		.amdhsa_user_sgpr_kernarg_preload_length 0
		.amdhsa_user_sgpr_kernarg_preload_offset 0
		.amdhsa_user_sgpr_private_segment_size 0
		.amdhsa_uses_dynamic_stack 0
		.amdhsa_enable_private_segment 0
		.amdhsa_system_sgpr_workgroup_id_x 1
		.amdhsa_system_sgpr_workgroup_id_y 0
		.amdhsa_system_sgpr_workgroup_id_z 0
		.amdhsa_system_sgpr_workgroup_info 0
		.amdhsa_system_vgpr_workitem_id 0
		.amdhsa_next_free_vgpr 32
		.amdhsa_next_free_sgpr 16
		.amdhsa_accum_offset 32
		.amdhsa_reserve_vcc 1
		.amdhsa_float_round_mode_32 0
		.amdhsa_float_round_mode_16_64 0
		.amdhsa_float_denorm_mode_32 3
		.amdhsa_float_denorm_mode_16_64 3
		.amdhsa_dx10_clamp 1
		.amdhsa_ieee_mode 1
		.amdhsa_fp16_overflow 0
		.amdhsa_tg_split 0
		.amdhsa_exception_fp_ieee_invalid_op 0
		.amdhsa_exception_fp_denorm_src 0
		.amdhsa_exception_fp_ieee_div_zero 0
		.amdhsa_exception_fp_ieee_overflow 0
		.amdhsa_exception_fp_ieee_underflow 0
		.amdhsa_exception_fp_ieee_inexact 0
		.amdhsa_exception_int_div_zero 0
	.end_amdhsa_kernel
	.section	.text._ZN9rocsparseL19gebsrmvn_3xn_kernelILj128ELj1ELj4E21rocsparse_complex_numIfEEEvi20rocsparse_direction_NS_24const_host_device_scalarIT2_EEPKiS8_PKS5_SA_S6_PS5_21rocsparse_index_base_b,"axG",@progbits,_ZN9rocsparseL19gebsrmvn_3xn_kernelILj128ELj1ELj4E21rocsparse_complex_numIfEEEvi20rocsparse_direction_NS_24const_host_device_scalarIT2_EEPKiS8_PKS5_SA_S6_PS5_21rocsparse_index_base_b,comdat
.Lfunc_end74:
	.size	_ZN9rocsparseL19gebsrmvn_3xn_kernelILj128ELj1ELj4E21rocsparse_complex_numIfEEEvi20rocsparse_direction_NS_24const_host_device_scalarIT2_EEPKiS8_PKS5_SA_S6_PS5_21rocsparse_index_base_b, .Lfunc_end74-_ZN9rocsparseL19gebsrmvn_3xn_kernelILj128ELj1ELj4E21rocsparse_complex_numIfEEEvi20rocsparse_direction_NS_24const_host_device_scalarIT2_EEPKiS8_PKS5_SA_S6_PS5_21rocsparse_index_base_b
                                        ; -- End function
	.section	.AMDGPU.csdata,"",@progbits
; Kernel info:
; codeLenInByte = 1412
; NumSgprs: 22
; NumVgprs: 32
; NumAgprs: 0
; TotalNumVgprs: 32
; ScratchSize: 0
; MemoryBound: 0
; FloatMode: 240
; IeeeMode: 1
; LDSByteSize: 0 bytes/workgroup (compile time only)
; SGPRBlocks: 2
; VGPRBlocks: 3
; NumSGPRsForWavesPerEU: 22
; NumVGPRsForWavesPerEU: 32
; AccumOffset: 32
; Occupancy: 8
; WaveLimiterHint : 1
; COMPUTE_PGM_RSRC2:SCRATCH_EN: 0
; COMPUTE_PGM_RSRC2:USER_SGPR: 2
; COMPUTE_PGM_RSRC2:TRAP_HANDLER: 0
; COMPUTE_PGM_RSRC2:TGID_X_EN: 1
; COMPUTE_PGM_RSRC2:TGID_Y_EN: 0
; COMPUTE_PGM_RSRC2:TGID_Z_EN: 0
; COMPUTE_PGM_RSRC2:TIDIG_COMP_CNT: 0
; COMPUTE_PGM_RSRC3_GFX90A:ACCUM_OFFSET: 7
; COMPUTE_PGM_RSRC3_GFX90A:TG_SPLIT: 0
	.section	.text._ZN9rocsparseL19gebsrmvn_3xn_kernelILj128ELj1ELj8E21rocsparse_complex_numIfEEEvi20rocsparse_direction_NS_24const_host_device_scalarIT2_EEPKiS8_PKS5_SA_S6_PS5_21rocsparse_index_base_b,"axG",@progbits,_ZN9rocsparseL19gebsrmvn_3xn_kernelILj128ELj1ELj8E21rocsparse_complex_numIfEEEvi20rocsparse_direction_NS_24const_host_device_scalarIT2_EEPKiS8_PKS5_SA_S6_PS5_21rocsparse_index_base_b,comdat
	.globl	_ZN9rocsparseL19gebsrmvn_3xn_kernelILj128ELj1ELj8E21rocsparse_complex_numIfEEEvi20rocsparse_direction_NS_24const_host_device_scalarIT2_EEPKiS8_PKS5_SA_S6_PS5_21rocsparse_index_base_b ; -- Begin function _ZN9rocsparseL19gebsrmvn_3xn_kernelILj128ELj1ELj8E21rocsparse_complex_numIfEEEvi20rocsparse_direction_NS_24const_host_device_scalarIT2_EEPKiS8_PKS5_SA_S6_PS5_21rocsparse_index_base_b
	.p2align	8
	.type	_ZN9rocsparseL19gebsrmvn_3xn_kernelILj128ELj1ELj8E21rocsparse_complex_numIfEEEvi20rocsparse_direction_NS_24const_host_device_scalarIT2_EEPKiS8_PKS5_SA_S6_PS5_21rocsparse_index_base_b,@function
_ZN9rocsparseL19gebsrmvn_3xn_kernelILj128ELj1ELj8E21rocsparse_complex_numIfEEEvi20rocsparse_direction_NS_24const_host_device_scalarIT2_EEPKiS8_PKS5_SA_S6_PS5_21rocsparse_index_base_b: ; @_ZN9rocsparseL19gebsrmvn_3xn_kernelILj128ELj1ELj8E21rocsparse_complex_numIfEEEvi20rocsparse_direction_NS_24const_host_device_scalarIT2_EEPKiS8_PKS5_SA_S6_PS5_21rocsparse_index_base_b
; %bb.0:
	s_load_dwordx2 s[12:13], s[0:1], 0x40
	s_load_dwordx2 s[8:9], s[0:1], 0x8
	;; [unrolled: 1-line block ×3, first 2 shown]
	s_waitcnt lgkmcnt(0)
	s_bitcmp1_b32 s13, 0
	s_cselect_b64 s[4:5], -1, 0
	s_xor_b64 s[10:11], s[4:5], -1
	s_and_b64 vcc, exec, s[4:5]
	v_mov_b32_e32 v2, s8
	s_cbranch_vccnz .LBB75_2
; %bb.1:
	v_mov_b64_e32 v[2:3], s[8:9]
	flat_load_dword v2, v[2:3]
.LBB75_2:
	v_cndmask_b32_e64 v1, 0, 1, s[10:11]
	v_cmp_ne_u32_e64 s[4:5], 1, v1
	s_andn2_b64 vcc, exec, s[10:11]
	v_mov_b32_e32 v3, s9
	s_cbranch_vccz .LBB75_16
; %bb.3:
	s_and_b64 vcc, exec, s[4:5]
	v_mov_b32_e32 v4, s6
	s_cbranch_vccz .LBB75_17
.LBB75_4:
	s_and_b64 vcc, exec, s[4:5]
	v_mov_b32_e32 v5, s7
	s_cbranch_vccnz .LBB75_6
.LBB75_5:
	v_mov_b64_e32 v[6:7], s[6:7]
	flat_load_dword v5, v[6:7] offset:4
.LBB75_6:
	s_waitcnt vmcnt(0) lgkmcnt(0)
	v_and_b32_e32 v1, 0x7fffffff, v2
	v_cmp_eq_u32_e32 vcc, 0, v1
	v_cmp_eq_f32_e64 s[4:5], 0, v3
	s_and_b64 s[8:9], vcc, s[4:5]
	s_mov_b64 s[4:5], -1
	s_and_saveexec_b64 s[6:7], s[8:9]
; %bb.7:
	v_and_b32_e32 v1, 0x7fffffff, v5
	v_cmp_neq_f32_e32 vcc, 1.0, v4
	v_cmp_ne_u32_e64 s[4:5], 0, v1
	s_or_b64 s[4:5], vcc, s[4:5]
	s_orn2_b64 s[4:5], s[4:5], exec
; %bb.8:
	s_or_b64 exec, exec, s[6:7]
	s_and_saveexec_b64 s[6:7], s[4:5]
	s_cbranch_execz .LBB75_29
; %bb.9:
	s_load_dwordx2 s[14:15], s[0:1], 0x0
	v_lshrrev_b32_e32 v1, 3, v0
	v_lshl_or_b32 v6, s2, 4, v1
	s_waitcnt lgkmcnt(0)
	v_cmp_gt_i32_e32 vcc, s14, v6
	s_and_b64 exec, exec, vcc
	s_cbranch_execz .LBB75_29
; %bb.10:
	s_load_dwordx8 s[4:11], s[0:1], 0x10
	v_ashrrev_i32_e32 v7, 31, v6
	s_cmp_lg_u32 s15, 0
	s_waitcnt lgkmcnt(0)
	v_lshl_add_u64 v[8:9], v[6:7], 2, s[4:5]
	global_load_dwordx2 v[8:9], v[8:9], off
	v_and_b32_e32 v7, 7, v0
	s_waitcnt vmcnt(0)
	v_subrev_u32_e32 v0, s12, v8
	v_subrev_u32_e32 v18, s12, v9
	v_add_u32_e32 v12, v0, v7
	v_cmp_lt_i32_e64 s[2:3], v12, v18
	s_cbranch_scc0 .LBB75_18
; %bb.11:
	v_mov_b32_e32 v11, 0
	v_mov_b32_e32 v10, v11
	;; [unrolled: 1-line block ×6, first 2 shown]
	s_and_saveexec_b64 s[4:5], s[2:3]
	s_cbranch_execz .LBB75_15
; %bb.12:
	v_mov_b32_e32 v15, 0
	v_lshl_add_u32 v14, v12, 1, v12
	s_mov_b64 s[14:15], 0
	v_mov_b32_e32 v16, v12
	v_mov_b32_e32 v8, v15
	;; [unrolled: 1-line block ×7, first 2 shown]
.LBB75_13:                              ; =>This Inner Loop Header: Depth=1
	v_ashrrev_i32_e32 v17, 31, v16
	v_lshl_add_u64 v[20:21], v[16:17], 2, s[6:7]
	global_load_dword v13, v[20:21], off
	v_mov_b32_e32 v23, v15
	v_add_u32_e32 v24, 1, v14
	v_mov_b32_e32 v25, v15
	v_lshl_add_u64 v[20:21], v[14:15], 3, s[8:9]
	v_add_u32_e32 v26, 2, v14
	v_mov_b32_e32 v27, v15
	v_lshl_add_u64 v[24:25], v[24:25], 3, s[8:9]
	global_load_dwordx2 v[20:21], v[20:21], off
	v_lshl_add_u64 v[26:27], v[26:27], 3, s[8:9]
	global_load_dwordx2 v[28:29], v[24:25], off
	global_load_dwordx2 v[30:31], v[26:27], off
	v_add_u32_e32 v16, 8, v16
	v_cmp_ge_i32_e32 vcc, v16, v18
	v_add_u32_e32 v14, 24, v14
	s_or_b64 s[14:15], vcc, s[14:15]
	s_waitcnt vmcnt(3)
	v_subrev_u32_e32 v22, s12, v13
	v_lshl_add_u64 v[22:23], v[22:23], 3, s[10:11]
	global_load_dwordx2 v[22:23], v[22:23], off
	s_waitcnt vmcnt(0)
	v_pk_fma_f32 v[10:11], v[20:21], v[22:23], v[10:11] op_sel_hi:[1,0,1]
	v_pk_fma_f32 v[8:9], v[28:29], v[22:23], v[8:9] op_sel_hi:[1,0,1]
	;; [unrolled: 1-line block ×3, first 2 shown]
	v_pk_fma_f32 v[10:11], v[20:21], v[22:23], v[10:11] op_sel:[1,1,0] op_sel_hi:[0,1,1] neg_lo:[1,0,0]
	v_pk_fma_f32 v[8:9], v[28:29], v[22:23], v[8:9] op_sel:[1,1,0] op_sel_hi:[0,1,1] neg_lo:[1,0,0]
	;; [unrolled: 1-line block ×3, first 2 shown]
	s_andn2_b64 exec, exec, s[14:15]
	s_cbranch_execnz .LBB75_13
; %bb.14:
	s_or_b64 exec, exec, s[14:15]
.LBB75_15:
	s_or_b64 exec, exec, s[4:5]
	s_cbranch_execz .LBB75_19
	s_branch .LBB75_24
.LBB75_16:
	v_mov_b64_e32 v[4:5], s[8:9]
	flat_load_dword v3, v[4:5] offset:4
	s_and_b64 vcc, exec, s[4:5]
	v_mov_b32_e32 v4, s6
	s_cbranch_vccnz .LBB75_4
.LBB75_17:
	v_mov_b64_e32 v[4:5], s[6:7]
	flat_load_dword v4, v[4:5]
	s_and_b64 vcc, exec, s[4:5]
	v_mov_b32_e32 v5, s7
	s_cbranch_vccz .LBB75_5
	s_branch .LBB75_6
.LBB75_18:
                                        ; implicit-def: $vgpr11
                                        ; implicit-def: $vgpr1
                                        ; implicit-def: $vgpr9
.LBB75_19:
	v_mov_b32_e32 v11, 0
	v_mov_b32_e32 v10, v11
	;; [unrolled: 1-line block ×6, first 2 shown]
	s_and_saveexec_b64 s[4:5], s[2:3]
	s_cbranch_execz .LBB75_23
; %bb.20:
	v_mov_b32_e32 v15, 0
	v_lshl_add_u32 v14, v12, 1, v12
	s_mov_b64 s[2:3], 0
	v_mov_b32_e32 v8, v15
	v_mov_b32_e32 v9, v15
	;; [unrolled: 1-line block ×6, first 2 shown]
.LBB75_21:                              ; =>This Inner Loop Header: Depth=1
	v_ashrrev_i32_e32 v13, 31, v12
	v_lshl_add_u64 v[16:17], v[12:13], 2, s[6:7]
	global_load_dword v13, v[16:17], off
	v_mov_b32_e32 v21, v15
	v_add_u32_e32 v22, 1, v14
	v_mov_b32_e32 v23, v15
	v_lshl_add_u64 v[16:17], v[14:15], 3, s[8:9]
	v_add_u32_e32 v24, 2, v14
	v_mov_b32_e32 v25, v15
	v_lshl_add_u64 v[22:23], v[22:23], 3, s[8:9]
	global_load_dwordx2 v[16:17], v[16:17], off
	v_lshl_add_u64 v[24:25], v[24:25], 3, s[8:9]
	global_load_dwordx2 v[26:27], v[22:23], off
	global_load_dwordx2 v[28:29], v[24:25], off
	v_add_u32_e32 v12, 8, v12
	v_cmp_ge_i32_e32 vcc, v12, v18
	v_add_u32_e32 v14, 24, v14
	s_or_b64 s[2:3], vcc, s[2:3]
	s_waitcnt vmcnt(3)
	v_subrev_u32_e32 v20, s12, v13
	v_lshl_add_u64 v[20:21], v[20:21], 3, s[10:11]
	global_load_dwordx2 v[20:21], v[20:21], off
	s_waitcnt vmcnt(0)
	v_pk_fma_f32 v[10:11], v[16:17], v[20:21], v[10:11] op_sel_hi:[1,0,1]
	v_pk_fma_f32 v[8:9], v[26:27], v[20:21], v[8:9] op_sel_hi:[1,0,1]
	;; [unrolled: 1-line block ×3, first 2 shown]
	v_pk_fma_f32 v[10:11], v[16:17], v[20:21], v[10:11] op_sel:[1,1,0] op_sel_hi:[0,1,1] neg_lo:[1,0,0]
	v_pk_fma_f32 v[8:9], v[26:27], v[20:21], v[8:9] op_sel:[1,1,0] op_sel_hi:[0,1,1] neg_lo:[1,0,0]
	;; [unrolled: 1-line block ×3, first 2 shown]
	s_andn2_b64 exec, exec, s[2:3]
	s_cbranch_execnz .LBB75_21
; %bb.22:
	s_or_b64 exec, exec, s[2:3]
.LBB75_23:
	s_or_b64 exec, exec, s[4:5]
.LBB75_24:
	v_mov_b32_dpp v16, v0 row_shr:1 row_mask:0xf bank_mask:0xf
	v_add_f32_e32 v0, v0, v16
	v_mov_b32_dpp v12, v10 row_shr:1 row_mask:0xf bank_mask:0xf
	v_mov_b32_dpp v13, v11 row_shr:1 row_mask:0xf bank_mask:0xf
	;; [unrolled: 1-line block ×5, first 2 shown]
	v_add_f32_e32 v0, v0, v16
	v_mov_b32_dpp v16, v1 row_shr:1 row_mask:0xf bank_mask:0xf
	v_add_f32_e32 v10, v10, v12
	v_add_f32_e32 v11, v11, v13
	;; [unrolled: 1-line block ×5, first 2 shown]
	v_mov_b32_dpp v12, v10 row_shr:2 row_mask:0xf bank_mask:0xf
	v_mov_b32_dpp v13, v11 row_shr:2 row_mask:0xf bank_mask:0xf
	;; [unrolled: 1-line block ×5, first 2 shown]
	v_add_f32_e32 v10, v10, v12
	v_add_f32_e32 v11, v11, v13
	;; [unrolled: 1-line block ×5, first 2 shown]
	v_mov_b32_dpp v12, v10 row_shr:4 row_mask:0xf bank_mask:0xe
	v_mov_b32_dpp v13, v11 row_shr:4 row_mask:0xf bank_mask:0xe
	;; [unrolled: 1-line block ×6, first 2 shown]
	v_cmp_eq_u32_e32 vcc, 7, v7
	s_and_b64 exec, exec, vcc
	s_cbranch_execz .LBB75_29
; %bb.25:
	s_load_dwordx2 s[2:3], s[0:1], 0x38
	v_add_f32_e32 v12, v10, v12
	v_add_f32_e32 v10, v8, v14
	;; [unrolled: 1-line block ×3, first 2 shown]
	v_and_b32_e32 v1, 0x7fffffff, v4
	v_cmp_eq_u32_e32 vcc, 0, v1
	v_cmp_eq_f32_e64 s[0:1], 0, v5
	v_add_f32_e32 v16, v11, v13
	v_add_f32_e32 v14, v9, v15
	;; [unrolled: 1-line block ×3, first 2 shown]
	s_and_b64 s[0:1], vcc, s[0:1]
	s_and_saveexec_b64 s[4:5], s[0:1]
	s_xor_b64 s[0:1], exec, s[4:5]
	s_cbranch_execz .LBB75_27
; %bb.26:
	v_lshl_add_u32 v4, v6, 1, v6
	v_xor_b32_e32 v18, 0x80000000, v3
	v_ashrrev_i32_e32 v5, 31, v4
	v_mov_b32_e32 v19, v2
	s_waitcnt lgkmcnt(0)
	v_lshl_add_u64 v[20:21], v[4:5], 3, s[2:3]
	v_pk_mul_f32 v[4:5], v[16:17], v[18:19] op_sel_hi:[0,1]
	v_pk_mul_f32 v[6:7], v[14:15], v[18:19] op_sel_hi:[0,1]
	v_pk_fma_f32 v[4:5], v[2:3], v[12:13], v[4:5] op_sel_hi:[1,0,1]
	v_pk_fma_f32 v[6:7], v[2:3], v[10:11], v[6:7] op_sel_hi:[1,0,1]
	global_store_dwordx4 v[20:21], v[4:7], off
                                        ; implicit-def: $vgpr6
                                        ; implicit-def: $vgpr12
                                        ; implicit-def: $vgpr16
                                        ; implicit-def: $vgpr10
                                        ; implicit-def: $vgpr14
	s_nop 1
	v_pk_mul_f32 v[4:5], v[8:9], v[18:19] op_sel_hi:[0,1]
	v_pk_fma_f32 v[0:1], v[2:3], v[0:1], v[4:5] op_sel_hi:[1,0,1]
	global_store_dwordx2 v[20:21], v[0:1], off offset:16
                                        ; implicit-def: $vgpr3
                                        ; implicit-def: $vgpr4
                                        ; implicit-def: $vgpr0
                                        ; implicit-def: $vgpr8
.LBB75_27:
	s_andn2_saveexec_b64 s[0:1], s[0:1]
	s_cbranch_execz .LBB75_29
; %bb.28:
	v_lshl_add_u32 v6, v6, 1, v6
	v_ashrrev_i32_e32 v7, 31, v6
	s_waitcnt lgkmcnt(0)
	v_lshl_add_u64 v[6:7], v[6:7], 3, s[2:3]
	global_load_dwordx4 v[18:21], v[6:7], off
	global_load_dwordx2 v[22:23], v[6:7], off offset:16
	v_xor_b32_e32 v24, 0x80000000, v3
	v_mov_b32_e32 v25, v2
	v_pk_mul_f32 v[16:17], v[16:17], v[24:25] op_sel_hi:[0,1]
	v_pk_mul_f32 v[14:15], v[14:15], v[24:25] op_sel_hi:[0,1]
	;; [unrolled: 1-line block ×3, first 2 shown]
	v_pk_fma_f32 v[12:13], v[2:3], v[12:13], v[16:17] op_sel_hi:[1,0,1]
	v_pk_fma_f32 v[10:11], v[2:3], v[10:11], v[14:15] op_sel_hi:[1,0,1]
	v_xor_b32_e32 v26, 0x80000000, v5
	v_mov_b32_e32 v27, v4
	v_pk_fma_f32 v[0:1], v[2:3], v[0:1], v[8:9] op_sel_hi:[1,0,1]
	s_waitcnt vmcnt(1)
	v_pk_fma_f32 v[2:3], v[4:5], v[18:19], v[12:13] op_sel_hi:[1,0,1]
	v_pk_fma_f32 v[8:9], v[4:5], v[20:21], v[10:11] op_sel_hi:[1,0,1]
	v_mov_b32_e32 v10, v21
	s_waitcnt vmcnt(0)
	v_pk_fma_f32 v[4:5], v[4:5], v[22:23], v[0:1] op_sel_hi:[1,0,1]
	v_pk_fma_f32 v[0:1], v[26:27], v[18:19], v[2:3] op_sel:[0,1,0]
	v_pk_fma_f32 v[2:3], v[26:27], v[10:11], v[8:9] op_sel_hi:[1,0,1]
	v_pk_fma_f32 v[4:5], v[26:27], v[22:23], v[4:5] op_sel:[0,1,0]
	global_store_dwordx4 v[6:7], v[0:3], off
	global_store_dwordx2 v[6:7], v[4:5], off offset:16
.LBB75_29:
	s_endpgm
	.section	.rodata,"a",@progbits
	.p2align	6, 0x0
	.amdhsa_kernel _ZN9rocsparseL19gebsrmvn_3xn_kernelILj128ELj1ELj8E21rocsparse_complex_numIfEEEvi20rocsparse_direction_NS_24const_host_device_scalarIT2_EEPKiS8_PKS5_SA_S6_PS5_21rocsparse_index_base_b
		.amdhsa_group_segment_fixed_size 0
		.amdhsa_private_segment_fixed_size 0
		.amdhsa_kernarg_size 72
		.amdhsa_user_sgpr_count 2
		.amdhsa_user_sgpr_dispatch_ptr 0
		.amdhsa_user_sgpr_queue_ptr 0
		.amdhsa_user_sgpr_kernarg_segment_ptr 1
		.amdhsa_user_sgpr_dispatch_id 0
		.amdhsa_user_sgpr_kernarg_preload_length 0
		.amdhsa_user_sgpr_kernarg_preload_offset 0
		.amdhsa_user_sgpr_private_segment_size 0
		.amdhsa_uses_dynamic_stack 0
		.amdhsa_enable_private_segment 0
		.amdhsa_system_sgpr_workgroup_id_x 1
		.amdhsa_system_sgpr_workgroup_id_y 0
		.amdhsa_system_sgpr_workgroup_id_z 0
		.amdhsa_system_sgpr_workgroup_info 0
		.amdhsa_system_vgpr_workitem_id 0
		.amdhsa_next_free_vgpr 32
		.amdhsa_next_free_sgpr 16
		.amdhsa_accum_offset 32
		.amdhsa_reserve_vcc 1
		.amdhsa_float_round_mode_32 0
		.amdhsa_float_round_mode_16_64 0
		.amdhsa_float_denorm_mode_32 3
		.amdhsa_float_denorm_mode_16_64 3
		.amdhsa_dx10_clamp 1
		.amdhsa_ieee_mode 1
		.amdhsa_fp16_overflow 0
		.amdhsa_tg_split 0
		.amdhsa_exception_fp_ieee_invalid_op 0
		.amdhsa_exception_fp_denorm_src 0
		.amdhsa_exception_fp_ieee_div_zero 0
		.amdhsa_exception_fp_ieee_overflow 0
		.amdhsa_exception_fp_ieee_underflow 0
		.amdhsa_exception_fp_ieee_inexact 0
		.amdhsa_exception_int_div_zero 0
	.end_amdhsa_kernel
	.section	.text._ZN9rocsparseL19gebsrmvn_3xn_kernelILj128ELj1ELj8E21rocsparse_complex_numIfEEEvi20rocsparse_direction_NS_24const_host_device_scalarIT2_EEPKiS8_PKS5_SA_S6_PS5_21rocsparse_index_base_b,"axG",@progbits,_ZN9rocsparseL19gebsrmvn_3xn_kernelILj128ELj1ELj8E21rocsparse_complex_numIfEEEvi20rocsparse_direction_NS_24const_host_device_scalarIT2_EEPKiS8_PKS5_SA_S6_PS5_21rocsparse_index_base_b,comdat
.Lfunc_end75:
	.size	_ZN9rocsparseL19gebsrmvn_3xn_kernelILj128ELj1ELj8E21rocsparse_complex_numIfEEEvi20rocsparse_direction_NS_24const_host_device_scalarIT2_EEPKiS8_PKS5_SA_S6_PS5_21rocsparse_index_base_b, .Lfunc_end75-_ZN9rocsparseL19gebsrmvn_3xn_kernelILj128ELj1ELj8E21rocsparse_complex_numIfEEEvi20rocsparse_direction_NS_24const_host_device_scalarIT2_EEPKiS8_PKS5_SA_S6_PS5_21rocsparse_index_base_b
                                        ; -- End function
	.section	.AMDGPU.csdata,"",@progbits
; Kernel info:
; codeLenInByte = 1484
; NumSgprs: 22
; NumVgprs: 32
; NumAgprs: 0
; TotalNumVgprs: 32
; ScratchSize: 0
; MemoryBound: 0
; FloatMode: 240
; IeeeMode: 1
; LDSByteSize: 0 bytes/workgroup (compile time only)
; SGPRBlocks: 2
; VGPRBlocks: 3
; NumSGPRsForWavesPerEU: 22
; NumVGPRsForWavesPerEU: 32
; AccumOffset: 32
; Occupancy: 8
; WaveLimiterHint : 1
; COMPUTE_PGM_RSRC2:SCRATCH_EN: 0
; COMPUTE_PGM_RSRC2:USER_SGPR: 2
; COMPUTE_PGM_RSRC2:TRAP_HANDLER: 0
; COMPUTE_PGM_RSRC2:TGID_X_EN: 1
; COMPUTE_PGM_RSRC2:TGID_Y_EN: 0
; COMPUTE_PGM_RSRC2:TGID_Z_EN: 0
; COMPUTE_PGM_RSRC2:TIDIG_COMP_CNT: 0
; COMPUTE_PGM_RSRC3_GFX90A:ACCUM_OFFSET: 7
; COMPUTE_PGM_RSRC3_GFX90A:TG_SPLIT: 0
	.section	.text._ZN9rocsparseL19gebsrmvn_3xn_kernelILj128ELj1ELj16E21rocsparse_complex_numIfEEEvi20rocsparse_direction_NS_24const_host_device_scalarIT2_EEPKiS8_PKS5_SA_S6_PS5_21rocsparse_index_base_b,"axG",@progbits,_ZN9rocsparseL19gebsrmvn_3xn_kernelILj128ELj1ELj16E21rocsparse_complex_numIfEEEvi20rocsparse_direction_NS_24const_host_device_scalarIT2_EEPKiS8_PKS5_SA_S6_PS5_21rocsparse_index_base_b,comdat
	.globl	_ZN9rocsparseL19gebsrmvn_3xn_kernelILj128ELj1ELj16E21rocsparse_complex_numIfEEEvi20rocsparse_direction_NS_24const_host_device_scalarIT2_EEPKiS8_PKS5_SA_S6_PS5_21rocsparse_index_base_b ; -- Begin function _ZN9rocsparseL19gebsrmvn_3xn_kernelILj128ELj1ELj16E21rocsparse_complex_numIfEEEvi20rocsparse_direction_NS_24const_host_device_scalarIT2_EEPKiS8_PKS5_SA_S6_PS5_21rocsparse_index_base_b
	.p2align	8
	.type	_ZN9rocsparseL19gebsrmvn_3xn_kernelILj128ELj1ELj16E21rocsparse_complex_numIfEEEvi20rocsparse_direction_NS_24const_host_device_scalarIT2_EEPKiS8_PKS5_SA_S6_PS5_21rocsparse_index_base_b,@function
_ZN9rocsparseL19gebsrmvn_3xn_kernelILj128ELj1ELj16E21rocsparse_complex_numIfEEEvi20rocsparse_direction_NS_24const_host_device_scalarIT2_EEPKiS8_PKS5_SA_S6_PS5_21rocsparse_index_base_b: ; @_ZN9rocsparseL19gebsrmvn_3xn_kernelILj128ELj1ELj16E21rocsparse_complex_numIfEEEvi20rocsparse_direction_NS_24const_host_device_scalarIT2_EEPKiS8_PKS5_SA_S6_PS5_21rocsparse_index_base_b
; %bb.0:
	s_load_dwordx2 s[12:13], s[0:1], 0x40
	s_load_dwordx2 s[8:9], s[0:1], 0x8
	;; [unrolled: 1-line block ×3, first 2 shown]
	s_waitcnt lgkmcnt(0)
	s_bitcmp1_b32 s13, 0
	s_cselect_b64 s[4:5], -1, 0
	s_xor_b64 s[10:11], s[4:5], -1
	s_and_b64 vcc, exec, s[4:5]
	v_mov_b32_e32 v2, s8
	s_cbranch_vccnz .LBB76_2
; %bb.1:
	v_mov_b64_e32 v[2:3], s[8:9]
	flat_load_dword v2, v[2:3]
.LBB76_2:
	v_cndmask_b32_e64 v1, 0, 1, s[10:11]
	v_cmp_ne_u32_e64 s[4:5], 1, v1
	s_andn2_b64 vcc, exec, s[10:11]
	v_mov_b32_e32 v3, s9
	s_cbranch_vccz .LBB76_16
; %bb.3:
	s_and_b64 vcc, exec, s[4:5]
	v_mov_b32_e32 v4, s6
	s_cbranch_vccz .LBB76_17
.LBB76_4:
	s_and_b64 vcc, exec, s[4:5]
	v_mov_b32_e32 v5, s7
	s_cbranch_vccnz .LBB76_6
.LBB76_5:
	v_mov_b64_e32 v[6:7], s[6:7]
	flat_load_dword v5, v[6:7] offset:4
.LBB76_6:
	s_waitcnt vmcnt(0) lgkmcnt(0)
	v_and_b32_e32 v1, 0x7fffffff, v2
	v_cmp_eq_u32_e32 vcc, 0, v1
	v_cmp_eq_f32_e64 s[4:5], 0, v3
	s_and_b64 s[8:9], vcc, s[4:5]
	s_mov_b64 s[4:5], -1
	s_and_saveexec_b64 s[6:7], s[8:9]
; %bb.7:
	v_and_b32_e32 v1, 0x7fffffff, v5
	v_cmp_neq_f32_e32 vcc, 1.0, v4
	v_cmp_ne_u32_e64 s[4:5], 0, v1
	s_or_b64 s[4:5], vcc, s[4:5]
	s_orn2_b64 s[4:5], s[4:5], exec
; %bb.8:
	s_or_b64 exec, exec, s[6:7]
	s_and_saveexec_b64 s[6:7], s[4:5]
	s_cbranch_execz .LBB76_29
; %bb.9:
	s_load_dwordx2 s[14:15], s[0:1], 0x0
	v_lshrrev_b32_e32 v1, 4, v0
	v_lshl_or_b32 v6, s2, 3, v1
	s_waitcnt lgkmcnt(0)
	v_cmp_gt_i32_e32 vcc, s14, v6
	s_and_b64 exec, exec, vcc
	s_cbranch_execz .LBB76_29
; %bb.10:
	s_load_dwordx8 s[4:11], s[0:1], 0x10
	v_ashrrev_i32_e32 v7, 31, v6
	s_cmp_lg_u32 s15, 0
	s_waitcnt lgkmcnt(0)
	v_lshl_add_u64 v[8:9], v[6:7], 2, s[4:5]
	global_load_dwordx2 v[8:9], v[8:9], off
	v_and_b32_e32 v7, 15, v0
	s_waitcnt vmcnt(0)
	v_subrev_u32_e32 v0, s12, v8
	v_subrev_u32_e32 v18, s12, v9
	v_add_u32_e32 v12, v0, v7
	v_cmp_lt_i32_e64 s[2:3], v12, v18
	s_cbranch_scc0 .LBB76_18
; %bb.11:
	v_mov_b32_e32 v11, 0
	v_mov_b32_e32 v10, v11
	v_mov_b32_e32 v1, v11
	v_mov_b32_e32 v0, v11
	v_mov_b32_e32 v9, v11
	v_mov_b32_e32 v8, v11
	s_and_saveexec_b64 s[4:5], s[2:3]
	s_cbranch_execz .LBB76_15
; %bb.12:
	v_mov_b32_e32 v15, 0
	v_lshl_add_u32 v14, v12, 1, v12
	s_mov_b64 s[14:15], 0
	v_mov_b32_e32 v16, v12
	v_mov_b32_e32 v8, v15
	v_mov_b32_e32 v9, v15
	v_mov_b32_e32 v0, v15
	v_mov_b32_e32 v1, v15
	v_mov_b32_e32 v10, v15
	v_mov_b32_e32 v11, v15
.LBB76_13:                              ; =>This Inner Loop Header: Depth=1
	v_ashrrev_i32_e32 v17, 31, v16
	v_lshl_add_u64 v[20:21], v[16:17], 2, s[6:7]
	global_load_dword v13, v[20:21], off
	v_mov_b32_e32 v23, v15
	v_add_u32_e32 v24, 1, v14
	v_mov_b32_e32 v25, v15
	v_lshl_add_u64 v[20:21], v[14:15], 3, s[8:9]
	v_add_u32_e32 v26, 2, v14
	v_mov_b32_e32 v27, v15
	v_lshl_add_u64 v[24:25], v[24:25], 3, s[8:9]
	global_load_dwordx2 v[20:21], v[20:21], off
	v_lshl_add_u64 v[26:27], v[26:27], 3, s[8:9]
	global_load_dwordx2 v[28:29], v[24:25], off
	global_load_dwordx2 v[30:31], v[26:27], off
	v_add_u32_e32 v16, 16, v16
	v_cmp_ge_i32_e32 vcc, v16, v18
	v_add_u32_e32 v14, 48, v14
	s_or_b64 s[14:15], vcc, s[14:15]
	s_waitcnt vmcnt(3)
	v_subrev_u32_e32 v22, s12, v13
	v_lshl_add_u64 v[22:23], v[22:23], 3, s[10:11]
	global_load_dwordx2 v[22:23], v[22:23], off
	s_waitcnt vmcnt(0)
	v_pk_fma_f32 v[10:11], v[20:21], v[22:23], v[10:11] op_sel_hi:[1,0,1]
	v_pk_fma_f32 v[8:9], v[28:29], v[22:23], v[8:9] op_sel_hi:[1,0,1]
	;; [unrolled: 1-line block ×3, first 2 shown]
	v_pk_fma_f32 v[10:11], v[20:21], v[22:23], v[10:11] op_sel:[1,1,0] op_sel_hi:[0,1,1] neg_lo:[1,0,0]
	v_pk_fma_f32 v[8:9], v[28:29], v[22:23], v[8:9] op_sel:[1,1,0] op_sel_hi:[0,1,1] neg_lo:[1,0,0]
	;; [unrolled: 1-line block ×3, first 2 shown]
	s_andn2_b64 exec, exec, s[14:15]
	s_cbranch_execnz .LBB76_13
; %bb.14:
	s_or_b64 exec, exec, s[14:15]
.LBB76_15:
	s_or_b64 exec, exec, s[4:5]
	s_cbranch_execz .LBB76_19
	s_branch .LBB76_24
.LBB76_16:
	v_mov_b64_e32 v[4:5], s[8:9]
	flat_load_dword v3, v[4:5] offset:4
	s_and_b64 vcc, exec, s[4:5]
	v_mov_b32_e32 v4, s6
	s_cbranch_vccnz .LBB76_4
.LBB76_17:
	v_mov_b64_e32 v[4:5], s[6:7]
	flat_load_dword v4, v[4:5]
	s_and_b64 vcc, exec, s[4:5]
	v_mov_b32_e32 v5, s7
	s_cbranch_vccz .LBB76_5
	s_branch .LBB76_6
.LBB76_18:
                                        ; implicit-def: $vgpr11
                                        ; implicit-def: $vgpr1
                                        ; implicit-def: $vgpr9
.LBB76_19:
	v_mov_b32_e32 v11, 0
	v_mov_b32_e32 v10, v11
	v_mov_b32_e32 v1, v11
	v_mov_b32_e32 v0, v11
	v_mov_b32_e32 v9, v11
	v_mov_b32_e32 v8, v11
	s_and_saveexec_b64 s[4:5], s[2:3]
	s_cbranch_execz .LBB76_23
; %bb.20:
	v_mov_b32_e32 v15, 0
	v_lshl_add_u32 v14, v12, 1, v12
	s_mov_b64 s[2:3], 0
	v_mov_b32_e32 v8, v15
	v_mov_b32_e32 v9, v15
	;; [unrolled: 1-line block ×6, first 2 shown]
.LBB76_21:                              ; =>This Inner Loop Header: Depth=1
	v_ashrrev_i32_e32 v13, 31, v12
	v_lshl_add_u64 v[16:17], v[12:13], 2, s[6:7]
	global_load_dword v13, v[16:17], off
	v_mov_b32_e32 v21, v15
	v_add_u32_e32 v22, 1, v14
	v_mov_b32_e32 v23, v15
	v_lshl_add_u64 v[16:17], v[14:15], 3, s[8:9]
	v_add_u32_e32 v24, 2, v14
	v_mov_b32_e32 v25, v15
	v_lshl_add_u64 v[22:23], v[22:23], 3, s[8:9]
	global_load_dwordx2 v[16:17], v[16:17], off
	v_lshl_add_u64 v[24:25], v[24:25], 3, s[8:9]
	global_load_dwordx2 v[26:27], v[22:23], off
	global_load_dwordx2 v[28:29], v[24:25], off
	v_add_u32_e32 v12, 16, v12
	v_cmp_ge_i32_e32 vcc, v12, v18
	v_add_u32_e32 v14, 48, v14
	s_or_b64 s[2:3], vcc, s[2:3]
	s_waitcnt vmcnt(3)
	v_subrev_u32_e32 v20, s12, v13
	v_lshl_add_u64 v[20:21], v[20:21], 3, s[10:11]
	global_load_dwordx2 v[20:21], v[20:21], off
	s_waitcnt vmcnt(0)
	v_pk_fma_f32 v[10:11], v[16:17], v[20:21], v[10:11] op_sel_hi:[1,0,1]
	v_pk_fma_f32 v[8:9], v[26:27], v[20:21], v[8:9] op_sel_hi:[1,0,1]
	;; [unrolled: 1-line block ×3, first 2 shown]
	v_pk_fma_f32 v[10:11], v[16:17], v[20:21], v[10:11] op_sel:[1,1,0] op_sel_hi:[0,1,1] neg_lo:[1,0,0]
	v_pk_fma_f32 v[8:9], v[26:27], v[20:21], v[8:9] op_sel:[1,1,0] op_sel_hi:[0,1,1] neg_lo:[1,0,0]
	;; [unrolled: 1-line block ×3, first 2 shown]
	s_andn2_b64 exec, exec, s[2:3]
	s_cbranch_execnz .LBB76_21
; %bb.22:
	s_or_b64 exec, exec, s[2:3]
.LBB76_23:
	s_or_b64 exec, exec, s[4:5]
.LBB76_24:
	v_mov_b32_dpp v16, v0 row_shr:1 row_mask:0xf bank_mask:0xf
	v_add_f32_e32 v0, v0, v16
	v_mov_b32_dpp v12, v10 row_shr:1 row_mask:0xf bank_mask:0xf
	v_mov_b32_dpp v13, v11 row_shr:1 row_mask:0xf bank_mask:0xf
	;; [unrolled: 1-line block ×3, first 2 shown]
	v_add_f32_e32 v0, v0, v16
	v_mov_b32_dpp v14, v8 row_shr:1 row_mask:0xf bank_mask:0xf
	v_mov_b32_dpp v15, v9 row_shr:1 row_mask:0xf bank_mask:0xf
	;; [unrolled: 1-line block ×3, first 2 shown]
	v_add_f32_e32 v0, v0, v16
	v_add_f32_e32 v10, v10, v12
	v_mov_b32_dpp v16, v1 row_shr:1 row_mask:0xf bank_mask:0xf
	v_add_f32_e32 v11, v11, v13
	v_add_f32_e32 v8, v8, v14
	;; [unrolled: 1-line block ×4, first 2 shown]
	v_mov_b32_dpp v12, v10 row_shr:2 row_mask:0xf bank_mask:0xf
	v_mov_b32_dpp v13, v11 row_shr:2 row_mask:0xf bank_mask:0xf
	;; [unrolled: 1-line block ×5, first 2 shown]
	v_add_f32_e32 v10, v10, v12
	v_add_f32_e32 v11, v11, v13
	;; [unrolled: 1-line block ×5, first 2 shown]
	v_mov_b32_dpp v12, v10 row_shr:4 row_mask:0xf bank_mask:0xe
	v_mov_b32_dpp v13, v11 row_shr:4 row_mask:0xf bank_mask:0xe
	;; [unrolled: 1-line block ×5, first 2 shown]
	v_add_f32_e32 v10, v10, v12
	v_add_f32_e32 v11, v11, v13
	;; [unrolled: 1-line block ×5, first 2 shown]
	v_mov_b32_dpp v12, v10 row_shr:8 row_mask:0xf bank_mask:0xc
	v_mov_b32_dpp v13, v11 row_shr:8 row_mask:0xf bank_mask:0xc
	v_mov_b32_dpp v14, v8 row_shr:8 row_mask:0xf bank_mask:0xc
	v_mov_b32_dpp v15, v9 row_shr:8 row_mask:0xf bank_mask:0xc
	v_mov_b32_dpp v17, v0 row_shr:8 row_mask:0xf bank_mask:0xc
	v_mov_b32_dpp v18, v1 row_shr:8 row_mask:0xf bank_mask:0xc
	v_cmp_eq_u32_e32 vcc, 15, v7
	s_and_b64 exec, exec, vcc
	s_cbranch_execz .LBB76_29
; %bb.25:
	s_load_dwordx2 s[2:3], s[0:1], 0x38
	v_add_f32_e32 v12, v10, v12
	v_add_f32_e32 v10, v8, v14
	;; [unrolled: 1-line block ×3, first 2 shown]
	v_and_b32_e32 v1, 0x7fffffff, v4
	v_cmp_eq_u32_e32 vcc, 0, v1
	v_cmp_eq_f32_e64 s[0:1], 0, v5
	v_add_f32_e32 v16, v11, v13
	v_add_f32_e32 v14, v9, v15
	;; [unrolled: 1-line block ×3, first 2 shown]
	s_and_b64 s[0:1], vcc, s[0:1]
	s_and_saveexec_b64 s[4:5], s[0:1]
	s_xor_b64 s[0:1], exec, s[4:5]
	s_cbranch_execz .LBB76_27
; %bb.26:
	v_lshl_add_u32 v4, v6, 1, v6
	v_xor_b32_e32 v18, 0x80000000, v3
	v_ashrrev_i32_e32 v5, 31, v4
	v_mov_b32_e32 v19, v2
	s_waitcnt lgkmcnt(0)
	v_lshl_add_u64 v[20:21], v[4:5], 3, s[2:3]
	v_pk_mul_f32 v[4:5], v[16:17], v[18:19] op_sel_hi:[0,1]
	v_pk_mul_f32 v[6:7], v[14:15], v[18:19] op_sel_hi:[0,1]
	v_pk_fma_f32 v[4:5], v[2:3], v[12:13], v[4:5] op_sel_hi:[1,0,1]
	v_pk_fma_f32 v[6:7], v[2:3], v[10:11], v[6:7] op_sel_hi:[1,0,1]
	global_store_dwordx4 v[20:21], v[4:7], off
                                        ; implicit-def: $vgpr6
                                        ; implicit-def: $vgpr12
                                        ; implicit-def: $vgpr16
                                        ; implicit-def: $vgpr10
                                        ; implicit-def: $vgpr14
	s_nop 1
	v_pk_mul_f32 v[4:5], v[8:9], v[18:19] op_sel_hi:[0,1]
	v_pk_fma_f32 v[0:1], v[2:3], v[0:1], v[4:5] op_sel_hi:[1,0,1]
	global_store_dwordx2 v[20:21], v[0:1], off offset:16
                                        ; implicit-def: $vgpr3
                                        ; implicit-def: $vgpr4
                                        ; implicit-def: $vgpr0
                                        ; implicit-def: $vgpr8
.LBB76_27:
	s_andn2_saveexec_b64 s[0:1], s[0:1]
	s_cbranch_execz .LBB76_29
; %bb.28:
	v_lshl_add_u32 v6, v6, 1, v6
	v_ashrrev_i32_e32 v7, 31, v6
	s_waitcnt lgkmcnt(0)
	v_lshl_add_u64 v[6:7], v[6:7], 3, s[2:3]
	global_load_dwordx4 v[18:21], v[6:7], off
	global_load_dwordx2 v[22:23], v[6:7], off offset:16
	v_xor_b32_e32 v24, 0x80000000, v3
	v_mov_b32_e32 v25, v2
	v_pk_mul_f32 v[16:17], v[16:17], v[24:25] op_sel_hi:[0,1]
	v_pk_mul_f32 v[14:15], v[14:15], v[24:25] op_sel_hi:[0,1]
	;; [unrolled: 1-line block ×3, first 2 shown]
	v_pk_fma_f32 v[12:13], v[2:3], v[12:13], v[16:17] op_sel_hi:[1,0,1]
	v_pk_fma_f32 v[10:11], v[2:3], v[10:11], v[14:15] op_sel_hi:[1,0,1]
	v_xor_b32_e32 v26, 0x80000000, v5
	v_mov_b32_e32 v27, v4
	v_pk_fma_f32 v[0:1], v[2:3], v[0:1], v[8:9] op_sel_hi:[1,0,1]
	s_waitcnt vmcnt(1)
	v_pk_fma_f32 v[2:3], v[4:5], v[18:19], v[12:13] op_sel_hi:[1,0,1]
	v_pk_fma_f32 v[8:9], v[4:5], v[20:21], v[10:11] op_sel_hi:[1,0,1]
	v_mov_b32_e32 v10, v21
	s_waitcnt vmcnt(0)
	v_pk_fma_f32 v[4:5], v[4:5], v[22:23], v[0:1] op_sel_hi:[1,0,1]
	v_pk_fma_f32 v[0:1], v[26:27], v[18:19], v[2:3] op_sel:[0,1,0]
	v_pk_fma_f32 v[2:3], v[26:27], v[10:11], v[8:9] op_sel_hi:[1,0,1]
	v_pk_fma_f32 v[4:5], v[26:27], v[22:23], v[4:5] op_sel:[0,1,0]
	global_store_dwordx4 v[6:7], v[0:3], off
	global_store_dwordx2 v[6:7], v[4:5], off offset:16
.LBB76_29:
	s_endpgm
	.section	.rodata,"a",@progbits
	.p2align	6, 0x0
	.amdhsa_kernel _ZN9rocsparseL19gebsrmvn_3xn_kernelILj128ELj1ELj16E21rocsparse_complex_numIfEEEvi20rocsparse_direction_NS_24const_host_device_scalarIT2_EEPKiS8_PKS5_SA_S6_PS5_21rocsparse_index_base_b
		.amdhsa_group_segment_fixed_size 0
		.amdhsa_private_segment_fixed_size 0
		.amdhsa_kernarg_size 72
		.amdhsa_user_sgpr_count 2
		.amdhsa_user_sgpr_dispatch_ptr 0
		.amdhsa_user_sgpr_queue_ptr 0
		.amdhsa_user_sgpr_kernarg_segment_ptr 1
		.amdhsa_user_sgpr_dispatch_id 0
		.amdhsa_user_sgpr_kernarg_preload_length 0
		.amdhsa_user_sgpr_kernarg_preload_offset 0
		.amdhsa_user_sgpr_private_segment_size 0
		.amdhsa_uses_dynamic_stack 0
		.amdhsa_enable_private_segment 0
		.amdhsa_system_sgpr_workgroup_id_x 1
		.amdhsa_system_sgpr_workgroup_id_y 0
		.amdhsa_system_sgpr_workgroup_id_z 0
		.amdhsa_system_sgpr_workgroup_info 0
		.amdhsa_system_vgpr_workitem_id 0
		.amdhsa_next_free_vgpr 32
		.amdhsa_next_free_sgpr 16
		.amdhsa_accum_offset 32
		.amdhsa_reserve_vcc 1
		.amdhsa_float_round_mode_32 0
		.amdhsa_float_round_mode_16_64 0
		.amdhsa_float_denorm_mode_32 3
		.amdhsa_float_denorm_mode_16_64 3
		.amdhsa_dx10_clamp 1
		.amdhsa_ieee_mode 1
		.amdhsa_fp16_overflow 0
		.amdhsa_tg_split 0
		.amdhsa_exception_fp_ieee_invalid_op 0
		.amdhsa_exception_fp_denorm_src 0
		.amdhsa_exception_fp_ieee_div_zero 0
		.amdhsa_exception_fp_ieee_overflow 0
		.amdhsa_exception_fp_ieee_underflow 0
		.amdhsa_exception_fp_ieee_inexact 0
		.amdhsa_exception_int_div_zero 0
	.end_amdhsa_kernel
	.section	.text._ZN9rocsparseL19gebsrmvn_3xn_kernelILj128ELj1ELj16E21rocsparse_complex_numIfEEEvi20rocsparse_direction_NS_24const_host_device_scalarIT2_EEPKiS8_PKS5_SA_S6_PS5_21rocsparse_index_base_b,"axG",@progbits,_ZN9rocsparseL19gebsrmvn_3xn_kernelILj128ELj1ELj16E21rocsparse_complex_numIfEEEvi20rocsparse_direction_NS_24const_host_device_scalarIT2_EEPKiS8_PKS5_SA_S6_PS5_21rocsparse_index_base_b,comdat
.Lfunc_end76:
	.size	_ZN9rocsparseL19gebsrmvn_3xn_kernelILj128ELj1ELj16E21rocsparse_complex_numIfEEEvi20rocsparse_direction_NS_24const_host_device_scalarIT2_EEPKiS8_PKS5_SA_S6_PS5_21rocsparse_index_base_b, .Lfunc_end76-_ZN9rocsparseL19gebsrmvn_3xn_kernelILj128ELj1ELj16E21rocsparse_complex_numIfEEEvi20rocsparse_direction_NS_24const_host_device_scalarIT2_EEPKiS8_PKS5_SA_S6_PS5_21rocsparse_index_base_b
                                        ; -- End function
	.section	.AMDGPU.csdata,"",@progbits
; Kernel info:
; codeLenInByte = 1556
; NumSgprs: 22
; NumVgprs: 32
; NumAgprs: 0
; TotalNumVgprs: 32
; ScratchSize: 0
; MemoryBound: 0
; FloatMode: 240
; IeeeMode: 1
; LDSByteSize: 0 bytes/workgroup (compile time only)
; SGPRBlocks: 2
; VGPRBlocks: 3
; NumSGPRsForWavesPerEU: 22
; NumVGPRsForWavesPerEU: 32
; AccumOffset: 32
; Occupancy: 8
; WaveLimiterHint : 1
; COMPUTE_PGM_RSRC2:SCRATCH_EN: 0
; COMPUTE_PGM_RSRC2:USER_SGPR: 2
; COMPUTE_PGM_RSRC2:TRAP_HANDLER: 0
; COMPUTE_PGM_RSRC2:TGID_X_EN: 1
; COMPUTE_PGM_RSRC2:TGID_Y_EN: 0
; COMPUTE_PGM_RSRC2:TGID_Z_EN: 0
; COMPUTE_PGM_RSRC2:TIDIG_COMP_CNT: 0
; COMPUTE_PGM_RSRC3_GFX90A:ACCUM_OFFSET: 7
; COMPUTE_PGM_RSRC3_GFX90A:TG_SPLIT: 0
	.section	.text._ZN9rocsparseL19gebsrmvn_3xn_kernelILj128ELj1ELj32E21rocsparse_complex_numIfEEEvi20rocsparse_direction_NS_24const_host_device_scalarIT2_EEPKiS8_PKS5_SA_S6_PS5_21rocsparse_index_base_b,"axG",@progbits,_ZN9rocsparseL19gebsrmvn_3xn_kernelILj128ELj1ELj32E21rocsparse_complex_numIfEEEvi20rocsparse_direction_NS_24const_host_device_scalarIT2_EEPKiS8_PKS5_SA_S6_PS5_21rocsparse_index_base_b,comdat
	.globl	_ZN9rocsparseL19gebsrmvn_3xn_kernelILj128ELj1ELj32E21rocsparse_complex_numIfEEEvi20rocsparse_direction_NS_24const_host_device_scalarIT2_EEPKiS8_PKS5_SA_S6_PS5_21rocsparse_index_base_b ; -- Begin function _ZN9rocsparseL19gebsrmvn_3xn_kernelILj128ELj1ELj32E21rocsparse_complex_numIfEEEvi20rocsparse_direction_NS_24const_host_device_scalarIT2_EEPKiS8_PKS5_SA_S6_PS5_21rocsparse_index_base_b
	.p2align	8
	.type	_ZN9rocsparseL19gebsrmvn_3xn_kernelILj128ELj1ELj32E21rocsparse_complex_numIfEEEvi20rocsparse_direction_NS_24const_host_device_scalarIT2_EEPKiS8_PKS5_SA_S6_PS5_21rocsparse_index_base_b,@function
_ZN9rocsparseL19gebsrmvn_3xn_kernelILj128ELj1ELj32E21rocsparse_complex_numIfEEEvi20rocsparse_direction_NS_24const_host_device_scalarIT2_EEPKiS8_PKS5_SA_S6_PS5_21rocsparse_index_base_b: ; @_ZN9rocsparseL19gebsrmvn_3xn_kernelILj128ELj1ELj32E21rocsparse_complex_numIfEEEvi20rocsparse_direction_NS_24const_host_device_scalarIT2_EEPKiS8_PKS5_SA_S6_PS5_21rocsparse_index_base_b
; %bb.0:
	s_load_dwordx2 s[12:13], s[0:1], 0x40
	s_load_dwordx2 s[8:9], s[0:1], 0x8
	;; [unrolled: 1-line block ×3, first 2 shown]
	s_waitcnt lgkmcnt(0)
	s_bitcmp1_b32 s13, 0
	s_cselect_b64 s[4:5], -1, 0
	s_xor_b64 s[10:11], s[4:5], -1
	s_and_b64 vcc, exec, s[4:5]
	v_mov_b32_e32 v2, s8
	s_cbranch_vccnz .LBB77_2
; %bb.1:
	v_mov_b64_e32 v[2:3], s[8:9]
	flat_load_dword v2, v[2:3]
.LBB77_2:
	v_cndmask_b32_e64 v1, 0, 1, s[10:11]
	v_cmp_ne_u32_e64 s[4:5], 1, v1
	s_andn2_b64 vcc, exec, s[10:11]
	v_mov_b32_e32 v3, s9
	s_cbranch_vccz .LBB77_16
; %bb.3:
	s_and_b64 vcc, exec, s[4:5]
	v_mov_b32_e32 v4, s6
	s_cbranch_vccz .LBB77_17
.LBB77_4:
	s_and_b64 vcc, exec, s[4:5]
	v_mov_b32_e32 v5, s7
	s_cbranch_vccnz .LBB77_6
.LBB77_5:
	v_mov_b64_e32 v[6:7], s[6:7]
	flat_load_dword v5, v[6:7] offset:4
.LBB77_6:
	s_waitcnt vmcnt(0) lgkmcnt(0)
	v_and_b32_e32 v1, 0x7fffffff, v2
	v_cmp_eq_u32_e32 vcc, 0, v1
	v_cmp_eq_f32_e64 s[4:5], 0, v3
	s_and_b64 s[8:9], vcc, s[4:5]
	s_mov_b64 s[4:5], -1
	s_and_saveexec_b64 s[6:7], s[8:9]
; %bb.7:
	v_and_b32_e32 v1, 0x7fffffff, v5
	v_cmp_neq_f32_e32 vcc, 1.0, v4
	v_cmp_ne_u32_e64 s[4:5], 0, v1
	s_or_b64 s[4:5], vcc, s[4:5]
	s_orn2_b64 s[4:5], s[4:5], exec
; %bb.8:
	s_or_b64 exec, exec, s[6:7]
	s_and_saveexec_b64 s[6:7], s[4:5]
	s_cbranch_execz .LBB77_29
; %bb.9:
	s_load_dwordx2 s[14:15], s[0:1], 0x0
	v_lshrrev_b32_e32 v1, 5, v0
	v_lshl_or_b32 v6, s2, 2, v1
	s_waitcnt lgkmcnt(0)
	v_cmp_gt_i32_e32 vcc, s14, v6
	s_and_b64 exec, exec, vcc
	s_cbranch_execz .LBB77_29
; %bb.10:
	s_load_dwordx8 s[4:11], s[0:1], 0x10
	v_ashrrev_i32_e32 v7, 31, v6
	s_cmp_lg_u32 s15, 0
	s_waitcnt lgkmcnt(0)
	v_lshl_add_u64 v[8:9], v[6:7], 2, s[4:5]
	global_load_dwordx2 v[8:9], v[8:9], off
	v_and_b32_e32 v7, 31, v0
	s_waitcnt vmcnt(0)
	v_subrev_u32_e32 v0, s12, v8
	v_subrev_u32_e32 v18, s12, v9
	v_add_u32_e32 v12, v0, v7
	v_cmp_lt_i32_e64 s[2:3], v12, v18
	s_cbranch_scc0 .LBB77_18
; %bb.11:
	v_mov_b32_e32 v11, 0
	v_mov_b32_e32 v10, v11
	v_mov_b32_e32 v1, v11
	v_mov_b32_e32 v0, v11
	v_mov_b32_e32 v9, v11
	v_mov_b32_e32 v8, v11
	s_and_saveexec_b64 s[4:5], s[2:3]
	s_cbranch_execz .LBB77_15
; %bb.12:
	v_mov_b32_e32 v15, 0
	v_lshl_add_u32 v14, v12, 1, v12
	s_mov_b64 s[14:15], 0
	v_mov_b32_e32 v16, v12
	v_mov_b32_e32 v8, v15
	;; [unrolled: 1-line block ×7, first 2 shown]
.LBB77_13:                              ; =>This Inner Loop Header: Depth=1
	v_ashrrev_i32_e32 v17, 31, v16
	v_lshl_add_u64 v[20:21], v[16:17], 2, s[6:7]
	global_load_dword v13, v[20:21], off
	v_mov_b32_e32 v23, v15
	v_add_u32_e32 v24, 1, v14
	v_mov_b32_e32 v25, v15
	v_lshl_add_u64 v[20:21], v[14:15], 3, s[8:9]
	v_add_u32_e32 v26, 2, v14
	v_mov_b32_e32 v27, v15
	v_lshl_add_u64 v[24:25], v[24:25], 3, s[8:9]
	global_load_dwordx2 v[20:21], v[20:21], off
	v_lshl_add_u64 v[26:27], v[26:27], 3, s[8:9]
	global_load_dwordx2 v[28:29], v[24:25], off
	global_load_dwordx2 v[30:31], v[26:27], off
	v_add_u32_e32 v16, 32, v16
	v_cmp_ge_i32_e32 vcc, v16, v18
	v_add_u32_e32 v14, 0x60, v14
	s_or_b64 s[14:15], vcc, s[14:15]
	s_waitcnt vmcnt(3)
	v_subrev_u32_e32 v22, s12, v13
	v_lshl_add_u64 v[22:23], v[22:23], 3, s[10:11]
	global_load_dwordx2 v[22:23], v[22:23], off
	s_waitcnt vmcnt(0)
	v_pk_fma_f32 v[10:11], v[20:21], v[22:23], v[10:11] op_sel_hi:[1,0,1]
	v_pk_fma_f32 v[8:9], v[28:29], v[22:23], v[8:9] op_sel_hi:[1,0,1]
	v_pk_fma_f32 v[0:1], v[30:31], v[22:23], v[0:1] op_sel_hi:[1,0,1]
	v_pk_fma_f32 v[10:11], v[20:21], v[22:23], v[10:11] op_sel:[1,1,0] op_sel_hi:[0,1,1] neg_lo:[1,0,0]
	v_pk_fma_f32 v[8:9], v[28:29], v[22:23], v[8:9] op_sel:[1,1,0] op_sel_hi:[0,1,1] neg_lo:[1,0,0]
	;; [unrolled: 1-line block ×3, first 2 shown]
	s_andn2_b64 exec, exec, s[14:15]
	s_cbranch_execnz .LBB77_13
; %bb.14:
	s_or_b64 exec, exec, s[14:15]
.LBB77_15:
	s_or_b64 exec, exec, s[4:5]
	s_cbranch_execz .LBB77_19
	s_branch .LBB77_24
.LBB77_16:
	v_mov_b64_e32 v[4:5], s[8:9]
	flat_load_dword v3, v[4:5] offset:4
	s_and_b64 vcc, exec, s[4:5]
	v_mov_b32_e32 v4, s6
	s_cbranch_vccnz .LBB77_4
.LBB77_17:
	v_mov_b64_e32 v[4:5], s[6:7]
	flat_load_dword v4, v[4:5]
	s_and_b64 vcc, exec, s[4:5]
	v_mov_b32_e32 v5, s7
	s_cbranch_vccz .LBB77_5
	s_branch .LBB77_6
.LBB77_18:
                                        ; implicit-def: $vgpr11
                                        ; implicit-def: $vgpr1
                                        ; implicit-def: $vgpr9
.LBB77_19:
	v_mov_b32_e32 v11, 0
	v_mov_b32_e32 v10, v11
	;; [unrolled: 1-line block ×6, first 2 shown]
	s_and_saveexec_b64 s[4:5], s[2:3]
	s_cbranch_execz .LBB77_23
; %bb.20:
	v_mov_b32_e32 v15, 0
	v_lshl_add_u32 v14, v12, 1, v12
	s_mov_b64 s[2:3], 0
	v_mov_b32_e32 v8, v15
	v_mov_b32_e32 v9, v15
	;; [unrolled: 1-line block ×6, first 2 shown]
.LBB77_21:                              ; =>This Inner Loop Header: Depth=1
	v_ashrrev_i32_e32 v13, 31, v12
	v_lshl_add_u64 v[16:17], v[12:13], 2, s[6:7]
	global_load_dword v13, v[16:17], off
	v_mov_b32_e32 v21, v15
	v_add_u32_e32 v22, 1, v14
	v_mov_b32_e32 v23, v15
	v_lshl_add_u64 v[16:17], v[14:15], 3, s[8:9]
	v_add_u32_e32 v24, 2, v14
	v_mov_b32_e32 v25, v15
	v_lshl_add_u64 v[22:23], v[22:23], 3, s[8:9]
	global_load_dwordx2 v[16:17], v[16:17], off
	v_lshl_add_u64 v[24:25], v[24:25], 3, s[8:9]
	global_load_dwordx2 v[26:27], v[22:23], off
	global_load_dwordx2 v[28:29], v[24:25], off
	v_add_u32_e32 v12, 32, v12
	v_cmp_ge_i32_e32 vcc, v12, v18
	v_add_u32_e32 v14, 0x60, v14
	s_or_b64 s[2:3], vcc, s[2:3]
	s_waitcnt vmcnt(3)
	v_subrev_u32_e32 v20, s12, v13
	v_lshl_add_u64 v[20:21], v[20:21], 3, s[10:11]
	global_load_dwordx2 v[20:21], v[20:21], off
	s_waitcnt vmcnt(0)
	v_pk_fma_f32 v[10:11], v[16:17], v[20:21], v[10:11] op_sel_hi:[1,0,1]
	v_pk_fma_f32 v[8:9], v[26:27], v[20:21], v[8:9] op_sel_hi:[1,0,1]
	;; [unrolled: 1-line block ×3, first 2 shown]
	v_pk_fma_f32 v[10:11], v[16:17], v[20:21], v[10:11] op_sel:[1,1,0] op_sel_hi:[0,1,1] neg_lo:[1,0,0]
	v_pk_fma_f32 v[8:9], v[26:27], v[20:21], v[8:9] op_sel:[1,1,0] op_sel_hi:[0,1,1] neg_lo:[1,0,0]
	;; [unrolled: 1-line block ×3, first 2 shown]
	s_andn2_b64 exec, exec, s[2:3]
	s_cbranch_execnz .LBB77_21
; %bb.22:
	s_or_b64 exec, exec, s[2:3]
.LBB77_23:
	s_or_b64 exec, exec, s[4:5]
.LBB77_24:
	v_mov_b32_dpp v16, v0 row_shr:1 row_mask:0xf bank_mask:0xf
	v_add_f32_e32 v0, v0, v16
	v_mov_b32_dpp v12, v10 row_shr:1 row_mask:0xf bank_mask:0xf
	v_mov_b32_dpp v13, v11 row_shr:1 row_mask:0xf bank_mask:0xf
	;; [unrolled: 1-line block ×3, first 2 shown]
	v_add_f32_e32 v0, v0, v16
	v_mov_b32_dpp v14, v8 row_shr:1 row_mask:0xf bank_mask:0xf
	v_mov_b32_dpp v15, v9 row_shr:1 row_mask:0xf bank_mask:0xf
	;; [unrolled: 1-line block ×3, first 2 shown]
	v_add_f32_e32 v0, v0, v16
	v_add_f32_e32 v10, v10, v12
	;; [unrolled: 1-line block ×3, first 2 shown]
	v_mov_b32_dpp v16, v0 row_shr:8 row_mask:0xf bank_mask:0xc
	v_add_f32_e32 v0, v0, v16
	v_add_f32_e32 v8, v8, v14
	v_mov_b32_dpp v16, v1 row_shr:1 row_mask:0xf bank_mask:0xf
	v_add_f32_e32 v9, v9, v15
	v_add_f32_e32 v1, v1, v16
	v_mov_b32_dpp v12, v10 row_shr:2 row_mask:0xf bank_mask:0xf
	v_mov_b32_dpp v13, v11 row_shr:2 row_mask:0xf bank_mask:0xf
	v_mov_b32_dpp v14, v8 row_shr:2 row_mask:0xf bank_mask:0xf
	v_mov_b32_dpp v15, v9 row_shr:2 row_mask:0xf bank_mask:0xf
	v_mov_b32_dpp v16, v1 row_shr:2 row_mask:0xf bank_mask:0xf
	v_add_f32_e32 v10, v10, v12
	v_add_f32_e32 v11, v11, v13
	v_add_f32_e32 v8, v8, v14
	v_add_f32_e32 v9, v9, v15
	v_add_f32_e32 v1, v1, v16
	v_mov_b32_dpp v12, v10 row_shr:4 row_mask:0xf bank_mask:0xe
	v_mov_b32_dpp v13, v11 row_shr:4 row_mask:0xf bank_mask:0xe
	v_mov_b32_dpp v14, v8 row_shr:4 row_mask:0xf bank_mask:0xe
	v_mov_b32_dpp v15, v9 row_shr:4 row_mask:0xf bank_mask:0xe
	v_mov_b32_dpp v16, v1 row_shr:4 row_mask:0xf bank_mask:0xe
	v_add_f32_e32 v10, v10, v12
	v_add_f32_e32 v11, v11, v13
	v_add_f32_e32 v8, v8, v14
	;; [unrolled: 10-line block ×3, first 2 shown]
	v_add_f32_e32 v9, v9, v15
	v_add_f32_e32 v1, v1, v16
	v_mov_b32_dpp v12, v10 row_bcast:15 row_mask:0xa bank_mask:0xf
	v_mov_b32_dpp v13, v11 row_bcast:15 row_mask:0xa bank_mask:0xf
	;; [unrolled: 1-line block ×6, first 2 shown]
	v_cmp_eq_u32_e32 vcc, 31, v7
	s_and_b64 exec, exec, vcc
	s_cbranch_execz .LBB77_29
; %bb.25:
	s_load_dwordx2 s[2:3], s[0:1], 0x38
	v_add_f32_e32 v12, v10, v12
	v_add_f32_e32 v10, v8, v14
	;; [unrolled: 1-line block ×3, first 2 shown]
	v_and_b32_e32 v1, 0x7fffffff, v4
	v_cmp_eq_u32_e32 vcc, 0, v1
	v_cmp_eq_f32_e64 s[0:1], 0, v5
	v_add_f32_e32 v16, v11, v13
	v_add_f32_e32 v14, v9, v15
	;; [unrolled: 1-line block ×3, first 2 shown]
	s_and_b64 s[0:1], vcc, s[0:1]
	s_and_saveexec_b64 s[4:5], s[0:1]
	s_xor_b64 s[0:1], exec, s[4:5]
	s_cbranch_execz .LBB77_27
; %bb.26:
	v_lshl_add_u32 v4, v6, 1, v6
	v_xor_b32_e32 v18, 0x80000000, v3
	v_ashrrev_i32_e32 v5, 31, v4
	v_mov_b32_e32 v19, v2
	s_waitcnt lgkmcnt(0)
	v_lshl_add_u64 v[20:21], v[4:5], 3, s[2:3]
	v_pk_mul_f32 v[4:5], v[16:17], v[18:19] op_sel_hi:[0,1]
	v_pk_mul_f32 v[6:7], v[14:15], v[18:19] op_sel_hi:[0,1]
	v_pk_fma_f32 v[4:5], v[2:3], v[12:13], v[4:5] op_sel_hi:[1,0,1]
	v_pk_fma_f32 v[6:7], v[2:3], v[10:11], v[6:7] op_sel_hi:[1,0,1]
	global_store_dwordx4 v[20:21], v[4:7], off
                                        ; implicit-def: $vgpr6
                                        ; implicit-def: $vgpr12
                                        ; implicit-def: $vgpr16
                                        ; implicit-def: $vgpr10
                                        ; implicit-def: $vgpr14
	s_nop 1
	v_pk_mul_f32 v[4:5], v[8:9], v[18:19] op_sel_hi:[0,1]
	v_pk_fma_f32 v[0:1], v[2:3], v[0:1], v[4:5] op_sel_hi:[1,0,1]
	global_store_dwordx2 v[20:21], v[0:1], off offset:16
                                        ; implicit-def: $vgpr3
                                        ; implicit-def: $vgpr4
                                        ; implicit-def: $vgpr0
                                        ; implicit-def: $vgpr8
.LBB77_27:
	s_andn2_saveexec_b64 s[0:1], s[0:1]
	s_cbranch_execz .LBB77_29
; %bb.28:
	v_lshl_add_u32 v6, v6, 1, v6
	v_ashrrev_i32_e32 v7, 31, v6
	s_waitcnt lgkmcnt(0)
	v_lshl_add_u64 v[6:7], v[6:7], 3, s[2:3]
	global_load_dwordx4 v[18:21], v[6:7], off
	global_load_dwordx2 v[22:23], v[6:7], off offset:16
	v_xor_b32_e32 v24, 0x80000000, v3
	v_mov_b32_e32 v25, v2
	v_pk_mul_f32 v[16:17], v[16:17], v[24:25] op_sel_hi:[0,1]
	v_pk_mul_f32 v[14:15], v[14:15], v[24:25] op_sel_hi:[0,1]
	;; [unrolled: 1-line block ×3, first 2 shown]
	v_pk_fma_f32 v[12:13], v[2:3], v[12:13], v[16:17] op_sel_hi:[1,0,1]
	v_pk_fma_f32 v[10:11], v[2:3], v[10:11], v[14:15] op_sel_hi:[1,0,1]
	v_xor_b32_e32 v26, 0x80000000, v5
	v_mov_b32_e32 v27, v4
	v_pk_fma_f32 v[0:1], v[2:3], v[0:1], v[8:9] op_sel_hi:[1,0,1]
	s_waitcnt vmcnt(1)
	v_pk_fma_f32 v[2:3], v[4:5], v[18:19], v[12:13] op_sel_hi:[1,0,1]
	v_pk_fma_f32 v[8:9], v[4:5], v[20:21], v[10:11] op_sel_hi:[1,0,1]
	v_mov_b32_e32 v10, v21
	s_waitcnt vmcnt(0)
	v_pk_fma_f32 v[4:5], v[4:5], v[22:23], v[0:1] op_sel_hi:[1,0,1]
	v_pk_fma_f32 v[0:1], v[26:27], v[18:19], v[2:3] op_sel:[0,1,0]
	v_pk_fma_f32 v[2:3], v[26:27], v[10:11], v[8:9] op_sel_hi:[1,0,1]
	v_pk_fma_f32 v[4:5], v[26:27], v[22:23], v[4:5] op_sel:[0,1,0]
	global_store_dwordx4 v[6:7], v[0:3], off
	global_store_dwordx2 v[6:7], v[4:5], off offset:16
.LBB77_29:
	s_endpgm
	.section	.rodata,"a",@progbits
	.p2align	6, 0x0
	.amdhsa_kernel _ZN9rocsparseL19gebsrmvn_3xn_kernelILj128ELj1ELj32E21rocsparse_complex_numIfEEEvi20rocsparse_direction_NS_24const_host_device_scalarIT2_EEPKiS8_PKS5_SA_S6_PS5_21rocsparse_index_base_b
		.amdhsa_group_segment_fixed_size 0
		.amdhsa_private_segment_fixed_size 0
		.amdhsa_kernarg_size 72
		.amdhsa_user_sgpr_count 2
		.amdhsa_user_sgpr_dispatch_ptr 0
		.amdhsa_user_sgpr_queue_ptr 0
		.amdhsa_user_sgpr_kernarg_segment_ptr 1
		.amdhsa_user_sgpr_dispatch_id 0
		.amdhsa_user_sgpr_kernarg_preload_length 0
		.amdhsa_user_sgpr_kernarg_preload_offset 0
		.amdhsa_user_sgpr_private_segment_size 0
		.amdhsa_uses_dynamic_stack 0
		.amdhsa_enable_private_segment 0
		.amdhsa_system_sgpr_workgroup_id_x 1
		.amdhsa_system_sgpr_workgroup_id_y 0
		.amdhsa_system_sgpr_workgroup_id_z 0
		.amdhsa_system_sgpr_workgroup_info 0
		.amdhsa_system_vgpr_workitem_id 0
		.amdhsa_next_free_vgpr 32
		.amdhsa_next_free_sgpr 16
		.amdhsa_accum_offset 32
		.amdhsa_reserve_vcc 1
		.amdhsa_float_round_mode_32 0
		.amdhsa_float_round_mode_16_64 0
		.amdhsa_float_denorm_mode_32 3
		.amdhsa_float_denorm_mode_16_64 3
		.amdhsa_dx10_clamp 1
		.amdhsa_ieee_mode 1
		.amdhsa_fp16_overflow 0
		.amdhsa_tg_split 0
		.amdhsa_exception_fp_ieee_invalid_op 0
		.amdhsa_exception_fp_denorm_src 0
		.amdhsa_exception_fp_ieee_div_zero 0
		.amdhsa_exception_fp_ieee_overflow 0
		.amdhsa_exception_fp_ieee_underflow 0
		.amdhsa_exception_fp_ieee_inexact 0
		.amdhsa_exception_int_div_zero 0
	.end_amdhsa_kernel
	.section	.text._ZN9rocsparseL19gebsrmvn_3xn_kernelILj128ELj1ELj32E21rocsparse_complex_numIfEEEvi20rocsparse_direction_NS_24const_host_device_scalarIT2_EEPKiS8_PKS5_SA_S6_PS5_21rocsparse_index_base_b,"axG",@progbits,_ZN9rocsparseL19gebsrmvn_3xn_kernelILj128ELj1ELj32E21rocsparse_complex_numIfEEEvi20rocsparse_direction_NS_24const_host_device_scalarIT2_EEPKiS8_PKS5_SA_S6_PS5_21rocsparse_index_base_b,comdat
.Lfunc_end77:
	.size	_ZN9rocsparseL19gebsrmvn_3xn_kernelILj128ELj1ELj32E21rocsparse_complex_numIfEEEvi20rocsparse_direction_NS_24const_host_device_scalarIT2_EEPKiS8_PKS5_SA_S6_PS5_21rocsparse_index_base_b, .Lfunc_end77-_ZN9rocsparseL19gebsrmvn_3xn_kernelILj128ELj1ELj32E21rocsparse_complex_numIfEEEvi20rocsparse_direction_NS_24const_host_device_scalarIT2_EEPKiS8_PKS5_SA_S6_PS5_21rocsparse_index_base_b
                                        ; -- End function
	.section	.AMDGPU.csdata,"",@progbits
; Kernel info:
; codeLenInByte = 1636
; NumSgprs: 22
; NumVgprs: 32
; NumAgprs: 0
; TotalNumVgprs: 32
; ScratchSize: 0
; MemoryBound: 0
; FloatMode: 240
; IeeeMode: 1
; LDSByteSize: 0 bytes/workgroup (compile time only)
; SGPRBlocks: 2
; VGPRBlocks: 3
; NumSGPRsForWavesPerEU: 22
; NumVGPRsForWavesPerEU: 32
; AccumOffset: 32
; Occupancy: 8
; WaveLimiterHint : 1
; COMPUTE_PGM_RSRC2:SCRATCH_EN: 0
; COMPUTE_PGM_RSRC2:USER_SGPR: 2
; COMPUTE_PGM_RSRC2:TRAP_HANDLER: 0
; COMPUTE_PGM_RSRC2:TGID_X_EN: 1
; COMPUTE_PGM_RSRC2:TGID_Y_EN: 0
; COMPUTE_PGM_RSRC2:TGID_Z_EN: 0
; COMPUTE_PGM_RSRC2:TIDIG_COMP_CNT: 0
; COMPUTE_PGM_RSRC3_GFX90A:ACCUM_OFFSET: 7
; COMPUTE_PGM_RSRC3_GFX90A:TG_SPLIT: 0
	.section	.text._ZN9rocsparseL19gebsrmvn_3xn_kernelILj128ELj1ELj64E21rocsparse_complex_numIfEEEvi20rocsparse_direction_NS_24const_host_device_scalarIT2_EEPKiS8_PKS5_SA_S6_PS5_21rocsparse_index_base_b,"axG",@progbits,_ZN9rocsparseL19gebsrmvn_3xn_kernelILj128ELj1ELj64E21rocsparse_complex_numIfEEEvi20rocsparse_direction_NS_24const_host_device_scalarIT2_EEPKiS8_PKS5_SA_S6_PS5_21rocsparse_index_base_b,comdat
	.globl	_ZN9rocsparseL19gebsrmvn_3xn_kernelILj128ELj1ELj64E21rocsparse_complex_numIfEEEvi20rocsparse_direction_NS_24const_host_device_scalarIT2_EEPKiS8_PKS5_SA_S6_PS5_21rocsparse_index_base_b ; -- Begin function _ZN9rocsparseL19gebsrmvn_3xn_kernelILj128ELj1ELj64E21rocsparse_complex_numIfEEEvi20rocsparse_direction_NS_24const_host_device_scalarIT2_EEPKiS8_PKS5_SA_S6_PS5_21rocsparse_index_base_b
	.p2align	8
	.type	_ZN9rocsparseL19gebsrmvn_3xn_kernelILj128ELj1ELj64E21rocsparse_complex_numIfEEEvi20rocsparse_direction_NS_24const_host_device_scalarIT2_EEPKiS8_PKS5_SA_S6_PS5_21rocsparse_index_base_b,@function
_ZN9rocsparseL19gebsrmvn_3xn_kernelILj128ELj1ELj64E21rocsparse_complex_numIfEEEvi20rocsparse_direction_NS_24const_host_device_scalarIT2_EEPKiS8_PKS5_SA_S6_PS5_21rocsparse_index_base_b: ; @_ZN9rocsparseL19gebsrmvn_3xn_kernelILj128ELj1ELj64E21rocsparse_complex_numIfEEEvi20rocsparse_direction_NS_24const_host_device_scalarIT2_EEPKiS8_PKS5_SA_S6_PS5_21rocsparse_index_base_b
; %bb.0:
	s_load_dwordx2 s[12:13], s[0:1], 0x40
	s_load_dwordx2 s[8:9], s[0:1], 0x8
	s_load_dwordx2 s[6:7], s[0:1], 0x30
	s_waitcnt lgkmcnt(0)
	s_bitcmp1_b32 s13, 0
	s_cselect_b64 s[4:5], -1, 0
	s_xor_b64 s[10:11], s[4:5], -1
	s_and_b64 vcc, exec, s[4:5]
	v_mov_b32_e32 v2, s8
	s_cbranch_vccnz .LBB78_2
; %bb.1:
	v_mov_b64_e32 v[2:3], s[8:9]
	flat_load_dword v2, v[2:3]
.LBB78_2:
	v_cndmask_b32_e64 v1, 0, 1, s[10:11]
	v_cmp_ne_u32_e64 s[4:5], 1, v1
	s_andn2_b64 vcc, exec, s[10:11]
	v_mov_b32_e32 v3, s9
	s_cbranch_vccz .LBB78_16
; %bb.3:
	s_and_b64 vcc, exec, s[4:5]
	v_mov_b32_e32 v4, s6
	s_cbranch_vccz .LBB78_17
.LBB78_4:
	s_and_b64 vcc, exec, s[4:5]
	v_mov_b32_e32 v5, s7
	s_cbranch_vccnz .LBB78_6
.LBB78_5:
	v_mov_b64_e32 v[6:7], s[6:7]
	flat_load_dword v5, v[6:7] offset:4
.LBB78_6:
	s_waitcnt vmcnt(0) lgkmcnt(0)
	v_and_b32_e32 v1, 0x7fffffff, v2
	v_cmp_eq_u32_e32 vcc, 0, v1
	v_cmp_eq_f32_e64 s[4:5], 0, v3
	s_and_b64 s[8:9], vcc, s[4:5]
	s_mov_b64 s[4:5], -1
	s_and_saveexec_b64 s[6:7], s[8:9]
; %bb.7:
	v_and_b32_e32 v1, 0x7fffffff, v5
	v_cmp_neq_f32_e32 vcc, 1.0, v4
	v_cmp_ne_u32_e64 s[4:5], 0, v1
	s_or_b64 s[4:5], vcc, s[4:5]
	s_orn2_b64 s[4:5], s[4:5], exec
; %bb.8:
	s_or_b64 exec, exec, s[6:7]
	s_and_saveexec_b64 s[6:7], s[4:5]
	s_cbranch_execz .LBB78_29
; %bb.9:
	s_load_dwordx2 s[14:15], s[0:1], 0x0
	v_lshrrev_b32_e32 v1, 6, v0
	v_lshl_or_b32 v6, s2, 1, v1
	s_waitcnt lgkmcnt(0)
	v_cmp_gt_i32_e32 vcc, s14, v6
	s_and_b64 exec, exec, vcc
	s_cbranch_execz .LBB78_29
; %bb.10:
	s_load_dwordx8 s[4:11], s[0:1], 0x10
	v_ashrrev_i32_e32 v7, 31, v6
	s_cmp_lg_u32 s15, 0
	s_waitcnt lgkmcnt(0)
	v_lshl_add_u64 v[8:9], v[6:7], 2, s[4:5]
	global_load_dwordx2 v[8:9], v[8:9], off
	v_and_b32_e32 v7, 63, v0
	s_waitcnt vmcnt(0)
	v_subrev_u32_e32 v0, s12, v8
	v_subrev_u32_e32 v18, s12, v9
	v_add_u32_e32 v12, v0, v7
	v_cmp_lt_i32_e64 s[2:3], v12, v18
	s_cbranch_scc0 .LBB78_18
; %bb.11:
	v_mov_b32_e32 v11, 0
	v_mov_b32_e32 v10, v11
	;; [unrolled: 1-line block ×6, first 2 shown]
	s_and_saveexec_b64 s[4:5], s[2:3]
	s_cbranch_execz .LBB78_15
; %bb.12:
	v_mov_b32_e32 v15, 0
	v_lshl_add_u32 v14, v12, 1, v12
	s_mov_b64 s[14:15], 0
	v_mov_b32_e32 v16, v12
	v_mov_b32_e32 v8, v15
	;; [unrolled: 1-line block ×7, first 2 shown]
.LBB78_13:                              ; =>This Inner Loop Header: Depth=1
	v_ashrrev_i32_e32 v17, 31, v16
	v_lshl_add_u64 v[20:21], v[16:17], 2, s[6:7]
	global_load_dword v13, v[20:21], off
	v_mov_b32_e32 v23, v15
	v_add_u32_e32 v24, 1, v14
	v_mov_b32_e32 v25, v15
	v_lshl_add_u64 v[20:21], v[14:15], 3, s[8:9]
	v_add_u32_e32 v26, 2, v14
	v_mov_b32_e32 v27, v15
	v_lshl_add_u64 v[24:25], v[24:25], 3, s[8:9]
	global_load_dwordx2 v[20:21], v[20:21], off
	v_lshl_add_u64 v[26:27], v[26:27], 3, s[8:9]
	global_load_dwordx2 v[28:29], v[24:25], off
	global_load_dwordx2 v[30:31], v[26:27], off
	v_add_u32_e32 v16, 64, v16
	v_cmp_ge_i32_e32 vcc, v16, v18
	v_add_u32_e32 v14, 0xc0, v14
	s_or_b64 s[14:15], vcc, s[14:15]
	s_waitcnt vmcnt(3)
	v_subrev_u32_e32 v22, s12, v13
	v_lshl_add_u64 v[22:23], v[22:23], 3, s[10:11]
	global_load_dwordx2 v[22:23], v[22:23], off
	s_waitcnt vmcnt(0)
	v_pk_fma_f32 v[10:11], v[20:21], v[22:23], v[10:11] op_sel_hi:[1,0,1]
	v_pk_fma_f32 v[8:9], v[28:29], v[22:23], v[8:9] op_sel_hi:[1,0,1]
	v_pk_fma_f32 v[0:1], v[30:31], v[22:23], v[0:1] op_sel_hi:[1,0,1]
	v_pk_fma_f32 v[10:11], v[20:21], v[22:23], v[10:11] op_sel:[1,1,0] op_sel_hi:[0,1,1] neg_lo:[1,0,0]
	v_pk_fma_f32 v[8:9], v[28:29], v[22:23], v[8:9] op_sel:[1,1,0] op_sel_hi:[0,1,1] neg_lo:[1,0,0]
	;; [unrolled: 1-line block ×3, first 2 shown]
	s_andn2_b64 exec, exec, s[14:15]
	s_cbranch_execnz .LBB78_13
; %bb.14:
	s_or_b64 exec, exec, s[14:15]
.LBB78_15:
	s_or_b64 exec, exec, s[4:5]
	s_cbranch_execz .LBB78_19
	s_branch .LBB78_24
.LBB78_16:
	v_mov_b64_e32 v[4:5], s[8:9]
	flat_load_dword v3, v[4:5] offset:4
	s_and_b64 vcc, exec, s[4:5]
	v_mov_b32_e32 v4, s6
	s_cbranch_vccnz .LBB78_4
.LBB78_17:
	v_mov_b64_e32 v[4:5], s[6:7]
	flat_load_dword v4, v[4:5]
	s_and_b64 vcc, exec, s[4:5]
	v_mov_b32_e32 v5, s7
	s_cbranch_vccz .LBB78_5
	s_branch .LBB78_6
.LBB78_18:
                                        ; implicit-def: $vgpr11
                                        ; implicit-def: $vgpr1
                                        ; implicit-def: $vgpr9
.LBB78_19:
	v_mov_b32_e32 v11, 0
	v_mov_b32_e32 v10, v11
	;; [unrolled: 1-line block ×6, first 2 shown]
	s_and_saveexec_b64 s[4:5], s[2:3]
	s_cbranch_execz .LBB78_23
; %bb.20:
	v_mov_b32_e32 v15, 0
	v_lshl_add_u32 v14, v12, 1, v12
	s_mov_b64 s[2:3], 0
	v_mov_b32_e32 v8, v15
	v_mov_b32_e32 v9, v15
	;; [unrolled: 1-line block ×6, first 2 shown]
.LBB78_21:                              ; =>This Inner Loop Header: Depth=1
	v_ashrrev_i32_e32 v13, 31, v12
	v_lshl_add_u64 v[16:17], v[12:13], 2, s[6:7]
	global_load_dword v13, v[16:17], off
	v_mov_b32_e32 v21, v15
	v_add_u32_e32 v22, 1, v14
	v_mov_b32_e32 v23, v15
	v_lshl_add_u64 v[16:17], v[14:15], 3, s[8:9]
	v_add_u32_e32 v24, 2, v14
	v_mov_b32_e32 v25, v15
	v_lshl_add_u64 v[22:23], v[22:23], 3, s[8:9]
	global_load_dwordx2 v[16:17], v[16:17], off
	v_lshl_add_u64 v[24:25], v[24:25], 3, s[8:9]
	global_load_dwordx2 v[26:27], v[22:23], off
	global_load_dwordx2 v[28:29], v[24:25], off
	v_add_u32_e32 v12, 64, v12
	v_cmp_ge_i32_e32 vcc, v12, v18
	v_add_u32_e32 v14, 0xc0, v14
	s_or_b64 s[2:3], vcc, s[2:3]
	s_waitcnt vmcnt(3)
	v_subrev_u32_e32 v20, s12, v13
	v_lshl_add_u64 v[20:21], v[20:21], 3, s[10:11]
	global_load_dwordx2 v[20:21], v[20:21], off
	s_waitcnt vmcnt(0)
	v_pk_fma_f32 v[10:11], v[16:17], v[20:21], v[10:11] op_sel_hi:[1,0,1]
	v_pk_fma_f32 v[8:9], v[26:27], v[20:21], v[8:9] op_sel_hi:[1,0,1]
	;; [unrolled: 1-line block ×3, first 2 shown]
	v_pk_fma_f32 v[10:11], v[16:17], v[20:21], v[10:11] op_sel:[1,1,0] op_sel_hi:[0,1,1] neg_lo:[1,0,0]
	v_pk_fma_f32 v[8:9], v[26:27], v[20:21], v[8:9] op_sel:[1,1,0] op_sel_hi:[0,1,1] neg_lo:[1,0,0]
	;; [unrolled: 1-line block ×3, first 2 shown]
	s_andn2_b64 exec, exec, s[2:3]
	s_cbranch_execnz .LBB78_21
; %bb.22:
	s_or_b64 exec, exec, s[2:3]
.LBB78_23:
	s_or_b64 exec, exec, s[4:5]
.LBB78_24:
	v_mov_b32_dpp v16, v0 row_shr:1 row_mask:0xf bank_mask:0xf
	v_add_f32_e32 v0, v0, v16
	v_mov_b32_dpp v12, v10 row_shr:1 row_mask:0xf bank_mask:0xf
	v_mov_b32_dpp v13, v11 row_shr:1 row_mask:0xf bank_mask:0xf
	;; [unrolled: 1-line block ×3, first 2 shown]
	v_add_f32_e32 v0, v0, v16
	v_mov_b32_dpp v14, v8 row_shr:1 row_mask:0xf bank_mask:0xf
	v_mov_b32_dpp v15, v9 row_shr:1 row_mask:0xf bank_mask:0xf
	;; [unrolled: 1-line block ×3, first 2 shown]
	v_add_f32_e32 v0, v0, v16
	v_add_f32_e32 v10, v10, v12
	;; [unrolled: 1-line block ×3, first 2 shown]
	v_mov_b32_dpp v16, v0 row_shr:8 row_mask:0xf bank_mask:0xc
	v_add_f32_e32 v0, v0, v16
	v_add_f32_e32 v8, v8, v14
	;; [unrolled: 1-line block ×3, first 2 shown]
	v_mov_b32_dpp v16, v0 row_bcast:15 row_mask:0xa bank_mask:0xf
	v_add_f32_e32 v0, v0, v16
	v_mov_b32_dpp v12, v10 row_shr:2 row_mask:0xf bank_mask:0xf
	v_mov_b32_dpp v16, v1 row_shr:1 row_mask:0xf bank_mask:0xf
	v_add_f32_e32 v1, v1, v16
	v_mov_b32_dpp v13, v11 row_shr:2 row_mask:0xf bank_mask:0xf
	v_mov_b32_dpp v14, v8 row_shr:2 row_mask:0xf bank_mask:0xf
	;; [unrolled: 1-line block ×4, first 2 shown]
	v_add_f32_e32 v10, v10, v12
	v_add_f32_e32 v11, v11, v13
	;; [unrolled: 1-line block ×5, first 2 shown]
	v_mov_b32_dpp v12, v10 row_shr:4 row_mask:0xf bank_mask:0xe
	v_mov_b32_dpp v13, v11 row_shr:4 row_mask:0xf bank_mask:0xe
	;; [unrolled: 1-line block ×5, first 2 shown]
	v_add_f32_e32 v10, v10, v12
	v_add_f32_e32 v11, v11, v13
	;; [unrolled: 1-line block ×5, first 2 shown]
	v_mov_b32_dpp v12, v10 row_shr:8 row_mask:0xf bank_mask:0xc
	v_mov_b32_dpp v13, v11 row_shr:8 row_mask:0xf bank_mask:0xc
	;; [unrolled: 1-line block ×5, first 2 shown]
	v_add_f32_e32 v10, v10, v12
	v_add_f32_e32 v11, v11, v13
	;; [unrolled: 1-line block ×5, first 2 shown]
	v_mov_b32_dpp v12, v10 row_bcast:15 row_mask:0xa bank_mask:0xf
	v_mov_b32_dpp v13, v11 row_bcast:15 row_mask:0xa bank_mask:0xf
	;; [unrolled: 1-line block ×5, first 2 shown]
	v_add_f32_e32 v10, v10, v12
	v_add_f32_e32 v11, v11, v13
	;; [unrolled: 1-line block ×5, first 2 shown]
	v_mov_b32_dpp v12, v10 row_bcast:31 row_mask:0xc bank_mask:0xf
	v_mov_b32_dpp v13, v11 row_bcast:31 row_mask:0xc bank_mask:0xf
	;; [unrolled: 1-line block ×6, first 2 shown]
	v_cmp_eq_u32_e32 vcc, 63, v7
	s_and_b64 exec, exec, vcc
	s_cbranch_execz .LBB78_29
; %bb.25:
	s_load_dwordx2 s[2:3], s[0:1], 0x38
	v_add_f32_e32 v12, v10, v12
	v_add_f32_e32 v10, v8, v14
	;; [unrolled: 1-line block ×3, first 2 shown]
	v_and_b32_e32 v1, 0x7fffffff, v4
	v_cmp_eq_u32_e32 vcc, 0, v1
	v_cmp_eq_f32_e64 s[0:1], 0, v5
	v_add_f32_e32 v16, v11, v13
	v_add_f32_e32 v14, v9, v15
	v_add_f32_e32 v0, v0, v17
	s_and_b64 s[0:1], vcc, s[0:1]
	s_and_saveexec_b64 s[4:5], s[0:1]
	s_xor_b64 s[0:1], exec, s[4:5]
	s_cbranch_execz .LBB78_27
; %bb.26:
	v_lshl_add_u32 v4, v6, 1, v6
	v_xor_b32_e32 v18, 0x80000000, v3
	v_ashrrev_i32_e32 v5, 31, v4
	v_mov_b32_e32 v19, v2
	s_waitcnt lgkmcnt(0)
	v_lshl_add_u64 v[20:21], v[4:5], 3, s[2:3]
	v_pk_mul_f32 v[4:5], v[16:17], v[18:19] op_sel_hi:[0,1]
	v_pk_mul_f32 v[6:7], v[14:15], v[18:19] op_sel_hi:[0,1]
	v_pk_fma_f32 v[4:5], v[2:3], v[12:13], v[4:5] op_sel_hi:[1,0,1]
	v_pk_fma_f32 v[6:7], v[2:3], v[10:11], v[6:7] op_sel_hi:[1,0,1]
	global_store_dwordx4 v[20:21], v[4:7], off
                                        ; implicit-def: $vgpr6
                                        ; implicit-def: $vgpr12
                                        ; implicit-def: $vgpr16
                                        ; implicit-def: $vgpr10
                                        ; implicit-def: $vgpr14
	s_nop 1
	v_pk_mul_f32 v[4:5], v[8:9], v[18:19] op_sel_hi:[0,1]
	v_pk_fma_f32 v[0:1], v[2:3], v[0:1], v[4:5] op_sel_hi:[1,0,1]
	global_store_dwordx2 v[20:21], v[0:1], off offset:16
                                        ; implicit-def: $vgpr3
                                        ; implicit-def: $vgpr4
                                        ; implicit-def: $vgpr0
                                        ; implicit-def: $vgpr8
.LBB78_27:
	s_andn2_saveexec_b64 s[0:1], s[0:1]
	s_cbranch_execz .LBB78_29
; %bb.28:
	v_lshl_add_u32 v6, v6, 1, v6
	v_ashrrev_i32_e32 v7, 31, v6
	s_waitcnt lgkmcnt(0)
	v_lshl_add_u64 v[6:7], v[6:7], 3, s[2:3]
	global_load_dwordx4 v[18:21], v[6:7], off
	global_load_dwordx2 v[22:23], v[6:7], off offset:16
	v_xor_b32_e32 v24, 0x80000000, v3
	v_mov_b32_e32 v25, v2
	v_pk_mul_f32 v[16:17], v[16:17], v[24:25] op_sel_hi:[0,1]
	v_pk_mul_f32 v[14:15], v[14:15], v[24:25] op_sel_hi:[0,1]
	;; [unrolled: 1-line block ×3, first 2 shown]
	v_pk_fma_f32 v[12:13], v[2:3], v[12:13], v[16:17] op_sel_hi:[1,0,1]
	v_pk_fma_f32 v[10:11], v[2:3], v[10:11], v[14:15] op_sel_hi:[1,0,1]
	v_xor_b32_e32 v26, 0x80000000, v5
	v_mov_b32_e32 v27, v4
	v_pk_fma_f32 v[0:1], v[2:3], v[0:1], v[8:9] op_sel_hi:[1,0,1]
	s_waitcnt vmcnt(1)
	v_pk_fma_f32 v[2:3], v[4:5], v[18:19], v[12:13] op_sel_hi:[1,0,1]
	v_pk_fma_f32 v[8:9], v[4:5], v[20:21], v[10:11] op_sel_hi:[1,0,1]
	v_mov_b32_e32 v10, v21
	s_waitcnt vmcnt(0)
	v_pk_fma_f32 v[4:5], v[4:5], v[22:23], v[0:1] op_sel_hi:[1,0,1]
	v_pk_fma_f32 v[0:1], v[26:27], v[18:19], v[2:3] op_sel:[0,1,0]
	v_pk_fma_f32 v[2:3], v[26:27], v[10:11], v[8:9] op_sel_hi:[1,0,1]
	v_pk_fma_f32 v[4:5], v[26:27], v[22:23], v[4:5] op_sel:[0,1,0]
	global_store_dwordx4 v[6:7], v[0:3], off
	global_store_dwordx2 v[6:7], v[4:5], off offset:16
.LBB78_29:
	s_endpgm
	.section	.rodata,"a",@progbits
	.p2align	6, 0x0
	.amdhsa_kernel _ZN9rocsparseL19gebsrmvn_3xn_kernelILj128ELj1ELj64E21rocsparse_complex_numIfEEEvi20rocsparse_direction_NS_24const_host_device_scalarIT2_EEPKiS8_PKS5_SA_S6_PS5_21rocsparse_index_base_b
		.amdhsa_group_segment_fixed_size 0
		.amdhsa_private_segment_fixed_size 0
		.amdhsa_kernarg_size 72
		.amdhsa_user_sgpr_count 2
		.amdhsa_user_sgpr_dispatch_ptr 0
		.amdhsa_user_sgpr_queue_ptr 0
		.amdhsa_user_sgpr_kernarg_segment_ptr 1
		.amdhsa_user_sgpr_dispatch_id 0
		.amdhsa_user_sgpr_kernarg_preload_length 0
		.amdhsa_user_sgpr_kernarg_preload_offset 0
		.amdhsa_user_sgpr_private_segment_size 0
		.amdhsa_uses_dynamic_stack 0
		.amdhsa_enable_private_segment 0
		.amdhsa_system_sgpr_workgroup_id_x 1
		.amdhsa_system_sgpr_workgroup_id_y 0
		.amdhsa_system_sgpr_workgroup_id_z 0
		.amdhsa_system_sgpr_workgroup_info 0
		.amdhsa_system_vgpr_workitem_id 0
		.amdhsa_next_free_vgpr 32
		.amdhsa_next_free_sgpr 16
		.amdhsa_accum_offset 32
		.amdhsa_reserve_vcc 1
		.amdhsa_float_round_mode_32 0
		.amdhsa_float_round_mode_16_64 0
		.amdhsa_float_denorm_mode_32 3
		.amdhsa_float_denorm_mode_16_64 3
		.amdhsa_dx10_clamp 1
		.amdhsa_ieee_mode 1
		.amdhsa_fp16_overflow 0
		.amdhsa_tg_split 0
		.amdhsa_exception_fp_ieee_invalid_op 0
		.amdhsa_exception_fp_denorm_src 0
		.amdhsa_exception_fp_ieee_div_zero 0
		.amdhsa_exception_fp_ieee_overflow 0
		.amdhsa_exception_fp_ieee_underflow 0
		.amdhsa_exception_fp_ieee_inexact 0
		.amdhsa_exception_int_div_zero 0
	.end_amdhsa_kernel
	.section	.text._ZN9rocsparseL19gebsrmvn_3xn_kernelILj128ELj1ELj64E21rocsparse_complex_numIfEEEvi20rocsparse_direction_NS_24const_host_device_scalarIT2_EEPKiS8_PKS5_SA_S6_PS5_21rocsparse_index_base_b,"axG",@progbits,_ZN9rocsparseL19gebsrmvn_3xn_kernelILj128ELj1ELj64E21rocsparse_complex_numIfEEEvi20rocsparse_direction_NS_24const_host_device_scalarIT2_EEPKiS8_PKS5_SA_S6_PS5_21rocsparse_index_base_b,comdat
.Lfunc_end78:
	.size	_ZN9rocsparseL19gebsrmvn_3xn_kernelILj128ELj1ELj64E21rocsparse_complex_numIfEEEvi20rocsparse_direction_NS_24const_host_device_scalarIT2_EEPKiS8_PKS5_SA_S6_PS5_21rocsparse_index_base_b, .Lfunc_end78-_ZN9rocsparseL19gebsrmvn_3xn_kernelILj128ELj1ELj64E21rocsparse_complex_numIfEEEvi20rocsparse_direction_NS_24const_host_device_scalarIT2_EEPKiS8_PKS5_SA_S6_PS5_21rocsparse_index_base_b
                                        ; -- End function
	.section	.AMDGPU.csdata,"",@progbits
; Kernel info:
; codeLenInByte = 1708
; NumSgprs: 22
; NumVgprs: 32
; NumAgprs: 0
; TotalNumVgprs: 32
; ScratchSize: 0
; MemoryBound: 0
; FloatMode: 240
; IeeeMode: 1
; LDSByteSize: 0 bytes/workgroup (compile time only)
; SGPRBlocks: 2
; VGPRBlocks: 3
; NumSGPRsForWavesPerEU: 22
; NumVGPRsForWavesPerEU: 32
; AccumOffset: 32
; Occupancy: 8
; WaveLimiterHint : 1
; COMPUTE_PGM_RSRC2:SCRATCH_EN: 0
; COMPUTE_PGM_RSRC2:USER_SGPR: 2
; COMPUTE_PGM_RSRC2:TRAP_HANDLER: 0
; COMPUTE_PGM_RSRC2:TGID_X_EN: 1
; COMPUTE_PGM_RSRC2:TGID_Y_EN: 0
; COMPUTE_PGM_RSRC2:TGID_Z_EN: 0
; COMPUTE_PGM_RSRC2:TIDIG_COMP_CNT: 0
; COMPUTE_PGM_RSRC3_GFX90A:ACCUM_OFFSET: 7
; COMPUTE_PGM_RSRC3_GFX90A:TG_SPLIT: 0
	.section	.text._ZN9rocsparseL19gebsrmvn_3xn_kernelILj128ELj2ELj4E21rocsparse_complex_numIfEEEvi20rocsparse_direction_NS_24const_host_device_scalarIT2_EEPKiS8_PKS5_SA_S6_PS5_21rocsparse_index_base_b,"axG",@progbits,_ZN9rocsparseL19gebsrmvn_3xn_kernelILj128ELj2ELj4E21rocsparse_complex_numIfEEEvi20rocsparse_direction_NS_24const_host_device_scalarIT2_EEPKiS8_PKS5_SA_S6_PS5_21rocsparse_index_base_b,comdat
	.globl	_ZN9rocsparseL19gebsrmvn_3xn_kernelILj128ELj2ELj4E21rocsparse_complex_numIfEEEvi20rocsparse_direction_NS_24const_host_device_scalarIT2_EEPKiS8_PKS5_SA_S6_PS5_21rocsparse_index_base_b ; -- Begin function _ZN9rocsparseL19gebsrmvn_3xn_kernelILj128ELj2ELj4E21rocsparse_complex_numIfEEEvi20rocsparse_direction_NS_24const_host_device_scalarIT2_EEPKiS8_PKS5_SA_S6_PS5_21rocsparse_index_base_b
	.p2align	8
	.type	_ZN9rocsparseL19gebsrmvn_3xn_kernelILj128ELj2ELj4E21rocsparse_complex_numIfEEEvi20rocsparse_direction_NS_24const_host_device_scalarIT2_EEPKiS8_PKS5_SA_S6_PS5_21rocsparse_index_base_b,@function
_ZN9rocsparseL19gebsrmvn_3xn_kernelILj128ELj2ELj4E21rocsparse_complex_numIfEEEvi20rocsparse_direction_NS_24const_host_device_scalarIT2_EEPKiS8_PKS5_SA_S6_PS5_21rocsparse_index_base_b: ; @_ZN9rocsparseL19gebsrmvn_3xn_kernelILj128ELj2ELj4E21rocsparse_complex_numIfEEEvi20rocsparse_direction_NS_24const_host_device_scalarIT2_EEPKiS8_PKS5_SA_S6_PS5_21rocsparse_index_base_b
; %bb.0:
	s_load_dwordx2 s[12:13], s[0:1], 0x40
	s_load_dwordx2 s[8:9], s[0:1], 0x8
	;; [unrolled: 1-line block ×3, first 2 shown]
	s_waitcnt lgkmcnt(0)
	s_bitcmp1_b32 s13, 0
	s_cselect_b64 s[4:5], -1, 0
	s_xor_b64 s[10:11], s[4:5], -1
	s_and_b64 vcc, exec, s[4:5]
	v_mov_b32_e32 v2, s8
	s_cbranch_vccnz .LBB79_2
; %bb.1:
	v_mov_b64_e32 v[2:3], s[8:9]
	flat_load_dword v2, v[2:3]
.LBB79_2:
	v_cndmask_b32_e64 v1, 0, 1, s[10:11]
	v_cmp_ne_u32_e64 s[4:5], 1, v1
	s_andn2_b64 vcc, exec, s[10:11]
	v_mov_b32_e32 v3, s9
	s_cbranch_vccz .LBB79_16
; %bb.3:
	s_and_b64 vcc, exec, s[4:5]
	v_mov_b32_e32 v4, s6
	s_cbranch_vccz .LBB79_17
.LBB79_4:
	s_and_b64 vcc, exec, s[4:5]
	v_mov_b32_e32 v5, s7
	s_cbranch_vccnz .LBB79_6
.LBB79_5:
	v_mov_b64_e32 v[6:7], s[6:7]
	flat_load_dword v5, v[6:7] offset:4
.LBB79_6:
	s_waitcnt vmcnt(0) lgkmcnt(0)
	v_and_b32_e32 v1, 0x7fffffff, v2
	v_cmp_eq_u32_e32 vcc, 0, v1
	v_cmp_eq_f32_e64 s[4:5], 0, v3
	s_and_b64 s[8:9], vcc, s[4:5]
	s_mov_b64 s[4:5], -1
	s_and_saveexec_b64 s[6:7], s[8:9]
; %bb.7:
	v_and_b32_e32 v1, 0x7fffffff, v5
	v_cmp_neq_f32_e32 vcc, 1.0, v4
	v_cmp_ne_u32_e64 s[4:5], 0, v1
	s_or_b64 s[4:5], vcc, s[4:5]
	s_orn2_b64 s[4:5], s[4:5], exec
; %bb.8:
	s_or_b64 exec, exec, s[6:7]
	s_and_saveexec_b64 s[6:7], s[4:5]
	s_cbranch_execz .LBB79_29
; %bb.9:
	s_load_dwordx2 s[14:15], s[0:1], 0x0
	v_lshrrev_b32_e32 v1, 2, v0
	v_lshl_or_b32 v6, s2, 5, v1
	s_waitcnt lgkmcnt(0)
	v_cmp_gt_i32_e32 vcc, s14, v6
	s_and_b64 exec, exec, vcc
	s_cbranch_execz .LBB79_29
; %bb.10:
	s_load_dwordx8 s[4:11], s[0:1], 0x10
	v_ashrrev_i32_e32 v7, 31, v6
	s_cmp_lg_u32 s15, 0
	s_waitcnt lgkmcnt(0)
	v_lshl_add_u64 v[8:9], v[6:7], 2, s[4:5]
	global_load_dwordx2 v[8:9], v[8:9], off
	v_and_b32_e32 v7, 3, v0
	s_waitcnt vmcnt(0)
	v_subrev_u32_e32 v0, s12, v8
	v_subrev_u32_e32 v20, s12, v9
	v_add_u32_e32 v0, v0, v7
	v_cmp_lt_i32_e64 s[2:3], v0, v20
	s_cbranch_scc0 .LBB79_18
; %bb.11:
	v_mov_b32_e32 v13, 0
	v_mov_b32_e32 v12, v13
	;; [unrolled: 1-line block ×6, first 2 shown]
	s_and_saveexec_b64 s[4:5], s[2:3]
	s_cbranch_execz .LBB79_15
; %bb.12:
	v_mad_u64_u32 v[14:15], s[14:15], v0, 6, 5
	v_mov_b32_e32 v17, 0
	s_mov_b64 s[14:15], 0
	v_mov_b32_e32 v18, v0
	v_mov_b32_e32 v10, v17
	;; [unrolled: 1-line block ×7, first 2 shown]
.LBB79_13:                              ; =>This Inner Loop Header: Depth=1
	v_ashrrev_i32_e32 v19, 31, v18
	v_lshl_add_u64 v[22:23], v[18:19], 2, s[6:7]
	global_load_dword v1, v[22:23], off
	v_add_u32_e32 v16, -5, v14
	v_lshl_add_u64 v[22:23], v[16:17], 3, s[8:9]
	v_add_u32_e32 v16, -3, v14
	v_mov_b32_e32 v27, v17
	v_mov_b32_e32 v15, v17
	v_lshl_add_u64 v[30:31], v[16:17], 3, s[8:9]
	v_add_u32_e32 v16, -2, v14
	v_lshl_add_u64 v[28:29], v[14:15], 3, s[8:9]
	v_lshl_add_u64 v[32:33], v[16:17], 3, s[8:9]
	v_add_u32_e32 v16, -1, v14
	global_load_dwordx4 v[22:25], v[22:23], off
	v_lshl_add_u64 v[34:35], v[16:17], 3, s[8:9]
	global_load_dwordx2 v[36:37], v[32:33], off
	global_load_dwordx2 v[38:39], v[34:35], off
	;; [unrolled: 1-line block ×4, first 2 shown]
	v_add_u32_e32 v18, 4, v18
	v_cmp_ge_i32_e32 vcc, v18, v20
	v_add_u32_e32 v14, 24, v14
	s_or_b64 s[14:15], vcc, s[14:15]
	s_waitcnt vmcnt(5)
	v_subrev_u32_e32 v1, s12, v1
	v_lshlrev_b32_e32 v26, 1, v1
	v_lshl_add_u64 v[26:27], v[26:27], 3, s[10:11]
	global_load_dwordx4 v[26:29], v[26:27], off
	s_waitcnt vmcnt(5)
	v_xor_b32_e32 v30, 0x80000000, v25
	v_mov_b32_e32 v31, v24
	s_waitcnt vmcnt(0)
	v_pk_fma_f32 v[12:13], v[22:23], v[26:27], v[12:13] op_sel_hi:[1,0,1]
	v_pk_fma_f32 v[10:11], v[24:25], v[26:27], v[10:11] op_sel_hi:[1,0,1]
	;; [unrolled: 1-line block ×3, first 2 shown]
	v_pk_fma_f32 v[12:13], v[22:23], v[26:27], v[12:13] op_sel:[1,1,0] op_sel_hi:[0,1,1] neg_lo:[1,0,0]
	v_pk_fma_f32 v[10:11], v[30:31], v[26:27], v[10:11] op_sel:[0,1,0]
	v_pk_fma_f32 v[8:9], v[42:43], v[26:27], v[8:9] op_sel:[1,1,0] op_sel_hi:[0,1,1] neg_lo:[1,0,0]
	v_mov_b32_e32 v16, v29
	v_pk_fma_f32 v[12:13], v[36:37], v[28:29], v[12:13] op_sel_hi:[1,0,1]
	v_pk_fma_f32 v[10:11], v[38:39], v[28:29], v[10:11] op_sel_hi:[1,0,1]
	;; [unrolled: 1-line block ×3, first 2 shown]
	v_pk_fma_f32 v[12:13], v[36:37], v[16:17], v[12:13] op_sel:[1,0,0] op_sel_hi:[0,0,1] neg_lo:[1,0,0]
	v_pk_fma_f32 v[10:11], v[38:39], v[16:17], v[10:11] op_sel:[1,0,0] op_sel_hi:[0,0,1] neg_lo:[1,0,0]
	;; [unrolled: 1-line block ×3, first 2 shown]
	s_andn2_b64 exec, exec, s[14:15]
	s_cbranch_execnz .LBB79_13
; %bb.14:
	s_or_b64 exec, exec, s[14:15]
.LBB79_15:
	s_or_b64 exec, exec, s[4:5]
	s_cbranch_execz .LBB79_19
	s_branch .LBB79_24
.LBB79_16:
	v_mov_b64_e32 v[4:5], s[8:9]
	flat_load_dword v3, v[4:5] offset:4
	s_and_b64 vcc, exec, s[4:5]
	v_mov_b32_e32 v4, s6
	s_cbranch_vccnz .LBB79_4
.LBB79_17:
	v_mov_b64_e32 v[4:5], s[6:7]
	flat_load_dword v4, v[4:5]
	s_and_b64 vcc, exec, s[4:5]
	v_mov_b32_e32 v5, s7
	s_cbranch_vccz .LBB79_5
	s_branch .LBB79_6
.LBB79_18:
                                        ; implicit-def: $vgpr13
                                        ; implicit-def: $vgpr9
                                        ; implicit-def: $vgpr11
.LBB79_19:
	v_mov_b32_e32 v13, 0
	v_mov_b32_e32 v12, v13
	;; [unrolled: 1-line block ×6, first 2 shown]
	s_and_saveexec_b64 s[4:5], s[2:3]
	s_cbranch_execz .LBB79_23
; %bb.20:
	v_mad_u64_u32 v[14:15], s[2:3], v0, 6, 5
	v_mov_b32_e32 v17, 0
	s_mov_b64 s[2:3], 0
	v_mov_b32_e32 v10, v17
	v_mov_b32_e32 v11, v17
	;; [unrolled: 1-line block ×6, first 2 shown]
.LBB79_21:                              ; =>This Inner Loop Header: Depth=1
	v_ashrrev_i32_e32 v1, 31, v0
	v_lshl_add_u64 v[18:19], v[0:1], 2, s[6:7]
	global_load_dword v1, v[18:19], off
	v_add_u32_e32 v16, -5, v14
	v_add_u32_e32 v18, -3, v14
	v_mov_b32_e32 v19, v17
	v_add_u32_e32 v22, -1, v14
	v_mov_b32_e32 v27, v17
	v_mov_b32_e32 v23, v17
	;; [unrolled: 1-line block ×3, first 2 shown]
	v_lshl_add_u64 v[24:25], v[16:17], 3, s[8:9]
	v_lshl_add_u64 v[18:19], v[18:19], 3, s[8:9]
	v_add_u32_e32 v16, -2, v14
	v_lshl_add_u64 v[28:29], v[22:23], 3, s[8:9]
	v_lshl_add_u64 v[30:31], v[14:15], 3, s[8:9]
	global_load_dwordx4 v[22:25], v[24:25], off
	v_lshl_add_u64 v[32:33], v[16:17], 3, s[8:9]
	global_load_dwordx2 v[34:35], v[18:19], off
	global_load_dwordx2 v[36:37], v[30:31], off
	;; [unrolled: 1-line block ×4, first 2 shown]
	v_add_u32_e32 v0, 4, v0
	v_cmp_ge_i32_e32 vcc, v0, v20
	v_add_u32_e32 v14, 24, v14
	s_or_b64 s[2:3], vcc, s[2:3]
	s_waitcnt vmcnt(5)
	v_subrev_u32_e32 v1, s12, v1
	v_lshlrev_b32_e32 v26, 1, v1
	v_lshl_add_u64 v[18:19], v[26:27], 3, s[10:11]
	global_load_dwordx4 v[26:29], v[18:19], off
	s_waitcnt vmcnt(5)
	v_xor_b32_e32 v18, 0x80000000, v25
	v_mov_b32_e32 v19, v24
	s_waitcnt vmcnt(0)
	v_pk_fma_f32 v[12:13], v[22:23], v[26:27], v[12:13] op_sel_hi:[1,0,1]
	v_pk_fma_f32 v[10:11], v[34:35], v[26:27], v[10:11] op_sel_hi:[1,0,1]
	;; [unrolled: 1-line block ×3, first 2 shown]
	v_pk_fma_f32 v[12:13], v[22:23], v[26:27], v[12:13] op_sel:[1,1,0] op_sel_hi:[0,1,1] neg_lo:[1,0,0]
	v_pk_fma_f32 v[10:11], v[34:35], v[26:27], v[10:11] op_sel:[1,1,0] op_sel_hi:[0,1,1] neg_lo:[1,0,0]
	;; [unrolled: 1-line block ×3, first 2 shown]
	v_mov_b32_e32 v16, v29
	v_pk_fma_f32 v[12:13], v[24:25], v[28:29], v[12:13] op_sel_hi:[1,0,1]
	v_pk_fma_f32 v[10:11], v[38:39], v[28:29], v[10:11] op_sel_hi:[1,0,1]
	v_pk_fma_f32 v[8:9], v[36:37], v[28:29], v[8:9] op_sel_hi:[1,0,1]
	v_pk_fma_f32 v[12:13], v[18:19], v[16:17], v[12:13] op_sel_hi:[1,0,1]
	v_pk_fma_f32 v[10:11], v[38:39], v[16:17], v[10:11] op_sel:[1,0,0] op_sel_hi:[0,0,1] neg_lo:[1,0,0]
	v_pk_fma_f32 v[8:9], v[36:37], v[16:17], v[8:9] op_sel:[1,0,0] op_sel_hi:[0,0,1] neg_lo:[1,0,0]
	s_andn2_b64 exec, exec, s[2:3]
	s_cbranch_execnz .LBB79_21
; %bb.22:
	s_or_b64 exec, exec, s[2:3]
.LBB79_23:
	s_or_b64 exec, exec, s[4:5]
.LBB79_24:
	v_mov_b32_dpp v0, v12 row_shr:1 row_mask:0xf bank_mask:0xf
	v_add_f32_e32 v0, v12, v0
	v_mov_b32_dpp v12, v13 row_shr:1 row_mask:0xf bank_mask:0xf
	v_add_f32_e32 v13, v13, v12
	v_mov_b32_dpp v1, v0 row_shr:2 row_mask:0xf bank_mask:0xf
	v_mov_b32_dpp v12, v10 row_shr:1 row_mask:0xf bank_mask:0xf
	v_add_f32_e32 v10, v10, v12
	v_mov_b32_dpp v14, v13 row_shr:2 row_mask:0xf bank_mask:0xf
	;; [unrolled: 3-line block ×5, first 2 shown]
	v_cmp_eq_u32_e32 vcc, 3, v7
	v_mov_b32_dpp v19, v9 row_shr:2 row_mask:0xf bank_mask:0xf
	s_and_b64 exec, exec, vcc
	s_cbranch_execz .LBB79_29
; %bb.25:
	s_load_dwordx2 s[2:3], s[0:1], 0x38
	v_add_f32_e32 v12, v0, v1
	v_and_b32_e32 v1, 0x7fffffff, v4
	v_cmp_eq_u32_e32 vcc, 0, v1
	v_cmp_eq_f32_e64 s[0:1], 0, v5
	v_add_f32_e32 v16, v13, v14
	v_add_f32_e32 v10, v10, v15
	;; [unrolled: 1-line block ×5, first 2 shown]
	s_and_b64 s[0:1], vcc, s[0:1]
	s_and_saveexec_b64 s[4:5], s[0:1]
	s_xor_b64 s[0:1], exec, s[4:5]
	s_cbranch_execz .LBB79_27
; %bb.26:
	v_lshl_add_u32 v4, v6, 1, v6
	v_xor_b32_e32 v18, 0x80000000, v3
	v_ashrrev_i32_e32 v5, 31, v4
	v_mov_b32_e32 v19, v2
	s_waitcnt lgkmcnt(0)
	v_lshl_add_u64 v[20:21], v[4:5], 3, s[2:3]
	v_pk_mul_f32 v[4:5], v[16:17], v[18:19] op_sel_hi:[0,1]
	v_pk_mul_f32 v[6:7], v[14:15], v[18:19] op_sel_hi:[0,1]
	v_pk_fma_f32 v[4:5], v[2:3], v[12:13], v[4:5] op_sel_hi:[1,0,1]
	v_pk_fma_f32 v[6:7], v[2:3], v[10:11], v[6:7] op_sel_hi:[1,0,1]
	global_store_dwordx4 v[20:21], v[4:7], off
                                        ; implicit-def: $vgpr6
                                        ; implicit-def: $vgpr12
                                        ; implicit-def: $vgpr16
                                        ; implicit-def: $vgpr10
                                        ; implicit-def: $vgpr14
	s_nop 1
	v_pk_mul_f32 v[4:5], v[8:9], v[18:19] op_sel_hi:[0,1]
	v_pk_fma_f32 v[0:1], v[2:3], v[0:1], v[4:5] op_sel_hi:[1,0,1]
	global_store_dwordx2 v[20:21], v[0:1], off offset:16
                                        ; implicit-def: $vgpr3
                                        ; implicit-def: $vgpr4
                                        ; implicit-def: $vgpr0
                                        ; implicit-def: $vgpr8
.LBB79_27:
	s_andn2_saveexec_b64 s[0:1], s[0:1]
	s_cbranch_execz .LBB79_29
; %bb.28:
	v_lshl_add_u32 v6, v6, 1, v6
	v_ashrrev_i32_e32 v7, 31, v6
	s_waitcnt lgkmcnt(0)
	v_lshl_add_u64 v[6:7], v[6:7], 3, s[2:3]
	global_load_dwordx4 v[18:21], v[6:7], off
	global_load_dwordx2 v[22:23], v[6:7], off offset:16
	v_xor_b32_e32 v24, 0x80000000, v3
	v_mov_b32_e32 v25, v2
	v_pk_mul_f32 v[16:17], v[16:17], v[24:25] op_sel_hi:[0,1]
	v_pk_mul_f32 v[14:15], v[14:15], v[24:25] op_sel_hi:[0,1]
	;; [unrolled: 1-line block ×3, first 2 shown]
	v_pk_fma_f32 v[12:13], v[2:3], v[12:13], v[16:17] op_sel_hi:[1,0,1]
	v_pk_fma_f32 v[10:11], v[2:3], v[10:11], v[14:15] op_sel_hi:[1,0,1]
	v_xor_b32_e32 v26, 0x80000000, v5
	v_mov_b32_e32 v27, v4
	v_pk_fma_f32 v[0:1], v[2:3], v[0:1], v[8:9] op_sel_hi:[1,0,1]
	s_waitcnt vmcnt(1)
	v_pk_fma_f32 v[2:3], v[4:5], v[18:19], v[12:13] op_sel_hi:[1,0,1]
	v_pk_fma_f32 v[8:9], v[4:5], v[20:21], v[10:11] op_sel_hi:[1,0,1]
	v_mov_b32_e32 v10, v21
	s_waitcnt vmcnt(0)
	v_pk_fma_f32 v[4:5], v[4:5], v[22:23], v[0:1] op_sel_hi:[1,0,1]
	v_pk_fma_f32 v[0:1], v[26:27], v[18:19], v[2:3] op_sel:[0,1,0]
	v_pk_fma_f32 v[2:3], v[26:27], v[10:11], v[8:9] op_sel_hi:[1,0,1]
	v_pk_fma_f32 v[4:5], v[26:27], v[22:23], v[4:5] op_sel:[0,1,0]
	global_store_dwordx4 v[6:7], v[0:3], off
	global_store_dwordx2 v[6:7], v[4:5], off offset:16
.LBB79_29:
	s_endpgm
	.section	.rodata,"a",@progbits
	.p2align	6, 0x0
	.amdhsa_kernel _ZN9rocsparseL19gebsrmvn_3xn_kernelILj128ELj2ELj4E21rocsparse_complex_numIfEEEvi20rocsparse_direction_NS_24const_host_device_scalarIT2_EEPKiS8_PKS5_SA_S6_PS5_21rocsparse_index_base_b
		.amdhsa_group_segment_fixed_size 0
		.amdhsa_private_segment_fixed_size 0
		.amdhsa_kernarg_size 72
		.amdhsa_user_sgpr_count 2
		.amdhsa_user_sgpr_dispatch_ptr 0
		.amdhsa_user_sgpr_queue_ptr 0
		.amdhsa_user_sgpr_kernarg_segment_ptr 1
		.amdhsa_user_sgpr_dispatch_id 0
		.amdhsa_user_sgpr_kernarg_preload_length 0
		.amdhsa_user_sgpr_kernarg_preload_offset 0
		.amdhsa_user_sgpr_private_segment_size 0
		.amdhsa_uses_dynamic_stack 0
		.amdhsa_enable_private_segment 0
		.amdhsa_system_sgpr_workgroup_id_x 1
		.amdhsa_system_sgpr_workgroup_id_y 0
		.amdhsa_system_sgpr_workgroup_id_z 0
		.amdhsa_system_sgpr_workgroup_info 0
		.amdhsa_system_vgpr_workitem_id 0
		.amdhsa_next_free_vgpr 44
		.amdhsa_next_free_sgpr 16
		.amdhsa_accum_offset 44
		.amdhsa_reserve_vcc 1
		.amdhsa_float_round_mode_32 0
		.amdhsa_float_round_mode_16_64 0
		.amdhsa_float_denorm_mode_32 3
		.amdhsa_float_denorm_mode_16_64 3
		.amdhsa_dx10_clamp 1
		.amdhsa_ieee_mode 1
		.amdhsa_fp16_overflow 0
		.amdhsa_tg_split 0
		.amdhsa_exception_fp_ieee_invalid_op 0
		.amdhsa_exception_fp_denorm_src 0
		.amdhsa_exception_fp_ieee_div_zero 0
		.amdhsa_exception_fp_ieee_overflow 0
		.amdhsa_exception_fp_ieee_underflow 0
		.amdhsa_exception_fp_ieee_inexact 0
		.amdhsa_exception_int_div_zero 0
	.end_amdhsa_kernel
	.section	.text._ZN9rocsparseL19gebsrmvn_3xn_kernelILj128ELj2ELj4E21rocsparse_complex_numIfEEEvi20rocsparse_direction_NS_24const_host_device_scalarIT2_EEPKiS8_PKS5_SA_S6_PS5_21rocsparse_index_base_b,"axG",@progbits,_ZN9rocsparseL19gebsrmvn_3xn_kernelILj128ELj2ELj4E21rocsparse_complex_numIfEEEvi20rocsparse_direction_NS_24const_host_device_scalarIT2_EEPKiS8_PKS5_SA_S6_PS5_21rocsparse_index_base_b,comdat
.Lfunc_end79:
	.size	_ZN9rocsparseL19gebsrmvn_3xn_kernelILj128ELj2ELj4E21rocsparse_complex_numIfEEEvi20rocsparse_direction_NS_24const_host_device_scalarIT2_EEPKiS8_PKS5_SA_S6_PS5_21rocsparse_index_base_b, .Lfunc_end79-_ZN9rocsparseL19gebsrmvn_3xn_kernelILj128ELj2ELj4E21rocsparse_complex_numIfEEEvi20rocsparse_direction_NS_24const_host_device_scalarIT2_EEPKiS8_PKS5_SA_S6_PS5_21rocsparse_index_base_b
                                        ; -- End function
	.section	.AMDGPU.csdata,"",@progbits
; Kernel info:
; codeLenInByte = 1636
; NumSgprs: 22
; NumVgprs: 44
; NumAgprs: 0
; TotalNumVgprs: 44
; ScratchSize: 0
; MemoryBound: 0
; FloatMode: 240
; IeeeMode: 1
; LDSByteSize: 0 bytes/workgroup (compile time only)
; SGPRBlocks: 2
; VGPRBlocks: 5
; NumSGPRsForWavesPerEU: 22
; NumVGPRsForWavesPerEU: 44
; AccumOffset: 44
; Occupancy: 8
; WaveLimiterHint : 1
; COMPUTE_PGM_RSRC2:SCRATCH_EN: 0
; COMPUTE_PGM_RSRC2:USER_SGPR: 2
; COMPUTE_PGM_RSRC2:TRAP_HANDLER: 0
; COMPUTE_PGM_RSRC2:TGID_X_EN: 1
; COMPUTE_PGM_RSRC2:TGID_Y_EN: 0
; COMPUTE_PGM_RSRC2:TGID_Z_EN: 0
; COMPUTE_PGM_RSRC2:TIDIG_COMP_CNT: 0
; COMPUTE_PGM_RSRC3_GFX90A:ACCUM_OFFSET: 10
; COMPUTE_PGM_RSRC3_GFX90A:TG_SPLIT: 0
	.section	.text._ZN9rocsparseL19gebsrmvn_3xn_kernelILj128ELj2ELj8E21rocsparse_complex_numIfEEEvi20rocsparse_direction_NS_24const_host_device_scalarIT2_EEPKiS8_PKS5_SA_S6_PS5_21rocsparse_index_base_b,"axG",@progbits,_ZN9rocsparseL19gebsrmvn_3xn_kernelILj128ELj2ELj8E21rocsparse_complex_numIfEEEvi20rocsparse_direction_NS_24const_host_device_scalarIT2_EEPKiS8_PKS5_SA_S6_PS5_21rocsparse_index_base_b,comdat
	.globl	_ZN9rocsparseL19gebsrmvn_3xn_kernelILj128ELj2ELj8E21rocsparse_complex_numIfEEEvi20rocsparse_direction_NS_24const_host_device_scalarIT2_EEPKiS8_PKS5_SA_S6_PS5_21rocsparse_index_base_b ; -- Begin function _ZN9rocsparseL19gebsrmvn_3xn_kernelILj128ELj2ELj8E21rocsparse_complex_numIfEEEvi20rocsparse_direction_NS_24const_host_device_scalarIT2_EEPKiS8_PKS5_SA_S6_PS5_21rocsparse_index_base_b
	.p2align	8
	.type	_ZN9rocsparseL19gebsrmvn_3xn_kernelILj128ELj2ELj8E21rocsparse_complex_numIfEEEvi20rocsparse_direction_NS_24const_host_device_scalarIT2_EEPKiS8_PKS5_SA_S6_PS5_21rocsparse_index_base_b,@function
_ZN9rocsparseL19gebsrmvn_3xn_kernelILj128ELj2ELj8E21rocsparse_complex_numIfEEEvi20rocsparse_direction_NS_24const_host_device_scalarIT2_EEPKiS8_PKS5_SA_S6_PS5_21rocsparse_index_base_b: ; @_ZN9rocsparseL19gebsrmvn_3xn_kernelILj128ELj2ELj8E21rocsparse_complex_numIfEEEvi20rocsparse_direction_NS_24const_host_device_scalarIT2_EEPKiS8_PKS5_SA_S6_PS5_21rocsparse_index_base_b
; %bb.0:
	s_load_dwordx2 s[12:13], s[0:1], 0x40
	s_load_dwordx2 s[8:9], s[0:1], 0x8
	;; [unrolled: 1-line block ×3, first 2 shown]
	s_waitcnt lgkmcnt(0)
	s_bitcmp1_b32 s13, 0
	s_cselect_b64 s[4:5], -1, 0
	s_xor_b64 s[10:11], s[4:5], -1
	s_and_b64 vcc, exec, s[4:5]
	v_mov_b32_e32 v2, s8
	s_cbranch_vccnz .LBB80_2
; %bb.1:
	v_mov_b64_e32 v[2:3], s[8:9]
	flat_load_dword v2, v[2:3]
.LBB80_2:
	v_cndmask_b32_e64 v1, 0, 1, s[10:11]
	v_cmp_ne_u32_e64 s[4:5], 1, v1
	s_andn2_b64 vcc, exec, s[10:11]
	v_mov_b32_e32 v3, s9
	s_cbranch_vccz .LBB80_16
; %bb.3:
	s_and_b64 vcc, exec, s[4:5]
	v_mov_b32_e32 v4, s6
	s_cbranch_vccz .LBB80_17
.LBB80_4:
	s_and_b64 vcc, exec, s[4:5]
	v_mov_b32_e32 v5, s7
	s_cbranch_vccnz .LBB80_6
.LBB80_5:
	v_mov_b64_e32 v[6:7], s[6:7]
	flat_load_dword v5, v[6:7] offset:4
.LBB80_6:
	s_waitcnt vmcnt(0) lgkmcnt(0)
	v_and_b32_e32 v1, 0x7fffffff, v2
	v_cmp_eq_u32_e32 vcc, 0, v1
	v_cmp_eq_f32_e64 s[4:5], 0, v3
	s_and_b64 s[8:9], vcc, s[4:5]
	s_mov_b64 s[4:5], -1
	s_and_saveexec_b64 s[6:7], s[8:9]
; %bb.7:
	v_and_b32_e32 v1, 0x7fffffff, v5
	v_cmp_neq_f32_e32 vcc, 1.0, v4
	v_cmp_ne_u32_e64 s[4:5], 0, v1
	s_or_b64 s[4:5], vcc, s[4:5]
	s_orn2_b64 s[4:5], s[4:5], exec
; %bb.8:
	s_or_b64 exec, exec, s[6:7]
	s_and_saveexec_b64 s[6:7], s[4:5]
	s_cbranch_execz .LBB80_29
; %bb.9:
	s_load_dwordx2 s[14:15], s[0:1], 0x0
	v_lshrrev_b32_e32 v1, 3, v0
	v_lshl_or_b32 v6, s2, 4, v1
	s_waitcnt lgkmcnt(0)
	v_cmp_gt_i32_e32 vcc, s14, v6
	s_and_b64 exec, exec, vcc
	s_cbranch_execz .LBB80_29
; %bb.10:
	s_load_dwordx8 s[4:11], s[0:1], 0x10
	v_ashrrev_i32_e32 v7, 31, v6
	s_cmp_lg_u32 s15, 0
	s_waitcnt lgkmcnt(0)
	v_lshl_add_u64 v[8:9], v[6:7], 2, s[4:5]
	global_load_dwordx2 v[8:9], v[8:9], off
	v_and_b32_e32 v7, 7, v0
	s_waitcnt vmcnt(0)
	v_subrev_u32_e32 v0, s12, v8
	v_subrev_u32_e32 v20, s12, v9
	v_add_u32_e32 v8, v0, v7
	v_cmp_lt_i32_e64 s[2:3], v8, v20
	s_cbranch_scc0 .LBB80_18
; %bb.11:
	v_mov_b32_e32 v13, 0
	v_mov_b32_e32 v12, v13
	;; [unrolled: 1-line block ×6, first 2 shown]
	s_and_saveexec_b64 s[4:5], s[2:3]
	s_cbranch_execz .LBB80_15
; %bb.12:
	v_mad_u64_u32 v[14:15], s[14:15], v8, 6, 5
	v_mov_b32_e32 v17, 0
	s_mov_b64 s[14:15], 0
	v_mov_b32_e32 v18, v8
	v_mov_b32_e32 v10, v17
	;; [unrolled: 1-line block ×7, first 2 shown]
.LBB80_13:                              ; =>This Inner Loop Header: Depth=1
	v_ashrrev_i32_e32 v19, 31, v18
	v_lshl_add_u64 v[22:23], v[18:19], 2, s[6:7]
	global_load_dword v9, v[22:23], off
	v_add_u32_e32 v16, -5, v14
	v_lshl_add_u64 v[22:23], v[16:17], 3, s[8:9]
	v_add_u32_e32 v16, -3, v14
	v_mov_b32_e32 v27, v17
	v_mov_b32_e32 v15, v17
	v_lshl_add_u64 v[30:31], v[16:17], 3, s[8:9]
	v_add_u32_e32 v16, -2, v14
	v_lshl_add_u64 v[28:29], v[14:15], 3, s[8:9]
	v_lshl_add_u64 v[32:33], v[16:17], 3, s[8:9]
	v_add_u32_e32 v16, -1, v14
	global_load_dwordx4 v[22:25], v[22:23], off
	v_lshl_add_u64 v[34:35], v[16:17], 3, s[8:9]
	global_load_dwordx2 v[36:37], v[32:33], off
	global_load_dwordx2 v[38:39], v[34:35], off
	;; [unrolled: 1-line block ×4, first 2 shown]
	v_add_u32_e32 v18, 8, v18
	v_cmp_ge_i32_e32 vcc, v18, v20
	v_add_u32_e32 v14, 48, v14
	s_or_b64 s[14:15], vcc, s[14:15]
	s_waitcnt vmcnt(5)
	v_subrev_u32_e32 v9, s12, v9
	v_lshlrev_b32_e32 v26, 1, v9
	v_lshl_add_u64 v[26:27], v[26:27], 3, s[10:11]
	global_load_dwordx4 v[26:29], v[26:27], off
	s_waitcnt vmcnt(5)
	v_xor_b32_e32 v30, 0x80000000, v25
	v_mov_b32_e32 v31, v24
	s_waitcnt vmcnt(0)
	v_pk_fma_f32 v[12:13], v[22:23], v[26:27], v[12:13] op_sel_hi:[1,0,1]
	v_pk_fma_f32 v[10:11], v[24:25], v[26:27], v[10:11] op_sel_hi:[1,0,1]
	;; [unrolled: 1-line block ×3, first 2 shown]
	v_pk_fma_f32 v[12:13], v[22:23], v[26:27], v[12:13] op_sel:[1,1,0] op_sel_hi:[0,1,1] neg_lo:[1,0,0]
	v_pk_fma_f32 v[10:11], v[30:31], v[26:27], v[10:11] op_sel:[0,1,0]
	v_pk_fma_f32 v[0:1], v[42:43], v[26:27], v[0:1] op_sel:[1,1,0] op_sel_hi:[0,1,1] neg_lo:[1,0,0]
	v_mov_b32_e32 v16, v29
	v_pk_fma_f32 v[12:13], v[36:37], v[28:29], v[12:13] op_sel_hi:[1,0,1]
	v_pk_fma_f32 v[10:11], v[38:39], v[28:29], v[10:11] op_sel_hi:[1,0,1]
	;; [unrolled: 1-line block ×3, first 2 shown]
	v_pk_fma_f32 v[12:13], v[36:37], v[16:17], v[12:13] op_sel:[1,0,0] op_sel_hi:[0,0,1] neg_lo:[1,0,0]
	v_pk_fma_f32 v[10:11], v[38:39], v[16:17], v[10:11] op_sel:[1,0,0] op_sel_hi:[0,0,1] neg_lo:[1,0,0]
	;; [unrolled: 1-line block ×3, first 2 shown]
	s_andn2_b64 exec, exec, s[14:15]
	s_cbranch_execnz .LBB80_13
; %bb.14:
	s_or_b64 exec, exec, s[14:15]
.LBB80_15:
	s_or_b64 exec, exec, s[4:5]
	s_cbranch_execz .LBB80_19
	s_branch .LBB80_24
.LBB80_16:
	v_mov_b64_e32 v[4:5], s[8:9]
	flat_load_dword v3, v[4:5] offset:4
	s_and_b64 vcc, exec, s[4:5]
	v_mov_b32_e32 v4, s6
	s_cbranch_vccnz .LBB80_4
.LBB80_17:
	v_mov_b64_e32 v[4:5], s[6:7]
	flat_load_dword v4, v[4:5]
	s_and_b64 vcc, exec, s[4:5]
	v_mov_b32_e32 v5, s7
	s_cbranch_vccz .LBB80_5
	s_branch .LBB80_6
.LBB80_18:
                                        ; implicit-def: $vgpr13
                                        ; implicit-def: $vgpr1
                                        ; implicit-def: $vgpr11
.LBB80_19:
	v_mov_b32_e32 v13, 0
	v_mov_b32_e32 v12, v13
	;; [unrolled: 1-line block ×6, first 2 shown]
	s_and_saveexec_b64 s[4:5], s[2:3]
	s_cbranch_execz .LBB80_23
; %bb.20:
	v_mad_u64_u32 v[14:15], s[2:3], v8, 6, 5
	v_mov_b32_e32 v17, 0
	s_mov_b64 s[2:3], 0
	v_mov_b32_e32 v10, v17
	v_mov_b32_e32 v11, v17
	;; [unrolled: 1-line block ×6, first 2 shown]
.LBB80_21:                              ; =>This Inner Loop Header: Depth=1
	v_ashrrev_i32_e32 v9, 31, v8
	v_lshl_add_u64 v[18:19], v[8:9], 2, s[6:7]
	global_load_dword v9, v[18:19], off
	v_add_u32_e32 v16, -5, v14
	v_add_u32_e32 v18, -3, v14
	v_mov_b32_e32 v19, v17
	v_add_u32_e32 v22, -1, v14
	v_mov_b32_e32 v27, v17
	v_mov_b32_e32 v23, v17
	;; [unrolled: 1-line block ×3, first 2 shown]
	v_lshl_add_u64 v[24:25], v[16:17], 3, s[8:9]
	v_lshl_add_u64 v[18:19], v[18:19], 3, s[8:9]
	v_add_u32_e32 v16, -2, v14
	v_lshl_add_u64 v[28:29], v[22:23], 3, s[8:9]
	v_lshl_add_u64 v[30:31], v[14:15], 3, s[8:9]
	global_load_dwordx4 v[22:25], v[24:25], off
	v_lshl_add_u64 v[32:33], v[16:17], 3, s[8:9]
	global_load_dwordx2 v[34:35], v[18:19], off
	global_load_dwordx2 v[36:37], v[30:31], off
	;; [unrolled: 1-line block ×4, first 2 shown]
	v_add_u32_e32 v8, 8, v8
	v_cmp_ge_i32_e32 vcc, v8, v20
	v_add_u32_e32 v14, 48, v14
	s_or_b64 s[2:3], vcc, s[2:3]
	s_waitcnt vmcnt(5)
	v_subrev_u32_e32 v9, s12, v9
	v_lshlrev_b32_e32 v26, 1, v9
	v_lshl_add_u64 v[18:19], v[26:27], 3, s[10:11]
	global_load_dwordx4 v[26:29], v[18:19], off
	s_waitcnt vmcnt(5)
	v_xor_b32_e32 v18, 0x80000000, v25
	v_mov_b32_e32 v19, v24
	s_waitcnt vmcnt(0)
	v_pk_fma_f32 v[12:13], v[22:23], v[26:27], v[12:13] op_sel_hi:[1,0,1]
	v_pk_fma_f32 v[10:11], v[34:35], v[26:27], v[10:11] op_sel_hi:[1,0,1]
	;; [unrolled: 1-line block ×3, first 2 shown]
	v_pk_fma_f32 v[12:13], v[22:23], v[26:27], v[12:13] op_sel:[1,1,0] op_sel_hi:[0,1,1] neg_lo:[1,0,0]
	v_pk_fma_f32 v[10:11], v[34:35], v[26:27], v[10:11] op_sel:[1,1,0] op_sel_hi:[0,1,1] neg_lo:[1,0,0]
	;; [unrolled: 1-line block ×3, first 2 shown]
	v_mov_b32_e32 v16, v29
	v_pk_fma_f32 v[12:13], v[24:25], v[28:29], v[12:13] op_sel_hi:[1,0,1]
	v_pk_fma_f32 v[10:11], v[38:39], v[28:29], v[10:11] op_sel_hi:[1,0,1]
	;; [unrolled: 1-line block ×4, first 2 shown]
	v_pk_fma_f32 v[10:11], v[38:39], v[16:17], v[10:11] op_sel:[1,0,0] op_sel_hi:[0,0,1] neg_lo:[1,0,0]
	v_pk_fma_f32 v[0:1], v[36:37], v[16:17], v[0:1] op_sel:[1,0,0] op_sel_hi:[0,0,1] neg_lo:[1,0,0]
	s_andn2_b64 exec, exec, s[2:3]
	s_cbranch_execnz .LBB80_21
; %bb.22:
	s_or_b64 exec, exec, s[2:3]
.LBB80_23:
	s_or_b64 exec, exec, s[4:5]
.LBB80_24:
	v_mov_b32_dpp v8, v12 row_shr:1 row_mask:0xf bank_mask:0xf
	v_add_f32_e32 v8, v12, v8
	v_mov_b32_dpp v12, v13 row_shr:1 row_mask:0xf bank_mask:0xf
	v_add_f32_e32 v12, v13, v12
	;; [unrolled: 2-line block ×5, first 2 shown]
	v_mov_b32_dpp v9, v8 row_shr:4 row_mask:0xf bank_mask:0xe
	v_mov_b32_dpp v14, v13 row_shr:4 row_mask:0xf bank_mask:0xe
	;; [unrolled: 1-line block ×3, first 2 shown]
	v_add_f32_e32 v10, v10, v12
	v_cmp_eq_u32_e32 vcc, 7, v7
	v_mov_b32_dpp v12, v11 row_shr:1 row_mask:0xf bank_mask:0xf
	v_add_f32_e32 v11, v11, v12
	v_mov_b32_dpp v15, v10 row_shr:4 row_mask:0xf bank_mask:0xe
	s_nop 0
	v_mov_b32_dpp v12, v11 row_shr:2 row_mask:0xf bank_mask:0xf
	v_add_f32_e32 v11, v11, v12
	s_nop 0
	v_mov_b32_dpp v12, v0 row_shr:1 row_mask:0xf bank_mask:0xf
	v_add_f32_e32 v0, v0, v12
	v_mov_b32_dpp v17, v11 row_shr:4 row_mask:0xf bank_mask:0xe
	s_nop 0
	v_mov_b32_dpp v12, v0 row_shr:2 row_mask:0xf bank_mask:0xf
	v_add_f32_e32 v0, v0, v12
	s_nop 0
	;; [unrolled: 7-line block ×3, first 2 shown]
	v_mov_b32_dpp v19, v1 row_shr:4 row_mask:0xf bank_mask:0xe
	s_and_b64 exec, exec, vcc
	s_cbranch_execz .LBB80_29
; %bb.25:
	s_load_dwordx2 s[2:3], s[0:1], 0x38
	v_add_f32_e32 v12, v8, v9
	v_add_f32_e32 v8, v1, v19
	v_and_b32_e32 v1, 0x7fffffff, v4
	v_cmp_eq_u32_e32 vcc, 0, v1
	v_cmp_eq_f32_e64 s[0:1], 0, v5
	v_add_f32_e32 v16, v13, v14
	v_add_f32_e32 v10, v10, v15
	;; [unrolled: 1-line block ×4, first 2 shown]
	s_and_b64 s[0:1], vcc, s[0:1]
	s_and_saveexec_b64 s[4:5], s[0:1]
	s_xor_b64 s[0:1], exec, s[4:5]
	s_cbranch_execz .LBB80_27
; %bb.26:
	v_lshl_add_u32 v4, v6, 1, v6
	v_xor_b32_e32 v18, 0x80000000, v3
	v_ashrrev_i32_e32 v5, 31, v4
	v_mov_b32_e32 v19, v2
	s_waitcnt lgkmcnt(0)
	v_lshl_add_u64 v[20:21], v[4:5], 3, s[2:3]
	v_pk_mul_f32 v[4:5], v[16:17], v[18:19] op_sel_hi:[0,1]
	v_pk_mul_f32 v[6:7], v[14:15], v[18:19] op_sel_hi:[0,1]
	v_pk_fma_f32 v[4:5], v[2:3], v[12:13], v[4:5] op_sel_hi:[1,0,1]
	v_pk_fma_f32 v[6:7], v[2:3], v[10:11], v[6:7] op_sel_hi:[1,0,1]
	global_store_dwordx4 v[20:21], v[4:7], off
                                        ; implicit-def: $vgpr6
                                        ; implicit-def: $vgpr12
                                        ; implicit-def: $vgpr16
                                        ; implicit-def: $vgpr10
                                        ; implicit-def: $vgpr14
	s_nop 1
	v_pk_mul_f32 v[4:5], v[8:9], v[18:19] op_sel_hi:[0,1]
	v_pk_fma_f32 v[0:1], v[2:3], v[0:1], v[4:5] op_sel_hi:[1,0,1]
	global_store_dwordx2 v[20:21], v[0:1], off offset:16
                                        ; implicit-def: $vgpr3
                                        ; implicit-def: $vgpr4
                                        ; implicit-def: $vgpr0
                                        ; implicit-def: $vgpr8
.LBB80_27:
	s_andn2_saveexec_b64 s[0:1], s[0:1]
	s_cbranch_execz .LBB80_29
; %bb.28:
	v_lshl_add_u32 v6, v6, 1, v6
	v_ashrrev_i32_e32 v7, 31, v6
	s_waitcnt lgkmcnt(0)
	v_lshl_add_u64 v[6:7], v[6:7], 3, s[2:3]
	global_load_dwordx4 v[18:21], v[6:7], off
	global_load_dwordx2 v[22:23], v[6:7], off offset:16
	v_xor_b32_e32 v24, 0x80000000, v3
	v_mov_b32_e32 v25, v2
	v_pk_mul_f32 v[16:17], v[16:17], v[24:25] op_sel_hi:[0,1]
	v_pk_mul_f32 v[14:15], v[14:15], v[24:25] op_sel_hi:[0,1]
	v_pk_mul_f32 v[8:9], v[8:9], v[24:25] op_sel_hi:[0,1]
	v_pk_fma_f32 v[12:13], v[2:3], v[12:13], v[16:17] op_sel_hi:[1,0,1]
	v_pk_fma_f32 v[10:11], v[2:3], v[10:11], v[14:15] op_sel_hi:[1,0,1]
	v_xor_b32_e32 v26, 0x80000000, v5
	v_mov_b32_e32 v27, v4
	v_pk_fma_f32 v[0:1], v[2:3], v[0:1], v[8:9] op_sel_hi:[1,0,1]
	s_waitcnt vmcnt(1)
	v_pk_fma_f32 v[2:3], v[4:5], v[18:19], v[12:13] op_sel_hi:[1,0,1]
	v_pk_fma_f32 v[8:9], v[4:5], v[20:21], v[10:11] op_sel_hi:[1,0,1]
	v_mov_b32_e32 v10, v21
	s_waitcnt vmcnt(0)
	v_pk_fma_f32 v[4:5], v[4:5], v[22:23], v[0:1] op_sel_hi:[1,0,1]
	v_pk_fma_f32 v[0:1], v[26:27], v[18:19], v[2:3] op_sel:[0,1,0]
	v_pk_fma_f32 v[2:3], v[26:27], v[10:11], v[8:9] op_sel_hi:[1,0,1]
	v_pk_fma_f32 v[4:5], v[26:27], v[22:23], v[4:5] op_sel:[0,1,0]
	global_store_dwordx4 v[6:7], v[0:3], off
	global_store_dwordx2 v[6:7], v[4:5], off offset:16
.LBB80_29:
	s_endpgm
	.section	.rodata,"a",@progbits
	.p2align	6, 0x0
	.amdhsa_kernel _ZN9rocsparseL19gebsrmvn_3xn_kernelILj128ELj2ELj8E21rocsparse_complex_numIfEEEvi20rocsparse_direction_NS_24const_host_device_scalarIT2_EEPKiS8_PKS5_SA_S6_PS5_21rocsparse_index_base_b
		.amdhsa_group_segment_fixed_size 0
		.amdhsa_private_segment_fixed_size 0
		.amdhsa_kernarg_size 72
		.amdhsa_user_sgpr_count 2
		.amdhsa_user_sgpr_dispatch_ptr 0
		.amdhsa_user_sgpr_queue_ptr 0
		.amdhsa_user_sgpr_kernarg_segment_ptr 1
		.amdhsa_user_sgpr_dispatch_id 0
		.amdhsa_user_sgpr_kernarg_preload_length 0
		.amdhsa_user_sgpr_kernarg_preload_offset 0
		.amdhsa_user_sgpr_private_segment_size 0
		.amdhsa_uses_dynamic_stack 0
		.amdhsa_enable_private_segment 0
		.amdhsa_system_sgpr_workgroup_id_x 1
		.amdhsa_system_sgpr_workgroup_id_y 0
		.amdhsa_system_sgpr_workgroup_id_z 0
		.amdhsa_system_sgpr_workgroup_info 0
		.amdhsa_system_vgpr_workitem_id 0
		.amdhsa_next_free_vgpr 44
		.amdhsa_next_free_sgpr 16
		.amdhsa_accum_offset 44
		.amdhsa_reserve_vcc 1
		.amdhsa_float_round_mode_32 0
		.amdhsa_float_round_mode_16_64 0
		.amdhsa_float_denorm_mode_32 3
		.amdhsa_float_denorm_mode_16_64 3
		.amdhsa_dx10_clamp 1
		.amdhsa_ieee_mode 1
		.amdhsa_fp16_overflow 0
		.amdhsa_tg_split 0
		.amdhsa_exception_fp_ieee_invalid_op 0
		.amdhsa_exception_fp_denorm_src 0
		.amdhsa_exception_fp_ieee_div_zero 0
		.amdhsa_exception_fp_ieee_overflow 0
		.amdhsa_exception_fp_ieee_underflow 0
		.amdhsa_exception_fp_ieee_inexact 0
		.amdhsa_exception_int_div_zero 0
	.end_amdhsa_kernel
	.section	.text._ZN9rocsparseL19gebsrmvn_3xn_kernelILj128ELj2ELj8E21rocsparse_complex_numIfEEEvi20rocsparse_direction_NS_24const_host_device_scalarIT2_EEPKiS8_PKS5_SA_S6_PS5_21rocsparse_index_base_b,"axG",@progbits,_ZN9rocsparseL19gebsrmvn_3xn_kernelILj128ELj2ELj8E21rocsparse_complex_numIfEEEvi20rocsparse_direction_NS_24const_host_device_scalarIT2_EEPKiS8_PKS5_SA_S6_PS5_21rocsparse_index_base_b,comdat
.Lfunc_end80:
	.size	_ZN9rocsparseL19gebsrmvn_3xn_kernelILj128ELj2ELj8E21rocsparse_complex_numIfEEEvi20rocsparse_direction_NS_24const_host_device_scalarIT2_EEPKiS8_PKS5_SA_S6_PS5_21rocsparse_index_base_b, .Lfunc_end80-_ZN9rocsparseL19gebsrmvn_3xn_kernelILj128ELj2ELj8E21rocsparse_complex_numIfEEEvi20rocsparse_direction_NS_24const_host_device_scalarIT2_EEPKiS8_PKS5_SA_S6_PS5_21rocsparse_index_base_b
                                        ; -- End function
	.section	.AMDGPU.csdata,"",@progbits
; Kernel info:
; codeLenInByte = 1732
; NumSgprs: 22
; NumVgprs: 44
; NumAgprs: 0
; TotalNumVgprs: 44
; ScratchSize: 0
; MemoryBound: 0
; FloatMode: 240
; IeeeMode: 1
; LDSByteSize: 0 bytes/workgroup (compile time only)
; SGPRBlocks: 2
; VGPRBlocks: 5
; NumSGPRsForWavesPerEU: 22
; NumVGPRsForWavesPerEU: 44
; AccumOffset: 44
; Occupancy: 8
; WaveLimiterHint : 1
; COMPUTE_PGM_RSRC2:SCRATCH_EN: 0
; COMPUTE_PGM_RSRC2:USER_SGPR: 2
; COMPUTE_PGM_RSRC2:TRAP_HANDLER: 0
; COMPUTE_PGM_RSRC2:TGID_X_EN: 1
; COMPUTE_PGM_RSRC2:TGID_Y_EN: 0
; COMPUTE_PGM_RSRC2:TGID_Z_EN: 0
; COMPUTE_PGM_RSRC2:TIDIG_COMP_CNT: 0
; COMPUTE_PGM_RSRC3_GFX90A:ACCUM_OFFSET: 10
; COMPUTE_PGM_RSRC3_GFX90A:TG_SPLIT: 0
	.section	.text._ZN9rocsparseL19gebsrmvn_3xn_kernelILj128ELj2ELj16E21rocsparse_complex_numIfEEEvi20rocsparse_direction_NS_24const_host_device_scalarIT2_EEPKiS8_PKS5_SA_S6_PS5_21rocsparse_index_base_b,"axG",@progbits,_ZN9rocsparseL19gebsrmvn_3xn_kernelILj128ELj2ELj16E21rocsparse_complex_numIfEEEvi20rocsparse_direction_NS_24const_host_device_scalarIT2_EEPKiS8_PKS5_SA_S6_PS5_21rocsparse_index_base_b,comdat
	.globl	_ZN9rocsparseL19gebsrmvn_3xn_kernelILj128ELj2ELj16E21rocsparse_complex_numIfEEEvi20rocsparse_direction_NS_24const_host_device_scalarIT2_EEPKiS8_PKS5_SA_S6_PS5_21rocsparse_index_base_b ; -- Begin function _ZN9rocsparseL19gebsrmvn_3xn_kernelILj128ELj2ELj16E21rocsparse_complex_numIfEEEvi20rocsparse_direction_NS_24const_host_device_scalarIT2_EEPKiS8_PKS5_SA_S6_PS5_21rocsparse_index_base_b
	.p2align	8
	.type	_ZN9rocsparseL19gebsrmvn_3xn_kernelILj128ELj2ELj16E21rocsparse_complex_numIfEEEvi20rocsparse_direction_NS_24const_host_device_scalarIT2_EEPKiS8_PKS5_SA_S6_PS5_21rocsparse_index_base_b,@function
_ZN9rocsparseL19gebsrmvn_3xn_kernelILj128ELj2ELj16E21rocsparse_complex_numIfEEEvi20rocsparse_direction_NS_24const_host_device_scalarIT2_EEPKiS8_PKS5_SA_S6_PS5_21rocsparse_index_base_b: ; @_ZN9rocsparseL19gebsrmvn_3xn_kernelILj128ELj2ELj16E21rocsparse_complex_numIfEEEvi20rocsparse_direction_NS_24const_host_device_scalarIT2_EEPKiS8_PKS5_SA_S6_PS5_21rocsparse_index_base_b
; %bb.0:
	s_load_dwordx2 s[12:13], s[0:1], 0x40
	s_load_dwordx2 s[8:9], s[0:1], 0x8
	;; [unrolled: 1-line block ×3, first 2 shown]
	s_waitcnt lgkmcnt(0)
	s_bitcmp1_b32 s13, 0
	s_cselect_b64 s[4:5], -1, 0
	s_xor_b64 s[10:11], s[4:5], -1
	s_and_b64 vcc, exec, s[4:5]
	v_mov_b32_e32 v2, s8
	s_cbranch_vccnz .LBB81_2
; %bb.1:
	v_mov_b64_e32 v[2:3], s[8:9]
	flat_load_dword v2, v[2:3]
.LBB81_2:
	v_cndmask_b32_e64 v1, 0, 1, s[10:11]
	v_cmp_ne_u32_e64 s[4:5], 1, v1
	s_andn2_b64 vcc, exec, s[10:11]
	v_mov_b32_e32 v3, s9
	s_cbranch_vccz .LBB81_16
; %bb.3:
	s_and_b64 vcc, exec, s[4:5]
	v_mov_b32_e32 v4, s6
	s_cbranch_vccz .LBB81_17
.LBB81_4:
	s_and_b64 vcc, exec, s[4:5]
	v_mov_b32_e32 v5, s7
	s_cbranch_vccnz .LBB81_6
.LBB81_5:
	v_mov_b64_e32 v[6:7], s[6:7]
	flat_load_dword v5, v[6:7] offset:4
.LBB81_6:
	s_waitcnt vmcnt(0) lgkmcnt(0)
	v_and_b32_e32 v1, 0x7fffffff, v2
	v_cmp_eq_u32_e32 vcc, 0, v1
	v_cmp_eq_f32_e64 s[4:5], 0, v3
	s_and_b64 s[8:9], vcc, s[4:5]
	s_mov_b64 s[4:5], -1
	s_and_saveexec_b64 s[6:7], s[8:9]
; %bb.7:
	v_and_b32_e32 v1, 0x7fffffff, v5
	v_cmp_neq_f32_e32 vcc, 1.0, v4
	v_cmp_ne_u32_e64 s[4:5], 0, v1
	s_or_b64 s[4:5], vcc, s[4:5]
	s_orn2_b64 s[4:5], s[4:5], exec
; %bb.8:
	s_or_b64 exec, exec, s[6:7]
	s_and_saveexec_b64 s[6:7], s[4:5]
	s_cbranch_execz .LBB81_29
; %bb.9:
	s_load_dwordx2 s[14:15], s[0:1], 0x0
	v_lshrrev_b32_e32 v1, 4, v0
	v_lshl_or_b32 v6, s2, 3, v1
	s_waitcnt lgkmcnt(0)
	v_cmp_gt_i32_e32 vcc, s14, v6
	s_and_b64 exec, exec, vcc
	s_cbranch_execz .LBB81_29
; %bb.10:
	s_load_dwordx8 s[4:11], s[0:1], 0x10
	v_ashrrev_i32_e32 v7, 31, v6
	s_cmp_lg_u32 s15, 0
	s_waitcnt lgkmcnt(0)
	v_lshl_add_u64 v[8:9], v[6:7], 2, s[4:5]
	global_load_dwordx2 v[8:9], v[8:9], off
	v_and_b32_e32 v7, 15, v0
	s_waitcnt vmcnt(0)
	v_subrev_u32_e32 v0, s12, v8
	v_subrev_u32_e32 v20, s12, v9
	v_add_u32_e32 v8, v0, v7
	v_cmp_lt_i32_e64 s[2:3], v8, v20
	s_cbranch_scc0 .LBB81_18
; %bb.11:
	v_mov_b32_e32 v13, 0
	v_mov_b32_e32 v12, v13
	;; [unrolled: 1-line block ×6, first 2 shown]
	s_and_saveexec_b64 s[4:5], s[2:3]
	s_cbranch_execz .LBB81_15
; %bb.12:
	v_mad_u64_u32 v[14:15], s[14:15], v8, 6, 5
	v_mov_b32_e32 v17, 0
	s_mov_b64 s[14:15], 0
	v_mov_b32_e32 v18, v8
	v_mov_b32_e32 v10, v17
	;; [unrolled: 1-line block ×7, first 2 shown]
.LBB81_13:                              ; =>This Inner Loop Header: Depth=1
	v_ashrrev_i32_e32 v19, 31, v18
	v_lshl_add_u64 v[22:23], v[18:19], 2, s[6:7]
	global_load_dword v9, v[22:23], off
	v_add_u32_e32 v16, -5, v14
	v_lshl_add_u64 v[22:23], v[16:17], 3, s[8:9]
	v_add_u32_e32 v16, -3, v14
	v_mov_b32_e32 v27, v17
	v_mov_b32_e32 v15, v17
	v_lshl_add_u64 v[30:31], v[16:17], 3, s[8:9]
	v_add_u32_e32 v16, -2, v14
	v_lshl_add_u64 v[28:29], v[14:15], 3, s[8:9]
	v_lshl_add_u64 v[32:33], v[16:17], 3, s[8:9]
	v_add_u32_e32 v16, -1, v14
	global_load_dwordx4 v[22:25], v[22:23], off
	v_lshl_add_u64 v[34:35], v[16:17], 3, s[8:9]
	global_load_dwordx2 v[36:37], v[32:33], off
	global_load_dwordx2 v[38:39], v[34:35], off
	;; [unrolled: 1-line block ×4, first 2 shown]
	v_add_u32_e32 v18, 16, v18
	v_cmp_ge_i32_e32 vcc, v18, v20
	v_add_u32_e32 v14, 0x60, v14
	s_or_b64 s[14:15], vcc, s[14:15]
	s_waitcnt vmcnt(5)
	v_subrev_u32_e32 v9, s12, v9
	v_lshlrev_b32_e32 v26, 1, v9
	v_lshl_add_u64 v[26:27], v[26:27], 3, s[10:11]
	global_load_dwordx4 v[26:29], v[26:27], off
	s_waitcnt vmcnt(5)
	v_xor_b32_e32 v30, 0x80000000, v25
	v_mov_b32_e32 v31, v24
	s_waitcnt vmcnt(0)
	v_pk_fma_f32 v[12:13], v[22:23], v[26:27], v[12:13] op_sel_hi:[1,0,1]
	v_pk_fma_f32 v[10:11], v[24:25], v[26:27], v[10:11] op_sel_hi:[1,0,1]
	;; [unrolled: 1-line block ×3, first 2 shown]
	v_pk_fma_f32 v[12:13], v[22:23], v[26:27], v[12:13] op_sel:[1,1,0] op_sel_hi:[0,1,1] neg_lo:[1,0,0]
	v_pk_fma_f32 v[10:11], v[30:31], v[26:27], v[10:11] op_sel:[0,1,0]
	v_pk_fma_f32 v[0:1], v[42:43], v[26:27], v[0:1] op_sel:[1,1,0] op_sel_hi:[0,1,1] neg_lo:[1,0,0]
	v_mov_b32_e32 v16, v29
	v_pk_fma_f32 v[12:13], v[36:37], v[28:29], v[12:13] op_sel_hi:[1,0,1]
	v_pk_fma_f32 v[10:11], v[38:39], v[28:29], v[10:11] op_sel_hi:[1,0,1]
	v_pk_fma_f32 v[0:1], v[40:41], v[28:29], v[0:1] op_sel_hi:[1,0,1]
	v_pk_fma_f32 v[12:13], v[36:37], v[16:17], v[12:13] op_sel:[1,0,0] op_sel_hi:[0,0,1] neg_lo:[1,0,0]
	v_pk_fma_f32 v[10:11], v[38:39], v[16:17], v[10:11] op_sel:[1,0,0] op_sel_hi:[0,0,1] neg_lo:[1,0,0]
	;; [unrolled: 1-line block ×3, first 2 shown]
	s_andn2_b64 exec, exec, s[14:15]
	s_cbranch_execnz .LBB81_13
; %bb.14:
	s_or_b64 exec, exec, s[14:15]
.LBB81_15:
	s_or_b64 exec, exec, s[4:5]
	s_cbranch_execz .LBB81_19
	s_branch .LBB81_24
.LBB81_16:
	v_mov_b64_e32 v[4:5], s[8:9]
	flat_load_dword v3, v[4:5] offset:4
	s_and_b64 vcc, exec, s[4:5]
	v_mov_b32_e32 v4, s6
	s_cbranch_vccnz .LBB81_4
.LBB81_17:
	v_mov_b64_e32 v[4:5], s[6:7]
	flat_load_dword v4, v[4:5]
	s_and_b64 vcc, exec, s[4:5]
	v_mov_b32_e32 v5, s7
	s_cbranch_vccz .LBB81_5
	s_branch .LBB81_6
.LBB81_18:
                                        ; implicit-def: $vgpr13
                                        ; implicit-def: $vgpr1
                                        ; implicit-def: $vgpr11
.LBB81_19:
	v_mov_b32_e32 v13, 0
	v_mov_b32_e32 v12, v13
	;; [unrolled: 1-line block ×6, first 2 shown]
	s_and_saveexec_b64 s[4:5], s[2:3]
	s_cbranch_execz .LBB81_23
; %bb.20:
	v_mad_u64_u32 v[14:15], s[2:3], v8, 6, 5
	v_mov_b32_e32 v17, 0
	s_mov_b64 s[2:3], 0
	v_mov_b32_e32 v10, v17
	v_mov_b32_e32 v11, v17
	;; [unrolled: 1-line block ×6, first 2 shown]
.LBB81_21:                              ; =>This Inner Loop Header: Depth=1
	v_ashrrev_i32_e32 v9, 31, v8
	v_lshl_add_u64 v[18:19], v[8:9], 2, s[6:7]
	global_load_dword v9, v[18:19], off
	v_add_u32_e32 v16, -5, v14
	v_add_u32_e32 v18, -3, v14
	v_mov_b32_e32 v19, v17
	v_add_u32_e32 v22, -1, v14
	v_mov_b32_e32 v27, v17
	v_mov_b32_e32 v23, v17
	;; [unrolled: 1-line block ×3, first 2 shown]
	v_lshl_add_u64 v[24:25], v[16:17], 3, s[8:9]
	v_lshl_add_u64 v[18:19], v[18:19], 3, s[8:9]
	v_add_u32_e32 v16, -2, v14
	v_lshl_add_u64 v[28:29], v[22:23], 3, s[8:9]
	v_lshl_add_u64 v[30:31], v[14:15], 3, s[8:9]
	global_load_dwordx4 v[22:25], v[24:25], off
	v_lshl_add_u64 v[32:33], v[16:17], 3, s[8:9]
	global_load_dwordx2 v[34:35], v[18:19], off
	global_load_dwordx2 v[36:37], v[30:31], off
	;; [unrolled: 1-line block ×4, first 2 shown]
	v_add_u32_e32 v8, 16, v8
	v_cmp_ge_i32_e32 vcc, v8, v20
	v_add_u32_e32 v14, 0x60, v14
	s_or_b64 s[2:3], vcc, s[2:3]
	s_waitcnt vmcnt(5)
	v_subrev_u32_e32 v9, s12, v9
	v_lshlrev_b32_e32 v26, 1, v9
	v_lshl_add_u64 v[18:19], v[26:27], 3, s[10:11]
	global_load_dwordx4 v[26:29], v[18:19], off
	s_waitcnt vmcnt(5)
	v_xor_b32_e32 v18, 0x80000000, v25
	v_mov_b32_e32 v19, v24
	s_waitcnt vmcnt(0)
	v_pk_fma_f32 v[12:13], v[22:23], v[26:27], v[12:13] op_sel_hi:[1,0,1]
	v_pk_fma_f32 v[10:11], v[34:35], v[26:27], v[10:11] op_sel_hi:[1,0,1]
	;; [unrolled: 1-line block ×3, first 2 shown]
	v_pk_fma_f32 v[12:13], v[22:23], v[26:27], v[12:13] op_sel:[1,1,0] op_sel_hi:[0,1,1] neg_lo:[1,0,0]
	v_pk_fma_f32 v[10:11], v[34:35], v[26:27], v[10:11] op_sel:[1,1,0] op_sel_hi:[0,1,1] neg_lo:[1,0,0]
	;; [unrolled: 1-line block ×3, first 2 shown]
	v_mov_b32_e32 v16, v29
	v_pk_fma_f32 v[12:13], v[24:25], v[28:29], v[12:13] op_sel_hi:[1,0,1]
	v_pk_fma_f32 v[10:11], v[38:39], v[28:29], v[10:11] op_sel_hi:[1,0,1]
	;; [unrolled: 1-line block ×4, first 2 shown]
	v_pk_fma_f32 v[10:11], v[38:39], v[16:17], v[10:11] op_sel:[1,0,0] op_sel_hi:[0,0,1] neg_lo:[1,0,0]
	v_pk_fma_f32 v[0:1], v[36:37], v[16:17], v[0:1] op_sel:[1,0,0] op_sel_hi:[0,0,1] neg_lo:[1,0,0]
	s_andn2_b64 exec, exec, s[2:3]
	s_cbranch_execnz .LBB81_21
; %bb.22:
	s_or_b64 exec, exec, s[2:3]
.LBB81_23:
	s_or_b64 exec, exec, s[4:5]
.LBB81_24:
	v_mov_b32_dpp v8, v12 row_shr:1 row_mask:0xf bank_mask:0xf
	v_add_f32_e32 v8, v12, v8
	v_mov_b32_dpp v12, v13 row_shr:1 row_mask:0xf bank_mask:0xf
	v_add_f32_e32 v12, v13, v12
	;; [unrolled: 2-line block ×7, first 2 shown]
	v_mov_b32_dpp v9, v8 row_shr:8 row_mask:0xf bank_mask:0xc
	v_mov_b32_dpp v14, v13 row_shr:8 row_mask:0xf bank_mask:0xc
	;; [unrolled: 1-line block ×3, first 2 shown]
	v_add_f32_e32 v10, v10, v12
	v_cmp_eq_u32_e32 vcc, 15, v7
	s_nop 0
	v_mov_b32_dpp v12, v10 row_shr:4 row_mask:0xf bank_mask:0xe
	v_add_f32_e32 v10, v10, v12
	s_nop 0
	v_mov_b32_dpp v12, v11 row_shr:1 row_mask:0xf bank_mask:0xf
	v_add_f32_e32 v11, v11, v12
	v_mov_b32_dpp v15, v10 row_shr:8 row_mask:0xf bank_mask:0xc
	s_nop 0
	v_mov_b32_dpp v12, v11 row_shr:2 row_mask:0xf bank_mask:0xf
	v_add_f32_e32 v11, v11, v12
	s_nop 1
	v_mov_b32_dpp v12, v11 row_shr:4 row_mask:0xf bank_mask:0xe
	v_add_f32_e32 v11, v11, v12
	s_nop 0
	v_mov_b32_dpp v12, v0 row_shr:1 row_mask:0xf bank_mask:0xf
	v_add_f32_e32 v0, v0, v12
	v_mov_b32_dpp v17, v11 row_shr:8 row_mask:0xf bank_mask:0xc
	s_nop 0
	v_mov_b32_dpp v12, v0 row_shr:2 row_mask:0xf bank_mask:0xf
	v_add_f32_e32 v0, v0, v12
	;; [unrolled: 10-line block ×3, first 2 shown]
	s_nop 1
	v_mov_b32_dpp v12, v1 row_shr:4 row_mask:0xf bank_mask:0xe
	v_add_f32_e32 v1, v1, v12
	s_nop 1
	v_mov_b32_dpp v19, v1 row_shr:8 row_mask:0xf bank_mask:0xc
	s_and_b64 exec, exec, vcc
	s_cbranch_execz .LBB81_29
; %bb.25:
	s_load_dwordx2 s[2:3], s[0:1], 0x38
	v_add_f32_e32 v12, v8, v9
	v_add_f32_e32 v8, v1, v19
	v_and_b32_e32 v1, 0x7fffffff, v4
	v_cmp_eq_u32_e32 vcc, 0, v1
	v_cmp_eq_f32_e64 s[0:1], 0, v5
	v_add_f32_e32 v16, v13, v14
	v_add_f32_e32 v10, v10, v15
	;; [unrolled: 1-line block ×4, first 2 shown]
	s_and_b64 s[0:1], vcc, s[0:1]
	s_and_saveexec_b64 s[4:5], s[0:1]
	s_xor_b64 s[0:1], exec, s[4:5]
	s_cbranch_execz .LBB81_27
; %bb.26:
	v_lshl_add_u32 v4, v6, 1, v6
	v_xor_b32_e32 v18, 0x80000000, v3
	v_ashrrev_i32_e32 v5, 31, v4
	v_mov_b32_e32 v19, v2
	s_waitcnt lgkmcnt(0)
	v_lshl_add_u64 v[20:21], v[4:5], 3, s[2:3]
	v_pk_mul_f32 v[4:5], v[16:17], v[18:19] op_sel_hi:[0,1]
	v_pk_mul_f32 v[6:7], v[14:15], v[18:19] op_sel_hi:[0,1]
	v_pk_fma_f32 v[4:5], v[2:3], v[12:13], v[4:5] op_sel_hi:[1,0,1]
	v_pk_fma_f32 v[6:7], v[2:3], v[10:11], v[6:7] op_sel_hi:[1,0,1]
	global_store_dwordx4 v[20:21], v[4:7], off
                                        ; implicit-def: $vgpr6
                                        ; implicit-def: $vgpr12
                                        ; implicit-def: $vgpr16
                                        ; implicit-def: $vgpr10
                                        ; implicit-def: $vgpr14
	s_nop 1
	v_pk_mul_f32 v[4:5], v[8:9], v[18:19] op_sel_hi:[0,1]
	v_pk_fma_f32 v[0:1], v[2:3], v[0:1], v[4:5] op_sel_hi:[1,0,1]
	global_store_dwordx2 v[20:21], v[0:1], off offset:16
                                        ; implicit-def: $vgpr3
                                        ; implicit-def: $vgpr4
                                        ; implicit-def: $vgpr0
                                        ; implicit-def: $vgpr8
.LBB81_27:
	s_andn2_saveexec_b64 s[0:1], s[0:1]
	s_cbranch_execz .LBB81_29
; %bb.28:
	v_lshl_add_u32 v6, v6, 1, v6
	v_ashrrev_i32_e32 v7, 31, v6
	s_waitcnt lgkmcnt(0)
	v_lshl_add_u64 v[6:7], v[6:7], 3, s[2:3]
	global_load_dwordx4 v[18:21], v[6:7], off
	global_load_dwordx2 v[22:23], v[6:7], off offset:16
	v_xor_b32_e32 v24, 0x80000000, v3
	v_mov_b32_e32 v25, v2
	v_pk_mul_f32 v[16:17], v[16:17], v[24:25] op_sel_hi:[0,1]
	v_pk_mul_f32 v[14:15], v[14:15], v[24:25] op_sel_hi:[0,1]
	;; [unrolled: 1-line block ×3, first 2 shown]
	v_pk_fma_f32 v[12:13], v[2:3], v[12:13], v[16:17] op_sel_hi:[1,0,1]
	v_pk_fma_f32 v[10:11], v[2:3], v[10:11], v[14:15] op_sel_hi:[1,0,1]
	v_xor_b32_e32 v26, 0x80000000, v5
	v_mov_b32_e32 v27, v4
	v_pk_fma_f32 v[0:1], v[2:3], v[0:1], v[8:9] op_sel_hi:[1,0,1]
	s_waitcnt vmcnt(1)
	v_pk_fma_f32 v[2:3], v[4:5], v[18:19], v[12:13] op_sel_hi:[1,0,1]
	v_pk_fma_f32 v[8:9], v[4:5], v[20:21], v[10:11] op_sel_hi:[1,0,1]
	v_mov_b32_e32 v10, v21
	s_waitcnt vmcnt(0)
	v_pk_fma_f32 v[4:5], v[4:5], v[22:23], v[0:1] op_sel_hi:[1,0,1]
	v_pk_fma_f32 v[0:1], v[26:27], v[18:19], v[2:3] op_sel:[0,1,0]
	v_pk_fma_f32 v[2:3], v[26:27], v[10:11], v[8:9] op_sel_hi:[1,0,1]
	v_pk_fma_f32 v[4:5], v[26:27], v[22:23], v[4:5] op_sel:[0,1,0]
	global_store_dwordx4 v[6:7], v[0:3], off
	global_store_dwordx2 v[6:7], v[4:5], off offset:16
.LBB81_29:
	s_endpgm
	.section	.rodata,"a",@progbits
	.p2align	6, 0x0
	.amdhsa_kernel _ZN9rocsparseL19gebsrmvn_3xn_kernelILj128ELj2ELj16E21rocsparse_complex_numIfEEEvi20rocsparse_direction_NS_24const_host_device_scalarIT2_EEPKiS8_PKS5_SA_S6_PS5_21rocsparse_index_base_b
		.amdhsa_group_segment_fixed_size 0
		.amdhsa_private_segment_fixed_size 0
		.amdhsa_kernarg_size 72
		.amdhsa_user_sgpr_count 2
		.amdhsa_user_sgpr_dispatch_ptr 0
		.amdhsa_user_sgpr_queue_ptr 0
		.amdhsa_user_sgpr_kernarg_segment_ptr 1
		.amdhsa_user_sgpr_dispatch_id 0
		.amdhsa_user_sgpr_kernarg_preload_length 0
		.amdhsa_user_sgpr_kernarg_preload_offset 0
		.amdhsa_user_sgpr_private_segment_size 0
		.amdhsa_uses_dynamic_stack 0
		.amdhsa_enable_private_segment 0
		.amdhsa_system_sgpr_workgroup_id_x 1
		.amdhsa_system_sgpr_workgroup_id_y 0
		.amdhsa_system_sgpr_workgroup_id_z 0
		.amdhsa_system_sgpr_workgroup_info 0
		.amdhsa_system_vgpr_workitem_id 0
		.amdhsa_next_free_vgpr 44
		.amdhsa_next_free_sgpr 16
		.amdhsa_accum_offset 44
		.amdhsa_reserve_vcc 1
		.amdhsa_float_round_mode_32 0
		.amdhsa_float_round_mode_16_64 0
		.amdhsa_float_denorm_mode_32 3
		.amdhsa_float_denorm_mode_16_64 3
		.amdhsa_dx10_clamp 1
		.amdhsa_ieee_mode 1
		.amdhsa_fp16_overflow 0
		.amdhsa_tg_split 0
		.amdhsa_exception_fp_ieee_invalid_op 0
		.amdhsa_exception_fp_denorm_src 0
		.amdhsa_exception_fp_ieee_div_zero 0
		.amdhsa_exception_fp_ieee_overflow 0
		.amdhsa_exception_fp_ieee_underflow 0
		.amdhsa_exception_fp_ieee_inexact 0
		.amdhsa_exception_int_div_zero 0
	.end_amdhsa_kernel
	.section	.text._ZN9rocsparseL19gebsrmvn_3xn_kernelILj128ELj2ELj16E21rocsparse_complex_numIfEEEvi20rocsparse_direction_NS_24const_host_device_scalarIT2_EEPKiS8_PKS5_SA_S6_PS5_21rocsparse_index_base_b,"axG",@progbits,_ZN9rocsparseL19gebsrmvn_3xn_kernelILj128ELj2ELj16E21rocsparse_complex_numIfEEEvi20rocsparse_direction_NS_24const_host_device_scalarIT2_EEPKiS8_PKS5_SA_S6_PS5_21rocsparse_index_base_b,comdat
.Lfunc_end81:
	.size	_ZN9rocsparseL19gebsrmvn_3xn_kernelILj128ELj2ELj16E21rocsparse_complex_numIfEEEvi20rocsparse_direction_NS_24const_host_device_scalarIT2_EEPKiS8_PKS5_SA_S6_PS5_21rocsparse_index_base_b, .Lfunc_end81-_ZN9rocsparseL19gebsrmvn_3xn_kernelILj128ELj2ELj16E21rocsparse_complex_numIfEEEvi20rocsparse_direction_NS_24const_host_device_scalarIT2_EEPKiS8_PKS5_SA_S6_PS5_21rocsparse_index_base_b
                                        ; -- End function
	.section	.AMDGPU.csdata,"",@progbits
; Kernel info:
; codeLenInByte = 1832
; NumSgprs: 22
; NumVgprs: 44
; NumAgprs: 0
; TotalNumVgprs: 44
; ScratchSize: 0
; MemoryBound: 0
; FloatMode: 240
; IeeeMode: 1
; LDSByteSize: 0 bytes/workgroup (compile time only)
; SGPRBlocks: 2
; VGPRBlocks: 5
; NumSGPRsForWavesPerEU: 22
; NumVGPRsForWavesPerEU: 44
; AccumOffset: 44
; Occupancy: 8
; WaveLimiterHint : 1
; COMPUTE_PGM_RSRC2:SCRATCH_EN: 0
; COMPUTE_PGM_RSRC2:USER_SGPR: 2
; COMPUTE_PGM_RSRC2:TRAP_HANDLER: 0
; COMPUTE_PGM_RSRC2:TGID_X_EN: 1
; COMPUTE_PGM_RSRC2:TGID_Y_EN: 0
; COMPUTE_PGM_RSRC2:TGID_Z_EN: 0
; COMPUTE_PGM_RSRC2:TIDIG_COMP_CNT: 0
; COMPUTE_PGM_RSRC3_GFX90A:ACCUM_OFFSET: 10
; COMPUTE_PGM_RSRC3_GFX90A:TG_SPLIT: 0
	.section	.text._ZN9rocsparseL19gebsrmvn_3xn_kernelILj128ELj2ELj32E21rocsparse_complex_numIfEEEvi20rocsparse_direction_NS_24const_host_device_scalarIT2_EEPKiS8_PKS5_SA_S6_PS5_21rocsparse_index_base_b,"axG",@progbits,_ZN9rocsparseL19gebsrmvn_3xn_kernelILj128ELj2ELj32E21rocsparse_complex_numIfEEEvi20rocsparse_direction_NS_24const_host_device_scalarIT2_EEPKiS8_PKS5_SA_S6_PS5_21rocsparse_index_base_b,comdat
	.globl	_ZN9rocsparseL19gebsrmvn_3xn_kernelILj128ELj2ELj32E21rocsparse_complex_numIfEEEvi20rocsparse_direction_NS_24const_host_device_scalarIT2_EEPKiS8_PKS5_SA_S6_PS5_21rocsparse_index_base_b ; -- Begin function _ZN9rocsparseL19gebsrmvn_3xn_kernelILj128ELj2ELj32E21rocsparse_complex_numIfEEEvi20rocsparse_direction_NS_24const_host_device_scalarIT2_EEPKiS8_PKS5_SA_S6_PS5_21rocsparse_index_base_b
	.p2align	8
	.type	_ZN9rocsparseL19gebsrmvn_3xn_kernelILj128ELj2ELj32E21rocsparse_complex_numIfEEEvi20rocsparse_direction_NS_24const_host_device_scalarIT2_EEPKiS8_PKS5_SA_S6_PS5_21rocsparse_index_base_b,@function
_ZN9rocsparseL19gebsrmvn_3xn_kernelILj128ELj2ELj32E21rocsparse_complex_numIfEEEvi20rocsparse_direction_NS_24const_host_device_scalarIT2_EEPKiS8_PKS5_SA_S6_PS5_21rocsparse_index_base_b: ; @_ZN9rocsparseL19gebsrmvn_3xn_kernelILj128ELj2ELj32E21rocsparse_complex_numIfEEEvi20rocsparse_direction_NS_24const_host_device_scalarIT2_EEPKiS8_PKS5_SA_S6_PS5_21rocsparse_index_base_b
; %bb.0:
	s_load_dwordx2 s[12:13], s[0:1], 0x40
	s_load_dwordx2 s[8:9], s[0:1], 0x8
	;; [unrolled: 1-line block ×3, first 2 shown]
	s_waitcnt lgkmcnt(0)
	s_bitcmp1_b32 s13, 0
	s_cselect_b64 s[4:5], -1, 0
	s_xor_b64 s[10:11], s[4:5], -1
	s_and_b64 vcc, exec, s[4:5]
	v_mov_b32_e32 v2, s8
	s_cbranch_vccnz .LBB82_2
; %bb.1:
	v_mov_b64_e32 v[2:3], s[8:9]
	flat_load_dword v2, v[2:3]
.LBB82_2:
	v_cndmask_b32_e64 v1, 0, 1, s[10:11]
	v_cmp_ne_u32_e64 s[4:5], 1, v1
	s_andn2_b64 vcc, exec, s[10:11]
	v_mov_b32_e32 v3, s9
	s_cbranch_vccz .LBB82_16
; %bb.3:
	s_and_b64 vcc, exec, s[4:5]
	v_mov_b32_e32 v4, s6
	s_cbranch_vccz .LBB82_17
.LBB82_4:
	s_and_b64 vcc, exec, s[4:5]
	v_mov_b32_e32 v5, s7
	s_cbranch_vccnz .LBB82_6
.LBB82_5:
	v_mov_b64_e32 v[6:7], s[6:7]
	flat_load_dword v5, v[6:7] offset:4
.LBB82_6:
	s_waitcnt vmcnt(0) lgkmcnt(0)
	v_and_b32_e32 v1, 0x7fffffff, v2
	v_cmp_eq_u32_e32 vcc, 0, v1
	v_cmp_eq_f32_e64 s[4:5], 0, v3
	s_and_b64 s[8:9], vcc, s[4:5]
	s_mov_b64 s[4:5], -1
	s_and_saveexec_b64 s[6:7], s[8:9]
; %bb.7:
	v_and_b32_e32 v1, 0x7fffffff, v5
	v_cmp_neq_f32_e32 vcc, 1.0, v4
	v_cmp_ne_u32_e64 s[4:5], 0, v1
	s_or_b64 s[4:5], vcc, s[4:5]
	s_orn2_b64 s[4:5], s[4:5], exec
; %bb.8:
	s_or_b64 exec, exec, s[6:7]
	s_and_saveexec_b64 s[6:7], s[4:5]
	s_cbranch_execz .LBB82_29
; %bb.9:
	s_load_dwordx2 s[14:15], s[0:1], 0x0
	v_lshrrev_b32_e32 v1, 5, v0
	v_lshl_or_b32 v6, s2, 2, v1
	s_waitcnt lgkmcnt(0)
	v_cmp_gt_i32_e32 vcc, s14, v6
	s_and_b64 exec, exec, vcc
	s_cbranch_execz .LBB82_29
; %bb.10:
	s_load_dwordx8 s[4:11], s[0:1], 0x10
	v_ashrrev_i32_e32 v7, 31, v6
	s_cmp_lg_u32 s15, 0
	s_waitcnt lgkmcnt(0)
	v_lshl_add_u64 v[8:9], v[6:7], 2, s[4:5]
	global_load_dwordx2 v[8:9], v[8:9], off
	v_and_b32_e32 v7, 31, v0
	s_waitcnt vmcnt(0)
	v_subrev_u32_e32 v0, s12, v8
	v_subrev_u32_e32 v20, s12, v9
	v_add_u32_e32 v10, v0, v7
	v_cmp_lt_i32_e64 s[2:3], v10, v20
	s_cbranch_scc0 .LBB82_18
; %bb.11:
	v_mov_b32_e32 v13, 0
	v_mov_b32_e32 v12, v13
	;; [unrolled: 1-line block ×6, first 2 shown]
	s_and_saveexec_b64 s[4:5], s[2:3]
	s_cbranch_execz .LBB82_15
; %bb.12:
	v_mad_u64_u32 v[14:15], s[14:15], v10, 6, 5
	v_mov_b32_e32 v17, 0
	s_mov_b64 s[14:15], 0
	v_mov_b32_e32 v18, v10
	v_mov_b32_e32 v8, v17
	;; [unrolled: 1-line block ×7, first 2 shown]
.LBB82_13:                              ; =>This Inner Loop Header: Depth=1
	v_ashrrev_i32_e32 v19, 31, v18
	v_lshl_add_u64 v[22:23], v[18:19], 2, s[6:7]
	global_load_dword v11, v[22:23], off
	v_add_u32_e32 v16, -5, v14
	v_lshl_add_u64 v[22:23], v[16:17], 3, s[8:9]
	v_add_u32_e32 v16, -3, v14
	v_mov_b32_e32 v27, v17
	v_mov_b32_e32 v15, v17
	v_lshl_add_u64 v[30:31], v[16:17], 3, s[8:9]
	v_add_u32_e32 v16, -2, v14
	v_lshl_add_u64 v[28:29], v[14:15], 3, s[8:9]
	v_lshl_add_u64 v[32:33], v[16:17], 3, s[8:9]
	v_add_u32_e32 v16, -1, v14
	global_load_dwordx4 v[22:25], v[22:23], off
	v_lshl_add_u64 v[34:35], v[16:17], 3, s[8:9]
	global_load_dwordx2 v[36:37], v[32:33], off
	global_load_dwordx2 v[38:39], v[34:35], off
	;; [unrolled: 1-line block ×4, first 2 shown]
	v_add_u32_e32 v18, 32, v18
	v_cmp_ge_i32_e32 vcc, v18, v20
	v_add_u32_e32 v14, 0xc0, v14
	s_or_b64 s[14:15], vcc, s[14:15]
	s_waitcnt vmcnt(5)
	v_subrev_u32_e32 v11, s12, v11
	v_lshlrev_b32_e32 v26, 1, v11
	v_lshl_add_u64 v[26:27], v[26:27], 3, s[10:11]
	global_load_dwordx4 v[26:29], v[26:27], off
	s_waitcnt vmcnt(5)
	v_xor_b32_e32 v30, 0x80000000, v25
	v_mov_b32_e32 v31, v24
	s_waitcnt vmcnt(0)
	v_pk_fma_f32 v[12:13], v[22:23], v[26:27], v[12:13] op_sel_hi:[1,0,1]
	v_pk_fma_f32 v[8:9], v[24:25], v[26:27], v[8:9] op_sel_hi:[1,0,1]
	;; [unrolled: 1-line block ×3, first 2 shown]
	v_pk_fma_f32 v[12:13], v[22:23], v[26:27], v[12:13] op_sel:[1,1,0] op_sel_hi:[0,1,1] neg_lo:[1,0,0]
	v_pk_fma_f32 v[8:9], v[30:31], v[26:27], v[8:9] op_sel:[0,1,0]
	v_pk_fma_f32 v[0:1], v[42:43], v[26:27], v[0:1] op_sel:[1,1,0] op_sel_hi:[0,1,1] neg_lo:[1,0,0]
	v_mov_b32_e32 v16, v29
	v_pk_fma_f32 v[12:13], v[36:37], v[28:29], v[12:13] op_sel_hi:[1,0,1]
	v_pk_fma_f32 v[8:9], v[38:39], v[28:29], v[8:9] op_sel_hi:[1,0,1]
	;; [unrolled: 1-line block ×3, first 2 shown]
	v_pk_fma_f32 v[12:13], v[36:37], v[16:17], v[12:13] op_sel:[1,0,0] op_sel_hi:[0,0,1] neg_lo:[1,0,0]
	v_pk_fma_f32 v[8:9], v[38:39], v[16:17], v[8:9] op_sel:[1,0,0] op_sel_hi:[0,0,1] neg_lo:[1,0,0]
	;; [unrolled: 1-line block ×3, first 2 shown]
	s_andn2_b64 exec, exec, s[14:15]
	s_cbranch_execnz .LBB82_13
; %bb.14:
	s_or_b64 exec, exec, s[14:15]
.LBB82_15:
	s_or_b64 exec, exec, s[4:5]
	s_cbranch_execz .LBB82_19
	s_branch .LBB82_24
.LBB82_16:
	v_mov_b64_e32 v[4:5], s[8:9]
	flat_load_dword v3, v[4:5] offset:4
	s_and_b64 vcc, exec, s[4:5]
	v_mov_b32_e32 v4, s6
	s_cbranch_vccnz .LBB82_4
.LBB82_17:
	v_mov_b64_e32 v[4:5], s[6:7]
	flat_load_dword v4, v[4:5]
	s_and_b64 vcc, exec, s[4:5]
	v_mov_b32_e32 v5, s7
	s_cbranch_vccz .LBB82_5
	s_branch .LBB82_6
.LBB82_18:
                                        ; implicit-def: $vgpr13
                                        ; implicit-def: $vgpr1
                                        ; implicit-def: $vgpr9
.LBB82_19:
	v_mov_b32_e32 v13, 0
	v_mov_b32_e32 v12, v13
	v_mov_b32_e32 v1, v13
	v_mov_b32_e32 v0, v13
	v_mov_b32_e32 v9, v13
	v_mov_b32_e32 v8, v13
	s_and_saveexec_b64 s[4:5], s[2:3]
	s_cbranch_execz .LBB82_23
; %bb.20:
	v_mad_u64_u32 v[14:15], s[2:3], v10, 6, 5
	v_mov_b32_e32 v17, 0
	s_mov_b64 s[2:3], 0
	v_mov_b32_e32 v8, v17
	v_mov_b32_e32 v9, v17
	;; [unrolled: 1-line block ×6, first 2 shown]
.LBB82_21:                              ; =>This Inner Loop Header: Depth=1
	v_ashrrev_i32_e32 v11, 31, v10
	v_lshl_add_u64 v[18:19], v[10:11], 2, s[6:7]
	global_load_dword v11, v[18:19], off
	v_add_u32_e32 v16, -5, v14
	v_add_u32_e32 v18, -3, v14
	v_mov_b32_e32 v19, v17
	v_add_u32_e32 v22, -1, v14
	v_mov_b32_e32 v27, v17
	v_mov_b32_e32 v23, v17
	;; [unrolled: 1-line block ×3, first 2 shown]
	v_lshl_add_u64 v[24:25], v[16:17], 3, s[8:9]
	v_lshl_add_u64 v[18:19], v[18:19], 3, s[8:9]
	v_add_u32_e32 v16, -2, v14
	v_lshl_add_u64 v[28:29], v[22:23], 3, s[8:9]
	v_lshl_add_u64 v[30:31], v[14:15], 3, s[8:9]
	global_load_dwordx4 v[22:25], v[24:25], off
	v_lshl_add_u64 v[32:33], v[16:17], 3, s[8:9]
	global_load_dwordx2 v[34:35], v[18:19], off
	global_load_dwordx2 v[36:37], v[30:31], off
	;; [unrolled: 1-line block ×4, first 2 shown]
	v_add_u32_e32 v10, 32, v10
	v_cmp_ge_i32_e32 vcc, v10, v20
	v_add_u32_e32 v14, 0xc0, v14
	s_or_b64 s[2:3], vcc, s[2:3]
	s_waitcnt vmcnt(5)
	v_subrev_u32_e32 v11, s12, v11
	v_lshlrev_b32_e32 v26, 1, v11
	v_lshl_add_u64 v[18:19], v[26:27], 3, s[10:11]
	global_load_dwordx4 v[26:29], v[18:19], off
	s_waitcnt vmcnt(5)
	v_xor_b32_e32 v18, 0x80000000, v25
	v_mov_b32_e32 v19, v24
	s_waitcnt vmcnt(0)
	v_pk_fma_f32 v[12:13], v[22:23], v[26:27], v[12:13] op_sel_hi:[1,0,1]
	v_pk_fma_f32 v[8:9], v[34:35], v[26:27], v[8:9] op_sel_hi:[1,0,1]
	v_pk_fma_f32 v[0:1], v[40:41], v[26:27], v[0:1] op_sel_hi:[1,0,1]
	v_pk_fma_f32 v[12:13], v[22:23], v[26:27], v[12:13] op_sel:[1,1,0] op_sel_hi:[0,1,1] neg_lo:[1,0,0]
	v_pk_fma_f32 v[8:9], v[34:35], v[26:27], v[8:9] op_sel:[1,1,0] op_sel_hi:[0,1,1] neg_lo:[1,0,0]
	;; [unrolled: 1-line block ×3, first 2 shown]
	v_mov_b32_e32 v16, v29
	v_pk_fma_f32 v[12:13], v[24:25], v[28:29], v[12:13] op_sel_hi:[1,0,1]
	v_pk_fma_f32 v[8:9], v[38:39], v[28:29], v[8:9] op_sel_hi:[1,0,1]
	;; [unrolled: 1-line block ×4, first 2 shown]
	v_pk_fma_f32 v[8:9], v[38:39], v[16:17], v[8:9] op_sel:[1,0,0] op_sel_hi:[0,0,1] neg_lo:[1,0,0]
	v_pk_fma_f32 v[0:1], v[36:37], v[16:17], v[0:1] op_sel:[1,0,0] op_sel_hi:[0,0,1] neg_lo:[1,0,0]
	s_andn2_b64 exec, exec, s[2:3]
	s_cbranch_execnz .LBB82_21
; %bb.22:
	s_or_b64 exec, exec, s[2:3]
.LBB82_23:
	s_or_b64 exec, exec, s[4:5]
.LBB82_24:
	v_mov_b32_dpp v10, v12 row_shr:1 row_mask:0xf bank_mask:0xf
	v_add_f32_e32 v10, v12, v10
	v_mov_b32_dpp v12, v13 row_shr:1 row_mask:0xf bank_mask:0xf
	v_add_f32_e32 v12, v13, v12
	;; [unrolled: 2-line block ×9, first 2 shown]
	v_mov_b32_dpp v11, v10 row_bcast:15 row_mask:0xa bank_mask:0xf
	v_mov_b32_dpp v14, v13 row_bcast:15 row_mask:0xa bank_mask:0xf
	v_mov_b32_dpp v12, v8 row_shr:2 row_mask:0xf bank_mask:0xf
	v_add_f32_e32 v8, v8, v12
	v_cmp_eq_u32_e32 vcc, 31, v7
	s_nop 0
	v_mov_b32_dpp v12, v8 row_shr:4 row_mask:0xf bank_mask:0xe
	v_add_f32_e32 v8, v8, v12
	s_nop 1
	v_mov_b32_dpp v12, v8 row_shr:8 row_mask:0xf bank_mask:0xc
	v_add_f32_e32 v8, v8, v12
	s_nop 0
	v_mov_b32_dpp v12, v9 row_shr:1 row_mask:0xf bank_mask:0xf
	v_add_f32_e32 v9, v9, v12
	v_mov_b32_dpp v15, v8 row_bcast:15 row_mask:0xa bank_mask:0xf
	s_nop 0
	v_mov_b32_dpp v12, v9 row_shr:2 row_mask:0xf bank_mask:0xf
	v_add_f32_e32 v9, v9, v12
	s_nop 1
	v_mov_b32_dpp v12, v9 row_shr:4 row_mask:0xf bank_mask:0xe
	v_add_f32_e32 v9, v9, v12
	s_nop 1
	v_mov_b32_dpp v12, v9 row_shr:8 row_mask:0xf bank_mask:0xc
	v_add_f32_e32 v9, v9, v12
	s_nop 0
	v_mov_b32_dpp v12, v0 row_shr:1 row_mask:0xf bank_mask:0xf
	v_add_f32_e32 v0, v0, v12
	v_mov_b32_dpp v17, v9 row_bcast:15 row_mask:0xa bank_mask:0xf
	s_nop 0
	v_mov_b32_dpp v12, v0 row_shr:2 row_mask:0xf bank_mask:0xf
	v_add_f32_e32 v0, v0, v12
	;; [unrolled: 13-line block ×3, first 2 shown]
	s_nop 1
	v_mov_b32_dpp v12, v1 row_shr:4 row_mask:0xf bank_mask:0xe
	v_add_f32_e32 v1, v1, v12
	s_nop 1
	v_mov_b32_dpp v12, v1 row_shr:8 row_mask:0xf bank_mask:0xc
	v_add_f32_e32 v1, v1, v12
	s_nop 1
	v_mov_b32_dpp v19, v1 row_bcast:15 row_mask:0xa bank_mask:0xf
	s_and_b64 exec, exec, vcc
	s_cbranch_execz .LBB82_29
; %bb.25:
	s_load_dwordx2 s[2:3], s[0:1], 0x38
	v_add_f32_e32 v12, v10, v11
	v_add_f32_e32 v10, v8, v15
	;; [unrolled: 1-line block ×3, first 2 shown]
	v_and_b32_e32 v1, 0x7fffffff, v4
	v_cmp_eq_u32_e32 vcc, 0, v1
	v_cmp_eq_f32_e64 s[0:1], 0, v5
	v_add_f32_e32 v16, v13, v14
	v_add_f32_e32 v14, v9, v17
	;; [unrolled: 1-line block ×3, first 2 shown]
	s_and_b64 s[0:1], vcc, s[0:1]
	s_and_saveexec_b64 s[4:5], s[0:1]
	s_xor_b64 s[0:1], exec, s[4:5]
	s_cbranch_execz .LBB82_27
; %bb.26:
	v_lshl_add_u32 v4, v6, 1, v6
	v_xor_b32_e32 v18, 0x80000000, v3
	v_ashrrev_i32_e32 v5, 31, v4
	v_mov_b32_e32 v19, v2
	s_waitcnt lgkmcnt(0)
	v_lshl_add_u64 v[20:21], v[4:5], 3, s[2:3]
	v_pk_mul_f32 v[4:5], v[16:17], v[18:19] op_sel_hi:[0,1]
	v_pk_mul_f32 v[6:7], v[14:15], v[18:19] op_sel_hi:[0,1]
	v_pk_fma_f32 v[4:5], v[2:3], v[12:13], v[4:5] op_sel_hi:[1,0,1]
	v_pk_fma_f32 v[6:7], v[2:3], v[10:11], v[6:7] op_sel_hi:[1,0,1]
	global_store_dwordx4 v[20:21], v[4:7], off
                                        ; implicit-def: $vgpr6
                                        ; implicit-def: $vgpr12
                                        ; implicit-def: $vgpr16
                                        ; implicit-def: $vgpr10
                                        ; implicit-def: $vgpr14
	s_nop 1
	v_pk_mul_f32 v[4:5], v[8:9], v[18:19] op_sel_hi:[0,1]
	v_pk_fma_f32 v[0:1], v[2:3], v[0:1], v[4:5] op_sel_hi:[1,0,1]
	global_store_dwordx2 v[20:21], v[0:1], off offset:16
                                        ; implicit-def: $vgpr3
                                        ; implicit-def: $vgpr4
                                        ; implicit-def: $vgpr0
                                        ; implicit-def: $vgpr8
.LBB82_27:
	s_andn2_saveexec_b64 s[0:1], s[0:1]
	s_cbranch_execz .LBB82_29
; %bb.28:
	v_lshl_add_u32 v6, v6, 1, v6
	v_ashrrev_i32_e32 v7, 31, v6
	s_waitcnt lgkmcnt(0)
	v_lshl_add_u64 v[6:7], v[6:7], 3, s[2:3]
	global_load_dwordx4 v[18:21], v[6:7], off
	global_load_dwordx2 v[22:23], v[6:7], off offset:16
	v_xor_b32_e32 v24, 0x80000000, v3
	v_mov_b32_e32 v25, v2
	v_pk_mul_f32 v[16:17], v[16:17], v[24:25] op_sel_hi:[0,1]
	v_pk_mul_f32 v[14:15], v[14:15], v[24:25] op_sel_hi:[0,1]
	;; [unrolled: 1-line block ×3, first 2 shown]
	v_pk_fma_f32 v[12:13], v[2:3], v[12:13], v[16:17] op_sel_hi:[1,0,1]
	v_pk_fma_f32 v[10:11], v[2:3], v[10:11], v[14:15] op_sel_hi:[1,0,1]
	v_xor_b32_e32 v26, 0x80000000, v5
	v_mov_b32_e32 v27, v4
	v_pk_fma_f32 v[0:1], v[2:3], v[0:1], v[8:9] op_sel_hi:[1,0,1]
	s_waitcnt vmcnt(1)
	v_pk_fma_f32 v[2:3], v[4:5], v[18:19], v[12:13] op_sel_hi:[1,0,1]
	v_pk_fma_f32 v[8:9], v[4:5], v[20:21], v[10:11] op_sel_hi:[1,0,1]
	v_mov_b32_e32 v10, v21
	s_waitcnt vmcnt(0)
	v_pk_fma_f32 v[4:5], v[4:5], v[22:23], v[0:1] op_sel_hi:[1,0,1]
	v_pk_fma_f32 v[0:1], v[26:27], v[18:19], v[2:3] op_sel:[0,1,0]
	v_pk_fma_f32 v[2:3], v[26:27], v[10:11], v[8:9] op_sel_hi:[1,0,1]
	v_pk_fma_f32 v[4:5], v[26:27], v[22:23], v[4:5] op_sel:[0,1,0]
	global_store_dwordx4 v[6:7], v[0:3], off
	global_store_dwordx2 v[6:7], v[4:5], off offset:16
.LBB82_29:
	s_endpgm
	.section	.rodata,"a",@progbits
	.p2align	6, 0x0
	.amdhsa_kernel _ZN9rocsparseL19gebsrmvn_3xn_kernelILj128ELj2ELj32E21rocsparse_complex_numIfEEEvi20rocsparse_direction_NS_24const_host_device_scalarIT2_EEPKiS8_PKS5_SA_S6_PS5_21rocsparse_index_base_b
		.amdhsa_group_segment_fixed_size 0
		.amdhsa_private_segment_fixed_size 0
		.amdhsa_kernarg_size 72
		.amdhsa_user_sgpr_count 2
		.amdhsa_user_sgpr_dispatch_ptr 0
		.amdhsa_user_sgpr_queue_ptr 0
		.amdhsa_user_sgpr_kernarg_segment_ptr 1
		.amdhsa_user_sgpr_dispatch_id 0
		.amdhsa_user_sgpr_kernarg_preload_length 0
		.amdhsa_user_sgpr_kernarg_preload_offset 0
		.amdhsa_user_sgpr_private_segment_size 0
		.amdhsa_uses_dynamic_stack 0
		.amdhsa_enable_private_segment 0
		.amdhsa_system_sgpr_workgroup_id_x 1
		.amdhsa_system_sgpr_workgroup_id_y 0
		.amdhsa_system_sgpr_workgroup_id_z 0
		.amdhsa_system_sgpr_workgroup_info 0
		.amdhsa_system_vgpr_workitem_id 0
		.amdhsa_next_free_vgpr 44
		.amdhsa_next_free_sgpr 16
		.amdhsa_accum_offset 44
		.amdhsa_reserve_vcc 1
		.amdhsa_float_round_mode_32 0
		.amdhsa_float_round_mode_16_64 0
		.amdhsa_float_denorm_mode_32 3
		.amdhsa_float_denorm_mode_16_64 3
		.amdhsa_dx10_clamp 1
		.amdhsa_ieee_mode 1
		.amdhsa_fp16_overflow 0
		.amdhsa_tg_split 0
		.amdhsa_exception_fp_ieee_invalid_op 0
		.amdhsa_exception_fp_denorm_src 0
		.amdhsa_exception_fp_ieee_div_zero 0
		.amdhsa_exception_fp_ieee_overflow 0
		.amdhsa_exception_fp_ieee_underflow 0
		.amdhsa_exception_fp_ieee_inexact 0
		.amdhsa_exception_int_div_zero 0
	.end_amdhsa_kernel
	.section	.text._ZN9rocsparseL19gebsrmvn_3xn_kernelILj128ELj2ELj32E21rocsparse_complex_numIfEEEvi20rocsparse_direction_NS_24const_host_device_scalarIT2_EEPKiS8_PKS5_SA_S6_PS5_21rocsparse_index_base_b,"axG",@progbits,_ZN9rocsparseL19gebsrmvn_3xn_kernelILj128ELj2ELj32E21rocsparse_complex_numIfEEEvi20rocsparse_direction_NS_24const_host_device_scalarIT2_EEPKiS8_PKS5_SA_S6_PS5_21rocsparse_index_base_b,comdat
.Lfunc_end82:
	.size	_ZN9rocsparseL19gebsrmvn_3xn_kernelILj128ELj2ELj32E21rocsparse_complex_numIfEEEvi20rocsparse_direction_NS_24const_host_device_scalarIT2_EEPKiS8_PKS5_SA_S6_PS5_21rocsparse_index_base_b, .Lfunc_end82-_ZN9rocsparseL19gebsrmvn_3xn_kernelILj128ELj2ELj32E21rocsparse_complex_numIfEEEvi20rocsparse_direction_NS_24const_host_device_scalarIT2_EEPKiS8_PKS5_SA_S6_PS5_21rocsparse_index_base_b
                                        ; -- End function
	.section	.AMDGPU.csdata,"",@progbits
; Kernel info:
; codeLenInByte = 1920
; NumSgprs: 22
; NumVgprs: 44
; NumAgprs: 0
; TotalNumVgprs: 44
; ScratchSize: 0
; MemoryBound: 0
; FloatMode: 240
; IeeeMode: 1
; LDSByteSize: 0 bytes/workgroup (compile time only)
; SGPRBlocks: 2
; VGPRBlocks: 5
; NumSGPRsForWavesPerEU: 22
; NumVGPRsForWavesPerEU: 44
; AccumOffset: 44
; Occupancy: 8
; WaveLimiterHint : 1
; COMPUTE_PGM_RSRC2:SCRATCH_EN: 0
; COMPUTE_PGM_RSRC2:USER_SGPR: 2
; COMPUTE_PGM_RSRC2:TRAP_HANDLER: 0
; COMPUTE_PGM_RSRC2:TGID_X_EN: 1
; COMPUTE_PGM_RSRC2:TGID_Y_EN: 0
; COMPUTE_PGM_RSRC2:TGID_Z_EN: 0
; COMPUTE_PGM_RSRC2:TIDIG_COMP_CNT: 0
; COMPUTE_PGM_RSRC3_GFX90A:ACCUM_OFFSET: 10
; COMPUTE_PGM_RSRC3_GFX90A:TG_SPLIT: 0
	.section	.text._ZN9rocsparseL19gebsrmvn_3xn_kernelILj128ELj2ELj64E21rocsparse_complex_numIfEEEvi20rocsparse_direction_NS_24const_host_device_scalarIT2_EEPKiS8_PKS5_SA_S6_PS5_21rocsparse_index_base_b,"axG",@progbits,_ZN9rocsparseL19gebsrmvn_3xn_kernelILj128ELj2ELj64E21rocsparse_complex_numIfEEEvi20rocsparse_direction_NS_24const_host_device_scalarIT2_EEPKiS8_PKS5_SA_S6_PS5_21rocsparse_index_base_b,comdat
	.globl	_ZN9rocsparseL19gebsrmvn_3xn_kernelILj128ELj2ELj64E21rocsparse_complex_numIfEEEvi20rocsparse_direction_NS_24const_host_device_scalarIT2_EEPKiS8_PKS5_SA_S6_PS5_21rocsparse_index_base_b ; -- Begin function _ZN9rocsparseL19gebsrmvn_3xn_kernelILj128ELj2ELj64E21rocsparse_complex_numIfEEEvi20rocsparse_direction_NS_24const_host_device_scalarIT2_EEPKiS8_PKS5_SA_S6_PS5_21rocsparse_index_base_b
	.p2align	8
	.type	_ZN9rocsparseL19gebsrmvn_3xn_kernelILj128ELj2ELj64E21rocsparse_complex_numIfEEEvi20rocsparse_direction_NS_24const_host_device_scalarIT2_EEPKiS8_PKS5_SA_S6_PS5_21rocsparse_index_base_b,@function
_ZN9rocsparseL19gebsrmvn_3xn_kernelILj128ELj2ELj64E21rocsparse_complex_numIfEEEvi20rocsparse_direction_NS_24const_host_device_scalarIT2_EEPKiS8_PKS5_SA_S6_PS5_21rocsparse_index_base_b: ; @_ZN9rocsparseL19gebsrmvn_3xn_kernelILj128ELj2ELj64E21rocsparse_complex_numIfEEEvi20rocsparse_direction_NS_24const_host_device_scalarIT2_EEPKiS8_PKS5_SA_S6_PS5_21rocsparse_index_base_b
; %bb.0:
	s_load_dwordx2 s[12:13], s[0:1], 0x40
	s_load_dwordx2 s[8:9], s[0:1], 0x8
	;; [unrolled: 1-line block ×3, first 2 shown]
	s_waitcnt lgkmcnt(0)
	s_bitcmp1_b32 s13, 0
	s_cselect_b64 s[4:5], -1, 0
	s_xor_b64 s[10:11], s[4:5], -1
	s_and_b64 vcc, exec, s[4:5]
	v_mov_b32_e32 v2, s8
	s_cbranch_vccnz .LBB83_2
; %bb.1:
	v_mov_b64_e32 v[2:3], s[8:9]
	flat_load_dword v2, v[2:3]
.LBB83_2:
	v_cndmask_b32_e64 v1, 0, 1, s[10:11]
	v_cmp_ne_u32_e64 s[4:5], 1, v1
	s_andn2_b64 vcc, exec, s[10:11]
	v_mov_b32_e32 v3, s9
	s_cbranch_vccz .LBB83_16
; %bb.3:
	s_and_b64 vcc, exec, s[4:5]
	v_mov_b32_e32 v4, s6
	s_cbranch_vccz .LBB83_17
.LBB83_4:
	s_and_b64 vcc, exec, s[4:5]
	v_mov_b32_e32 v5, s7
	s_cbranch_vccnz .LBB83_6
.LBB83_5:
	v_mov_b64_e32 v[6:7], s[6:7]
	flat_load_dword v5, v[6:7] offset:4
.LBB83_6:
	s_waitcnt vmcnt(0) lgkmcnt(0)
	v_and_b32_e32 v1, 0x7fffffff, v2
	v_cmp_eq_u32_e32 vcc, 0, v1
	v_cmp_eq_f32_e64 s[4:5], 0, v3
	s_and_b64 s[8:9], vcc, s[4:5]
	s_mov_b64 s[4:5], -1
	s_and_saveexec_b64 s[6:7], s[8:9]
; %bb.7:
	v_and_b32_e32 v1, 0x7fffffff, v5
	v_cmp_neq_f32_e32 vcc, 1.0, v4
	v_cmp_ne_u32_e64 s[4:5], 0, v1
	s_or_b64 s[4:5], vcc, s[4:5]
	s_orn2_b64 s[4:5], s[4:5], exec
; %bb.8:
	s_or_b64 exec, exec, s[6:7]
	s_and_saveexec_b64 s[6:7], s[4:5]
	s_cbranch_execz .LBB83_29
; %bb.9:
	s_load_dwordx2 s[14:15], s[0:1], 0x0
	v_lshrrev_b32_e32 v1, 6, v0
	v_lshl_or_b32 v6, s2, 1, v1
	s_waitcnt lgkmcnt(0)
	v_cmp_gt_i32_e32 vcc, s14, v6
	s_and_b64 exec, exec, vcc
	s_cbranch_execz .LBB83_29
; %bb.10:
	s_load_dwordx8 s[4:11], s[0:1], 0x10
	v_ashrrev_i32_e32 v7, 31, v6
	s_cmp_lg_u32 s15, 0
	s_waitcnt lgkmcnt(0)
	v_lshl_add_u64 v[8:9], v[6:7], 2, s[4:5]
	global_load_dwordx2 v[8:9], v[8:9], off
	v_and_b32_e32 v7, 63, v0
	s_waitcnt vmcnt(0)
	v_subrev_u32_e32 v0, s12, v8
	v_subrev_u32_e32 v20, s12, v9
	v_add_u32_e32 v10, v0, v7
	v_cmp_lt_i32_e64 s[2:3], v10, v20
	s_cbranch_scc0 .LBB83_18
; %bb.11:
	v_mov_b32_e32 v13, 0
	v_mov_b32_e32 v12, v13
	;; [unrolled: 1-line block ×6, first 2 shown]
	s_and_saveexec_b64 s[4:5], s[2:3]
	s_cbranch_execz .LBB83_15
; %bb.12:
	v_mad_u64_u32 v[14:15], s[14:15], v10, 6, 5
	v_mov_b32_e32 v17, 0
	s_mov_b64 s[14:15], 0
	v_mov_b32_e32 v18, v10
	v_mov_b32_e32 v8, v17
	;; [unrolled: 1-line block ×7, first 2 shown]
.LBB83_13:                              ; =>This Inner Loop Header: Depth=1
	v_ashrrev_i32_e32 v19, 31, v18
	v_lshl_add_u64 v[22:23], v[18:19], 2, s[6:7]
	global_load_dword v11, v[22:23], off
	v_add_u32_e32 v16, -5, v14
	v_lshl_add_u64 v[22:23], v[16:17], 3, s[8:9]
	v_add_u32_e32 v16, -3, v14
	v_mov_b32_e32 v27, v17
	v_mov_b32_e32 v15, v17
	v_lshl_add_u64 v[30:31], v[16:17], 3, s[8:9]
	v_add_u32_e32 v16, -2, v14
	v_lshl_add_u64 v[28:29], v[14:15], 3, s[8:9]
	v_lshl_add_u64 v[32:33], v[16:17], 3, s[8:9]
	v_add_u32_e32 v16, -1, v14
	global_load_dwordx4 v[22:25], v[22:23], off
	v_lshl_add_u64 v[34:35], v[16:17], 3, s[8:9]
	global_load_dwordx2 v[36:37], v[32:33], off
	global_load_dwordx2 v[38:39], v[34:35], off
	;; [unrolled: 1-line block ×4, first 2 shown]
	v_add_u32_e32 v18, 64, v18
	v_cmp_ge_i32_e32 vcc, v18, v20
	v_add_u32_e32 v14, 0x180, v14
	s_or_b64 s[14:15], vcc, s[14:15]
	s_waitcnt vmcnt(5)
	v_subrev_u32_e32 v11, s12, v11
	v_lshlrev_b32_e32 v26, 1, v11
	v_lshl_add_u64 v[26:27], v[26:27], 3, s[10:11]
	global_load_dwordx4 v[26:29], v[26:27], off
	s_waitcnt vmcnt(5)
	v_xor_b32_e32 v30, 0x80000000, v25
	v_mov_b32_e32 v31, v24
	s_waitcnt vmcnt(0)
	v_pk_fma_f32 v[12:13], v[22:23], v[26:27], v[12:13] op_sel_hi:[1,0,1]
	v_pk_fma_f32 v[8:9], v[24:25], v[26:27], v[8:9] op_sel_hi:[1,0,1]
	;; [unrolled: 1-line block ×3, first 2 shown]
	v_pk_fma_f32 v[12:13], v[22:23], v[26:27], v[12:13] op_sel:[1,1,0] op_sel_hi:[0,1,1] neg_lo:[1,0,0]
	v_pk_fma_f32 v[8:9], v[30:31], v[26:27], v[8:9] op_sel:[0,1,0]
	v_pk_fma_f32 v[0:1], v[42:43], v[26:27], v[0:1] op_sel:[1,1,0] op_sel_hi:[0,1,1] neg_lo:[1,0,0]
	v_mov_b32_e32 v16, v29
	v_pk_fma_f32 v[12:13], v[36:37], v[28:29], v[12:13] op_sel_hi:[1,0,1]
	v_pk_fma_f32 v[8:9], v[38:39], v[28:29], v[8:9] op_sel_hi:[1,0,1]
	;; [unrolled: 1-line block ×3, first 2 shown]
	v_pk_fma_f32 v[12:13], v[36:37], v[16:17], v[12:13] op_sel:[1,0,0] op_sel_hi:[0,0,1] neg_lo:[1,0,0]
	v_pk_fma_f32 v[8:9], v[38:39], v[16:17], v[8:9] op_sel:[1,0,0] op_sel_hi:[0,0,1] neg_lo:[1,0,0]
	;; [unrolled: 1-line block ×3, first 2 shown]
	s_andn2_b64 exec, exec, s[14:15]
	s_cbranch_execnz .LBB83_13
; %bb.14:
	s_or_b64 exec, exec, s[14:15]
.LBB83_15:
	s_or_b64 exec, exec, s[4:5]
	s_cbranch_execz .LBB83_19
	s_branch .LBB83_24
.LBB83_16:
	v_mov_b64_e32 v[4:5], s[8:9]
	flat_load_dword v3, v[4:5] offset:4
	s_and_b64 vcc, exec, s[4:5]
	v_mov_b32_e32 v4, s6
	s_cbranch_vccnz .LBB83_4
.LBB83_17:
	v_mov_b64_e32 v[4:5], s[6:7]
	flat_load_dword v4, v[4:5]
	s_and_b64 vcc, exec, s[4:5]
	v_mov_b32_e32 v5, s7
	s_cbranch_vccz .LBB83_5
	s_branch .LBB83_6
.LBB83_18:
                                        ; implicit-def: $vgpr13
                                        ; implicit-def: $vgpr1
                                        ; implicit-def: $vgpr9
.LBB83_19:
	v_mov_b32_e32 v13, 0
	v_mov_b32_e32 v12, v13
	;; [unrolled: 1-line block ×6, first 2 shown]
	s_and_saveexec_b64 s[4:5], s[2:3]
	s_cbranch_execz .LBB83_23
; %bb.20:
	v_mad_u64_u32 v[14:15], s[2:3], v10, 6, 5
	v_mov_b32_e32 v17, 0
	s_mov_b64 s[2:3], 0
	v_mov_b32_e32 v8, v17
	v_mov_b32_e32 v9, v17
	;; [unrolled: 1-line block ×6, first 2 shown]
.LBB83_21:                              ; =>This Inner Loop Header: Depth=1
	v_ashrrev_i32_e32 v11, 31, v10
	v_lshl_add_u64 v[18:19], v[10:11], 2, s[6:7]
	global_load_dword v11, v[18:19], off
	v_add_u32_e32 v16, -5, v14
	v_add_u32_e32 v18, -3, v14
	v_mov_b32_e32 v19, v17
	v_add_u32_e32 v22, -1, v14
	v_mov_b32_e32 v27, v17
	v_mov_b32_e32 v23, v17
	;; [unrolled: 1-line block ×3, first 2 shown]
	v_lshl_add_u64 v[24:25], v[16:17], 3, s[8:9]
	v_lshl_add_u64 v[18:19], v[18:19], 3, s[8:9]
	v_add_u32_e32 v16, -2, v14
	v_lshl_add_u64 v[28:29], v[22:23], 3, s[8:9]
	v_lshl_add_u64 v[30:31], v[14:15], 3, s[8:9]
	global_load_dwordx4 v[22:25], v[24:25], off
	v_lshl_add_u64 v[32:33], v[16:17], 3, s[8:9]
	global_load_dwordx2 v[34:35], v[18:19], off
	global_load_dwordx2 v[36:37], v[30:31], off
	;; [unrolled: 1-line block ×4, first 2 shown]
	v_add_u32_e32 v10, 64, v10
	v_cmp_ge_i32_e32 vcc, v10, v20
	v_add_u32_e32 v14, 0x180, v14
	s_or_b64 s[2:3], vcc, s[2:3]
	s_waitcnt vmcnt(5)
	v_subrev_u32_e32 v11, s12, v11
	v_lshlrev_b32_e32 v26, 1, v11
	v_lshl_add_u64 v[18:19], v[26:27], 3, s[10:11]
	global_load_dwordx4 v[26:29], v[18:19], off
	s_waitcnt vmcnt(5)
	v_xor_b32_e32 v18, 0x80000000, v25
	v_mov_b32_e32 v19, v24
	s_waitcnt vmcnt(0)
	v_pk_fma_f32 v[12:13], v[22:23], v[26:27], v[12:13] op_sel_hi:[1,0,1]
	v_pk_fma_f32 v[8:9], v[34:35], v[26:27], v[8:9] op_sel_hi:[1,0,1]
	;; [unrolled: 1-line block ×3, first 2 shown]
	v_pk_fma_f32 v[12:13], v[22:23], v[26:27], v[12:13] op_sel:[1,1,0] op_sel_hi:[0,1,1] neg_lo:[1,0,0]
	v_pk_fma_f32 v[8:9], v[34:35], v[26:27], v[8:9] op_sel:[1,1,0] op_sel_hi:[0,1,1] neg_lo:[1,0,0]
	;; [unrolled: 1-line block ×3, first 2 shown]
	v_mov_b32_e32 v16, v29
	v_pk_fma_f32 v[12:13], v[24:25], v[28:29], v[12:13] op_sel_hi:[1,0,1]
	v_pk_fma_f32 v[8:9], v[38:39], v[28:29], v[8:9] op_sel_hi:[1,0,1]
	;; [unrolled: 1-line block ×4, first 2 shown]
	v_pk_fma_f32 v[8:9], v[38:39], v[16:17], v[8:9] op_sel:[1,0,0] op_sel_hi:[0,0,1] neg_lo:[1,0,0]
	v_pk_fma_f32 v[0:1], v[36:37], v[16:17], v[0:1] op_sel:[1,0,0] op_sel_hi:[0,0,1] neg_lo:[1,0,0]
	s_andn2_b64 exec, exec, s[2:3]
	s_cbranch_execnz .LBB83_21
; %bb.22:
	s_or_b64 exec, exec, s[2:3]
.LBB83_23:
	s_or_b64 exec, exec, s[4:5]
.LBB83_24:
	v_mov_b32_dpp v10, v12 row_shr:1 row_mask:0xf bank_mask:0xf
	v_add_f32_e32 v10, v12, v10
	v_mov_b32_dpp v12, v13 row_shr:1 row_mask:0xf bank_mask:0xf
	v_add_f32_e32 v12, v13, v12
	v_mov_b32_dpp v11, v10 row_shr:2 row_mask:0xf bank_mask:0xf
	v_add_f32_e32 v10, v10, v11
	v_mov_b32_dpp v13, v12 row_shr:2 row_mask:0xf bank_mask:0xf
	v_add_f32_e32 v12, v12, v13
	v_mov_b32_dpp v11, v10 row_shr:4 row_mask:0xf bank_mask:0xe
	v_add_f32_e32 v10, v10, v11
	v_mov_b32_dpp v13, v12 row_shr:4 row_mask:0xf bank_mask:0xe
	v_add_f32_e32 v12, v12, v13
	v_mov_b32_dpp v11, v10 row_shr:8 row_mask:0xf bank_mask:0xc
	v_add_f32_e32 v10, v10, v11
	v_mov_b32_dpp v13, v12 row_shr:8 row_mask:0xf bank_mask:0xc
	v_add_f32_e32 v12, v12, v13
	v_mov_b32_dpp v11, v10 row_bcast:15 row_mask:0xa bank_mask:0xf
	v_add_f32_e32 v10, v10, v11
	v_mov_b32_dpp v13, v12 row_bcast:15 row_mask:0xa bank_mask:0xf
	v_add_f32_e32 v13, v12, v13
	v_mov_b32_dpp v12, v8 row_shr:1 row_mask:0xf bank_mask:0xf
	v_add_f32_e32 v8, v8, v12
	v_mov_b32_dpp v11, v10 row_bcast:31 row_mask:0xc bank_mask:0xf
	v_mov_b32_dpp v14, v13 row_bcast:31 row_mask:0xc bank_mask:0xf
	v_mov_b32_dpp v12, v8 row_shr:2 row_mask:0xf bank_mask:0xf
	v_add_f32_e32 v8, v8, v12
	v_cmp_eq_u32_e32 vcc, 63, v7
	s_nop 0
	v_mov_b32_dpp v12, v8 row_shr:4 row_mask:0xf bank_mask:0xe
	v_add_f32_e32 v8, v8, v12
	s_nop 1
	v_mov_b32_dpp v12, v8 row_shr:8 row_mask:0xf bank_mask:0xc
	v_add_f32_e32 v8, v8, v12
	s_nop 1
	v_mov_b32_dpp v12, v8 row_bcast:15 row_mask:0xa bank_mask:0xf
	v_add_f32_e32 v8, v8, v12
	s_nop 0
	v_mov_b32_dpp v12, v9 row_shr:1 row_mask:0xf bank_mask:0xf
	v_add_f32_e32 v9, v9, v12
	v_mov_b32_dpp v15, v8 row_bcast:31 row_mask:0xc bank_mask:0xf
	s_nop 0
	v_mov_b32_dpp v12, v9 row_shr:2 row_mask:0xf bank_mask:0xf
	v_add_f32_e32 v9, v9, v12
	s_nop 1
	v_mov_b32_dpp v12, v9 row_shr:4 row_mask:0xf bank_mask:0xe
	v_add_f32_e32 v9, v9, v12
	s_nop 1
	v_mov_b32_dpp v12, v9 row_shr:8 row_mask:0xf bank_mask:0xc
	v_add_f32_e32 v9, v9, v12
	s_nop 1
	v_mov_b32_dpp v12, v9 row_bcast:15 row_mask:0xa bank_mask:0xf
	v_add_f32_e32 v9, v9, v12
	s_nop 0
	v_mov_b32_dpp v12, v0 row_shr:1 row_mask:0xf bank_mask:0xf
	v_add_f32_e32 v0, v0, v12
	v_mov_b32_dpp v17, v9 row_bcast:31 row_mask:0xc bank_mask:0xf
	s_nop 0
	v_mov_b32_dpp v12, v0 row_shr:2 row_mask:0xf bank_mask:0xf
	v_add_f32_e32 v0, v0, v12
	s_nop 1
	v_mov_b32_dpp v12, v0 row_shr:4 row_mask:0xf bank_mask:0xe
	v_add_f32_e32 v0, v0, v12
	s_nop 1
	v_mov_b32_dpp v12, v0 row_shr:8 row_mask:0xf bank_mask:0xc
	v_add_f32_e32 v0, v0, v12
	s_nop 1
	v_mov_b32_dpp v12, v0 row_bcast:15 row_mask:0xa bank_mask:0xf
	v_add_f32_e32 v0, v0, v12
	s_nop 0
	v_mov_b32_dpp v12, v1 row_shr:1 row_mask:0xf bank_mask:0xf
	v_add_f32_e32 v1, v1, v12
	v_mov_b32_dpp v18, v0 row_bcast:31 row_mask:0xc bank_mask:0xf
	s_nop 0
	v_mov_b32_dpp v12, v1 row_shr:2 row_mask:0xf bank_mask:0xf
	v_add_f32_e32 v1, v1, v12
	s_nop 1
	v_mov_b32_dpp v12, v1 row_shr:4 row_mask:0xf bank_mask:0xe
	v_add_f32_e32 v1, v1, v12
	s_nop 1
	v_mov_b32_dpp v12, v1 row_shr:8 row_mask:0xf bank_mask:0xc
	v_add_f32_e32 v1, v1, v12
	s_nop 1
	v_mov_b32_dpp v12, v1 row_bcast:15 row_mask:0xa bank_mask:0xf
	v_add_f32_e32 v1, v1, v12
	s_nop 1
	v_mov_b32_dpp v19, v1 row_bcast:31 row_mask:0xc bank_mask:0xf
	s_and_b64 exec, exec, vcc
	s_cbranch_execz .LBB83_29
; %bb.25:
	s_load_dwordx2 s[2:3], s[0:1], 0x38
	v_add_f32_e32 v12, v10, v11
	v_add_f32_e32 v10, v8, v15
	;; [unrolled: 1-line block ×3, first 2 shown]
	v_and_b32_e32 v1, 0x7fffffff, v4
	v_cmp_eq_u32_e32 vcc, 0, v1
	v_cmp_eq_f32_e64 s[0:1], 0, v5
	v_add_f32_e32 v16, v13, v14
	v_add_f32_e32 v14, v9, v17
	;; [unrolled: 1-line block ×3, first 2 shown]
	s_and_b64 s[0:1], vcc, s[0:1]
	s_and_saveexec_b64 s[4:5], s[0:1]
	s_xor_b64 s[0:1], exec, s[4:5]
	s_cbranch_execz .LBB83_27
; %bb.26:
	v_lshl_add_u32 v4, v6, 1, v6
	v_xor_b32_e32 v18, 0x80000000, v3
	v_ashrrev_i32_e32 v5, 31, v4
	v_mov_b32_e32 v19, v2
	s_waitcnt lgkmcnt(0)
	v_lshl_add_u64 v[20:21], v[4:5], 3, s[2:3]
	v_pk_mul_f32 v[4:5], v[16:17], v[18:19] op_sel_hi:[0,1]
	v_pk_mul_f32 v[6:7], v[14:15], v[18:19] op_sel_hi:[0,1]
	v_pk_fma_f32 v[4:5], v[2:3], v[12:13], v[4:5] op_sel_hi:[1,0,1]
	v_pk_fma_f32 v[6:7], v[2:3], v[10:11], v[6:7] op_sel_hi:[1,0,1]
	global_store_dwordx4 v[20:21], v[4:7], off
                                        ; implicit-def: $vgpr6
                                        ; implicit-def: $vgpr12
                                        ; implicit-def: $vgpr16
                                        ; implicit-def: $vgpr10
                                        ; implicit-def: $vgpr14
	s_nop 1
	v_pk_mul_f32 v[4:5], v[8:9], v[18:19] op_sel_hi:[0,1]
	v_pk_fma_f32 v[0:1], v[2:3], v[0:1], v[4:5] op_sel_hi:[1,0,1]
	global_store_dwordx2 v[20:21], v[0:1], off offset:16
                                        ; implicit-def: $vgpr3
                                        ; implicit-def: $vgpr4
                                        ; implicit-def: $vgpr0
                                        ; implicit-def: $vgpr8
.LBB83_27:
	s_andn2_saveexec_b64 s[0:1], s[0:1]
	s_cbranch_execz .LBB83_29
; %bb.28:
	v_lshl_add_u32 v6, v6, 1, v6
	v_ashrrev_i32_e32 v7, 31, v6
	s_waitcnt lgkmcnt(0)
	v_lshl_add_u64 v[6:7], v[6:7], 3, s[2:3]
	global_load_dwordx4 v[18:21], v[6:7], off
	global_load_dwordx2 v[22:23], v[6:7], off offset:16
	v_xor_b32_e32 v24, 0x80000000, v3
	v_mov_b32_e32 v25, v2
	v_pk_mul_f32 v[16:17], v[16:17], v[24:25] op_sel_hi:[0,1]
	v_pk_mul_f32 v[14:15], v[14:15], v[24:25] op_sel_hi:[0,1]
	;; [unrolled: 1-line block ×3, first 2 shown]
	v_pk_fma_f32 v[12:13], v[2:3], v[12:13], v[16:17] op_sel_hi:[1,0,1]
	v_pk_fma_f32 v[10:11], v[2:3], v[10:11], v[14:15] op_sel_hi:[1,0,1]
	v_xor_b32_e32 v26, 0x80000000, v5
	v_mov_b32_e32 v27, v4
	v_pk_fma_f32 v[0:1], v[2:3], v[0:1], v[8:9] op_sel_hi:[1,0,1]
	s_waitcnt vmcnt(1)
	v_pk_fma_f32 v[2:3], v[4:5], v[18:19], v[12:13] op_sel_hi:[1,0,1]
	v_pk_fma_f32 v[8:9], v[4:5], v[20:21], v[10:11] op_sel_hi:[1,0,1]
	v_mov_b32_e32 v10, v21
	s_waitcnt vmcnt(0)
	v_pk_fma_f32 v[4:5], v[4:5], v[22:23], v[0:1] op_sel_hi:[1,0,1]
	v_pk_fma_f32 v[0:1], v[26:27], v[18:19], v[2:3] op_sel:[0,1,0]
	v_pk_fma_f32 v[2:3], v[26:27], v[10:11], v[8:9] op_sel_hi:[1,0,1]
	v_pk_fma_f32 v[4:5], v[26:27], v[22:23], v[4:5] op_sel:[0,1,0]
	global_store_dwordx4 v[6:7], v[0:3], off
	global_store_dwordx2 v[6:7], v[4:5], off offset:16
.LBB83_29:
	s_endpgm
	.section	.rodata,"a",@progbits
	.p2align	6, 0x0
	.amdhsa_kernel _ZN9rocsparseL19gebsrmvn_3xn_kernelILj128ELj2ELj64E21rocsparse_complex_numIfEEEvi20rocsparse_direction_NS_24const_host_device_scalarIT2_EEPKiS8_PKS5_SA_S6_PS5_21rocsparse_index_base_b
		.amdhsa_group_segment_fixed_size 0
		.amdhsa_private_segment_fixed_size 0
		.amdhsa_kernarg_size 72
		.amdhsa_user_sgpr_count 2
		.amdhsa_user_sgpr_dispatch_ptr 0
		.amdhsa_user_sgpr_queue_ptr 0
		.amdhsa_user_sgpr_kernarg_segment_ptr 1
		.amdhsa_user_sgpr_dispatch_id 0
		.amdhsa_user_sgpr_kernarg_preload_length 0
		.amdhsa_user_sgpr_kernarg_preload_offset 0
		.amdhsa_user_sgpr_private_segment_size 0
		.amdhsa_uses_dynamic_stack 0
		.amdhsa_enable_private_segment 0
		.amdhsa_system_sgpr_workgroup_id_x 1
		.amdhsa_system_sgpr_workgroup_id_y 0
		.amdhsa_system_sgpr_workgroup_id_z 0
		.amdhsa_system_sgpr_workgroup_info 0
		.amdhsa_system_vgpr_workitem_id 0
		.amdhsa_next_free_vgpr 44
		.amdhsa_next_free_sgpr 16
		.amdhsa_accum_offset 44
		.amdhsa_reserve_vcc 1
		.amdhsa_float_round_mode_32 0
		.amdhsa_float_round_mode_16_64 0
		.amdhsa_float_denorm_mode_32 3
		.amdhsa_float_denorm_mode_16_64 3
		.amdhsa_dx10_clamp 1
		.amdhsa_ieee_mode 1
		.amdhsa_fp16_overflow 0
		.amdhsa_tg_split 0
		.amdhsa_exception_fp_ieee_invalid_op 0
		.amdhsa_exception_fp_denorm_src 0
		.amdhsa_exception_fp_ieee_div_zero 0
		.amdhsa_exception_fp_ieee_overflow 0
		.amdhsa_exception_fp_ieee_underflow 0
		.amdhsa_exception_fp_ieee_inexact 0
		.amdhsa_exception_int_div_zero 0
	.end_amdhsa_kernel
	.section	.text._ZN9rocsparseL19gebsrmvn_3xn_kernelILj128ELj2ELj64E21rocsparse_complex_numIfEEEvi20rocsparse_direction_NS_24const_host_device_scalarIT2_EEPKiS8_PKS5_SA_S6_PS5_21rocsparse_index_base_b,"axG",@progbits,_ZN9rocsparseL19gebsrmvn_3xn_kernelILj128ELj2ELj64E21rocsparse_complex_numIfEEEvi20rocsparse_direction_NS_24const_host_device_scalarIT2_EEPKiS8_PKS5_SA_S6_PS5_21rocsparse_index_base_b,comdat
.Lfunc_end83:
	.size	_ZN9rocsparseL19gebsrmvn_3xn_kernelILj128ELj2ELj64E21rocsparse_complex_numIfEEEvi20rocsparse_direction_NS_24const_host_device_scalarIT2_EEPKiS8_PKS5_SA_S6_PS5_21rocsparse_index_base_b, .Lfunc_end83-_ZN9rocsparseL19gebsrmvn_3xn_kernelILj128ELj2ELj64E21rocsparse_complex_numIfEEEvi20rocsparse_direction_NS_24const_host_device_scalarIT2_EEPKiS8_PKS5_SA_S6_PS5_21rocsparse_index_base_b
                                        ; -- End function
	.section	.AMDGPU.csdata,"",@progbits
; Kernel info:
; codeLenInByte = 2008
; NumSgprs: 22
; NumVgprs: 44
; NumAgprs: 0
; TotalNumVgprs: 44
; ScratchSize: 0
; MemoryBound: 0
; FloatMode: 240
; IeeeMode: 1
; LDSByteSize: 0 bytes/workgroup (compile time only)
; SGPRBlocks: 2
; VGPRBlocks: 5
; NumSGPRsForWavesPerEU: 22
; NumVGPRsForWavesPerEU: 44
; AccumOffset: 44
; Occupancy: 8
; WaveLimiterHint : 1
; COMPUTE_PGM_RSRC2:SCRATCH_EN: 0
; COMPUTE_PGM_RSRC2:USER_SGPR: 2
; COMPUTE_PGM_RSRC2:TRAP_HANDLER: 0
; COMPUTE_PGM_RSRC2:TGID_X_EN: 1
; COMPUTE_PGM_RSRC2:TGID_Y_EN: 0
; COMPUTE_PGM_RSRC2:TGID_Z_EN: 0
; COMPUTE_PGM_RSRC2:TIDIG_COMP_CNT: 0
; COMPUTE_PGM_RSRC3_GFX90A:ACCUM_OFFSET: 10
; COMPUTE_PGM_RSRC3_GFX90A:TG_SPLIT: 0
	.section	.text._ZN9rocsparseL19gebsrmvn_3xn_kernelILj128ELj4ELj4E21rocsparse_complex_numIfEEEvi20rocsparse_direction_NS_24const_host_device_scalarIT2_EEPKiS8_PKS5_SA_S6_PS5_21rocsparse_index_base_b,"axG",@progbits,_ZN9rocsparseL19gebsrmvn_3xn_kernelILj128ELj4ELj4E21rocsparse_complex_numIfEEEvi20rocsparse_direction_NS_24const_host_device_scalarIT2_EEPKiS8_PKS5_SA_S6_PS5_21rocsparse_index_base_b,comdat
	.globl	_ZN9rocsparseL19gebsrmvn_3xn_kernelILj128ELj4ELj4E21rocsparse_complex_numIfEEEvi20rocsparse_direction_NS_24const_host_device_scalarIT2_EEPKiS8_PKS5_SA_S6_PS5_21rocsparse_index_base_b ; -- Begin function _ZN9rocsparseL19gebsrmvn_3xn_kernelILj128ELj4ELj4E21rocsparse_complex_numIfEEEvi20rocsparse_direction_NS_24const_host_device_scalarIT2_EEPKiS8_PKS5_SA_S6_PS5_21rocsparse_index_base_b
	.p2align	8
	.type	_ZN9rocsparseL19gebsrmvn_3xn_kernelILj128ELj4ELj4E21rocsparse_complex_numIfEEEvi20rocsparse_direction_NS_24const_host_device_scalarIT2_EEPKiS8_PKS5_SA_S6_PS5_21rocsparse_index_base_b,@function
_ZN9rocsparseL19gebsrmvn_3xn_kernelILj128ELj4ELj4E21rocsparse_complex_numIfEEEvi20rocsparse_direction_NS_24const_host_device_scalarIT2_EEPKiS8_PKS5_SA_S6_PS5_21rocsparse_index_base_b: ; @_ZN9rocsparseL19gebsrmvn_3xn_kernelILj128ELj4ELj4E21rocsparse_complex_numIfEEEvi20rocsparse_direction_NS_24const_host_device_scalarIT2_EEPKiS8_PKS5_SA_S6_PS5_21rocsparse_index_base_b
; %bb.0:
	s_load_dwordx2 s[12:13], s[0:1], 0x40
	s_load_dwordx2 s[8:9], s[0:1], 0x8
	;; [unrolled: 1-line block ×3, first 2 shown]
	s_waitcnt lgkmcnt(0)
	s_bitcmp1_b32 s13, 0
	s_cselect_b64 s[4:5], -1, 0
	s_xor_b64 s[10:11], s[4:5], -1
	s_and_b64 vcc, exec, s[4:5]
	v_mov_b32_e32 v2, s8
	s_cbranch_vccnz .LBB84_2
; %bb.1:
	v_mov_b64_e32 v[2:3], s[8:9]
	flat_load_dword v2, v[2:3]
.LBB84_2:
	v_cndmask_b32_e64 v1, 0, 1, s[10:11]
	v_cmp_ne_u32_e64 s[4:5], 1, v1
	s_andn2_b64 vcc, exec, s[10:11]
	v_mov_b32_e32 v3, s9
	s_cbranch_vccz .LBB84_16
; %bb.3:
	s_and_b64 vcc, exec, s[4:5]
	v_mov_b32_e32 v4, s6
	s_cbranch_vccz .LBB84_17
.LBB84_4:
	s_and_b64 vcc, exec, s[4:5]
	v_mov_b32_e32 v5, s7
	s_cbranch_vccnz .LBB84_6
.LBB84_5:
	v_mov_b64_e32 v[6:7], s[6:7]
	flat_load_dword v5, v[6:7] offset:4
.LBB84_6:
	s_waitcnt vmcnt(0) lgkmcnt(0)
	v_and_b32_e32 v1, 0x7fffffff, v2
	v_cmp_eq_u32_e32 vcc, 0, v1
	v_cmp_eq_f32_e64 s[4:5], 0, v3
	s_and_b64 s[8:9], vcc, s[4:5]
	s_mov_b64 s[4:5], -1
	s_and_saveexec_b64 s[6:7], s[8:9]
; %bb.7:
	v_and_b32_e32 v1, 0x7fffffff, v5
	v_cmp_neq_f32_e32 vcc, 1.0, v4
	v_cmp_ne_u32_e64 s[4:5], 0, v1
	s_or_b64 s[4:5], vcc, s[4:5]
	s_orn2_b64 s[4:5], s[4:5], exec
; %bb.8:
	s_or_b64 exec, exec, s[6:7]
	s_and_saveexec_b64 s[6:7], s[4:5]
	s_cbranch_execz .LBB84_29
; %bb.9:
	s_load_dwordx2 s[14:15], s[0:1], 0x0
	v_lshrrev_b32_e32 v1, 2, v0
	v_lshl_or_b32 v6, s2, 5, v1
	s_waitcnt lgkmcnt(0)
	v_cmp_gt_i32_e32 vcc, s14, v6
	s_and_b64 exec, exec, vcc
	s_cbranch_execz .LBB84_29
; %bb.10:
	s_load_dwordx8 s[4:11], s[0:1], 0x10
	v_ashrrev_i32_e32 v7, 31, v6
	s_cmp_lg_u32 s15, 0
	s_waitcnt lgkmcnt(0)
	v_lshl_add_u64 v[8:9], v[6:7], 2, s[4:5]
	global_load_dwordx2 v[8:9], v[8:9], off
	v_and_b32_e32 v7, 3, v0
	s_waitcnt vmcnt(0)
	v_subrev_u32_e32 v0, s12, v8
	v_subrev_u32_e32 v20, s12, v9
	v_add_u32_e32 v0, v0, v7
	v_cmp_lt_i32_e64 s[2:3], v0, v20
	s_cbranch_scc0 .LBB84_18
; %bb.11:
	v_mov_b32_e32 v13, 0
	v_mov_b32_e32 v12, v13
	;; [unrolled: 1-line block ×6, first 2 shown]
	s_and_saveexec_b64 s[4:5], s[2:3]
	s_cbranch_execz .LBB84_15
; %bb.12:
	v_mad_u64_u32 v[14:15], s[14:15], v0, 12, 11
	v_mov_b32_e32 v17, 0
	s_mov_b64 s[14:15], 0
	v_mov_b32_e32 v18, v0
	v_mov_b32_e32 v10, v17
	;; [unrolled: 1-line block ×7, first 2 shown]
.LBB84_13:                              ; =>This Inner Loop Header: Depth=1
	v_ashrrev_i32_e32 v19, 31, v18
	v_lshl_add_u64 v[22:23], v[18:19], 2, s[6:7]
	global_load_dword v1, v[22:23], off
	v_add_u32_e32 v16, -11, v14
	v_lshl_add_u64 v[32:33], v[16:17], 3, s[8:9]
	v_add_u32_e32 v16, -7, v14
	v_lshl_add_u64 v[36:37], v[16:17], 3, s[8:9]
	v_add_u32_e32 v16, -6, v14
	global_load_dwordx4 v[22:25], v[32:33], off offset:16
	global_load_dwordx4 v[26:29], v[32:33], off
	v_lshl_add_u64 v[32:33], v[16:17], 3, s[8:9]
	v_add_u32_e32 v16, -5, v14
	global_load_dwordx2 v[38:39], v[36:37], off
	v_lshl_add_u64 v[36:37], v[16:17], 3, s[8:9]
	v_add_u32_e32 v16, -4, v14
	v_lshl_add_u64 v[40:41], v[16:17], 3, s[8:9]
	v_add_u32_e32 v16, -3, v14
	;; [unrolled: 2-line block ×3, first 2 shown]
	v_mov_b32_e32 v31, v17
	v_mov_b32_e32 v15, v17
	global_load_dwordx2 v[42:43], v[36:37], off
	global_load_dwordx2 v[46:47], v[40:41], off
	;; [unrolled: 1-line block ×3, first 2 shown]
	v_lshl_add_u64 v[32:33], v[16:17], 3, s[8:9]
	v_add_u32_e32 v16, -1, v14
	v_lshl_add_u64 v[34:35], v[14:15], 3, s[8:9]
	v_lshl_add_u64 v[36:37], v[16:17], 3, s[8:9]
	global_load_dwordx2 v[40:41], v[32:33], off
	global_load_dwordx2 v[50:51], v[36:37], off
	;; [unrolled: 1-line block ×3, first 2 shown]
	v_add_u32_e32 v18, 4, v18
	v_cmp_ge_i32_e32 vcc, v18, v20
	s_or_b64 s[14:15], vcc, s[14:15]
	v_add_u32_e32 v14, 48, v14
	s_waitcnt vmcnt(9)
	v_subrev_u32_e32 v1, s12, v1
	v_lshlrev_b32_e32 v30, 2, v1
	v_lshl_add_u64 v[54:55], v[30:31], 3, s[10:11]
	global_load_dwordx4 v[30:33], v[54:55], off
	global_load_dwordx4 v[34:37], v[54:55], off offset:16
	global_load_dwordx2 v[56:57], v[44:45], off
	s_waitcnt vmcnt(11)
	v_xor_b32_e32 v44, 0x80000000, v25
	s_waitcnt vmcnt(10)
	v_xor_b32_e32 v54, 0x80000000, v29
	v_mov_b32_e32 v55, v28
	v_mov_b32_e32 v45, v24
	s_waitcnt vmcnt(2)
	v_pk_fma_f32 v[12:13], v[26:27], v[30:31], v[12:13] op_sel_hi:[1,0,1]
	v_pk_fma_f32 v[10:11], v[28:29], v[30:31], v[10:11] op_sel_hi:[1,0,1]
	;; [unrolled: 1-line block ×3, first 2 shown]
	v_pk_fma_f32 v[12:13], v[26:27], v[30:31], v[12:13] op_sel:[1,1,0] op_sel_hi:[0,1,1] neg_lo:[1,0,0]
	v_pk_fma_f32 v[10:11], v[54:55], v[30:31], v[10:11] op_sel:[0,1,0]
	v_pk_fma_f32 v[8:9], v[22:23], v[30:31], v[8:9] op_sel:[1,1,0] op_sel_hi:[0,1,1] neg_lo:[1,0,0]
	v_mov_b32_e32 v16, v33
	v_pk_fma_f32 v[12:13], v[24:25], v[32:33], v[12:13] op_sel_hi:[1,0,1]
	v_pk_fma_f32 v[10:11], v[38:39], v[32:33], v[10:11] op_sel_hi:[1,0,1]
	;; [unrolled: 1-line block ×4, first 2 shown]
	v_pk_fma_f32 v[10:11], v[38:39], v[16:17], v[10:11] op_sel:[1,0,0] op_sel_hi:[0,0,1] neg_lo:[1,0,0]
	v_pk_fma_f32 v[8:9], v[48:49], v[16:17], v[8:9] op_sel:[1,0,0] op_sel_hi:[0,0,1] neg_lo:[1,0,0]
	s_waitcnt vmcnt(1)
	v_pk_fma_f32 v[12:13], v[42:43], v[34:35], v[12:13] op_sel_hi:[1,0,1]
	v_pk_fma_f32 v[10:11], v[46:47], v[34:35], v[10:11] op_sel_hi:[1,0,1]
	s_waitcnt vmcnt(0)
	v_pk_fma_f32 v[8:9], v[56:57], v[34:35], v[8:9] op_sel_hi:[1,0,1]
	v_pk_fma_f32 v[12:13], v[42:43], v[34:35], v[12:13] op_sel:[1,1,0] op_sel_hi:[0,1,1] neg_lo:[1,0,0]
	v_pk_fma_f32 v[10:11], v[46:47], v[34:35], v[10:11] op_sel:[1,1,0] op_sel_hi:[0,1,1] neg_lo:[1,0,0]
	;; [unrolled: 1-line block ×3, first 2 shown]
	v_mov_b32_e32 v58, v37
	v_pk_fma_f32 v[12:13], v[40:41], v[36:37], v[12:13] op_sel_hi:[1,0,1]
	v_pk_fma_f32 v[10:11], v[50:51], v[36:37], v[10:11] op_sel_hi:[1,0,1]
	;; [unrolled: 1-line block ×3, first 2 shown]
	v_pk_fma_f32 v[12:13], v[40:41], v[58:59], v[12:13] op_sel:[1,0,0] op_sel_hi:[0,0,1] neg_lo:[1,0,0]
	v_pk_fma_f32 v[10:11], v[50:51], v[58:59], v[10:11] op_sel:[1,0,0] op_sel_hi:[0,0,1] neg_lo:[1,0,0]
	v_pk_fma_f32 v[8:9], v[52:53], v[58:59], v[8:9] op_sel:[1,0,0] op_sel_hi:[0,0,1] neg_lo:[1,0,0]
	s_andn2_b64 exec, exec, s[14:15]
	s_cbranch_execnz .LBB84_13
; %bb.14:
	s_or_b64 exec, exec, s[14:15]
.LBB84_15:
	s_or_b64 exec, exec, s[4:5]
	s_cbranch_execz .LBB84_19
	s_branch .LBB84_24
.LBB84_16:
	v_mov_b64_e32 v[4:5], s[8:9]
	flat_load_dword v3, v[4:5] offset:4
	s_and_b64 vcc, exec, s[4:5]
	v_mov_b32_e32 v4, s6
	s_cbranch_vccnz .LBB84_4
.LBB84_17:
	v_mov_b64_e32 v[4:5], s[6:7]
	flat_load_dword v4, v[4:5]
	s_and_b64 vcc, exec, s[4:5]
	v_mov_b32_e32 v5, s7
	s_cbranch_vccz .LBB84_5
	s_branch .LBB84_6
.LBB84_18:
                                        ; implicit-def: $vgpr13
                                        ; implicit-def: $vgpr9
                                        ; implicit-def: $vgpr11
.LBB84_19:
	v_mov_b32_e32 v13, 0
	v_mov_b32_e32 v12, v13
	;; [unrolled: 1-line block ×6, first 2 shown]
	s_and_saveexec_b64 s[4:5], s[2:3]
	s_cbranch_execz .LBB84_23
; %bb.20:
	v_mad_u64_u32 v[14:15], s[2:3], v0, 12, 11
	v_mov_b32_e32 v17, 0
	s_mov_b64 s[2:3], 0
	v_mov_b32_e32 v10, v17
	v_mov_b32_e32 v11, v17
	;; [unrolled: 1-line block ×6, first 2 shown]
.LBB84_21:                              ; =>This Inner Loop Header: Depth=1
	v_ashrrev_i32_e32 v1, 31, v0
	v_lshl_add_u64 v[18:19], v[0:1], 2, s[6:7]
	global_load_dword v1, v[18:19], off
	v_add_u32_e32 v16, -11, v14
	v_add_u32_e32 v18, -7, v14
	v_mov_b32_e32 v19, v17
	v_lshl_add_u64 v[32:33], v[16:17], 3, s[8:9]
	v_add_u32_e32 v16, -6, v14
	v_add_u32_e32 v22, -3, v14
	v_mov_b32_e32 v23, v17
	v_lshl_add_u64 v[18:19], v[18:19], 3, s[8:9]
	v_lshl_add_u64 v[38:39], v[16:17], 3, s[8:9]
	v_add_u32_e32 v16, -2, v14
	v_lshl_add_u64 v[34:35], v[22:23], 3, s[8:9]
	global_load_dwordx4 v[22:25], v[32:33], off offset:16
	global_load_dwordx4 v[26:29], v[32:33], off
	global_load_dwordx2 v[40:41], v[18:19], off
	v_lshl_add_u64 v[18:19], v[16:17], 3, s[8:9]
	v_add_u32_e32 v16, -5, v14
	global_load_dwordx2 v[38:39], v[38:39], off
	s_nop 0
	global_load_dwordx2 v[42:43], v[18:19], off
	global_load_dwordx2 v[44:45], v[34:35], off
	v_mov_b32_e32 v31, v17
	v_mov_b32_e32 v15, v17
	v_lshl_add_u64 v[32:33], v[16:17], 3, s[8:9]
	v_add_u32_e32 v16, -1, v14
	v_lshl_add_u64 v[36:37], v[14:15], 3, s[8:9]
	v_lshl_add_u64 v[18:19], v[16:17], 3, s[8:9]
	v_add_u32_e32 v16, -4, v14
	global_load_dwordx2 v[46:47], v[32:33], off
	global_load_dwordx2 v[50:51], v[36:37], off
	v_lshl_add_u64 v[48:49], v[16:17], 3, s[8:9]
	v_add_u32_e32 v0, 4, v0
	v_cmp_ge_i32_e32 vcc, v0, v20
	s_or_b64 s[2:3], vcc, s[2:3]
	v_add_u32_e32 v14, 48, v14
	s_waitcnt vmcnt(8)
	v_subrev_u32_e32 v1, s12, v1
	v_lshlrev_b32_e32 v30, 2, v1
	v_lshl_add_u64 v[52:53], v[30:31], 3, s[10:11]
	global_load_dwordx4 v[30:33], v[52:53], off
	global_load_dwordx4 v[34:37], v[52:53], off offset:16
	global_load_dwordx2 v[54:55], v[18:19], off
	global_load_dwordx2 v[56:57], v[48:49], off
	s_waitcnt vmcnt(11)
	v_xor_b32_e32 v48, 0x80000000, v25
	s_waitcnt vmcnt(10)
	v_xor_b32_e32 v18, 0x80000000, v29
	v_mov_b32_e32 v19, v28
	v_mov_b32_e32 v49, v24
	s_waitcnt vmcnt(3)
	v_pk_fma_f32 v[12:13], v[26:27], v[30:31], v[12:13] op_sel_hi:[1,0,1]
	v_pk_fma_f32 v[10:11], v[40:41], v[30:31], v[10:11] op_sel_hi:[1,0,1]
	;; [unrolled: 1-line block ×3, first 2 shown]
	v_pk_fma_f32 v[12:13], v[26:27], v[30:31], v[12:13] op_sel:[1,1,0] op_sel_hi:[0,1,1] neg_lo:[1,0,0]
	v_pk_fma_f32 v[10:11], v[40:41], v[30:31], v[10:11] op_sel:[1,1,0] op_sel_hi:[0,1,1] neg_lo:[1,0,0]
	;; [unrolled: 1-line block ×3, first 2 shown]
	v_mov_b32_e32 v16, v33
	v_pk_fma_f32 v[12:13], v[28:29], v[32:33], v[12:13] op_sel_hi:[1,0,1]
	v_pk_fma_f32 v[10:11], v[38:39], v[32:33], v[10:11] op_sel_hi:[1,0,1]
	;; [unrolled: 1-line block ×4, first 2 shown]
	v_pk_fma_f32 v[10:11], v[38:39], v[16:17], v[10:11] op_sel:[1,0,0] op_sel_hi:[0,0,1] neg_lo:[1,0,0]
	v_pk_fma_f32 v[8:9], v[42:43], v[16:17], v[8:9] op_sel:[1,0,0] op_sel_hi:[0,0,1] neg_lo:[1,0,0]
	s_waitcnt vmcnt(2)
	v_pk_fma_f32 v[12:13], v[22:23], v[34:35], v[12:13] op_sel_hi:[1,0,1]
	v_pk_fma_f32 v[10:11], v[46:47], v[34:35], v[10:11] op_sel_hi:[1,0,1]
	s_waitcnt vmcnt(1)
	v_pk_fma_f32 v[8:9], v[54:55], v[34:35], v[8:9] op_sel_hi:[1,0,1]
	v_pk_fma_f32 v[12:13], v[22:23], v[34:35], v[12:13] op_sel:[1,1,0] op_sel_hi:[0,1,1] neg_lo:[1,0,0]
	v_pk_fma_f32 v[10:11], v[46:47], v[34:35], v[10:11] op_sel:[1,1,0] op_sel_hi:[0,1,1] neg_lo:[1,0,0]
	;; [unrolled: 1-line block ×3, first 2 shown]
	v_mov_b32_e32 v52, v37
	v_pk_fma_f32 v[12:13], v[24:25], v[36:37], v[12:13] op_sel_hi:[1,0,1]
	s_waitcnt vmcnt(0)
	v_pk_fma_f32 v[10:11], v[56:57], v[36:37], v[10:11] op_sel_hi:[1,0,1]
	v_pk_fma_f32 v[8:9], v[50:51], v[36:37], v[8:9] op_sel_hi:[1,0,1]
	;; [unrolled: 1-line block ×3, first 2 shown]
	v_pk_fma_f32 v[10:11], v[56:57], v[52:53], v[10:11] op_sel:[1,0,0] op_sel_hi:[0,0,1] neg_lo:[1,0,0]
	v_pk_fma_f32 v[8:9], v[50:51], v[52:53], v[8:9] op_sel:[1,0,0] op_sel_hi:[0,0,1] neg_lo:[1,0,0]
	s_andn2_b64 exec, exec, s[2:3]
	s_cbranch_execnz .LBB84_21
; %bb.22:
	s_or_b64 exec, exec, s[2:3]
.LBB84_23:
	s_or_b64 exec, exec, s[4:5]
.LBB84_24:
	v_mov_b32_dpp v0, v12 row_shr:1 row_mask:0xf bank_mask:0xf
	v_add_f32_e32 v0, v12, v0
	v_mov_b32_dpp v12, v13 row_shr:1 row_mask:0xf bank_mask:0xf
	v_add_f32_e32 v13, v13, v12
	v_mov_b32_dpp v1, v0 row_shr:2 row_mask:0xf bank_mask:0xf
	v_mov_b32_dpp v12, v10 row_shr:1 row_mask:0xf bank_mask:0xf
	v_add_f32_e32 v10, v10, v12
	v_mov_b32_dpp v14, v13 row_shr:2 row_mask:0xf bank_mask:0xf
	;; [unrolled: 3-line block ×5, first 2 shown]
	v_cmp_eq_u32_e32 vcc, 3, v7
	v_mov_b32_dpp v19, v9 row_shr:2 row_mask:0xf bank_mask:0xf
	s_and_b64 exec, exec, vcc
	s_cbranch_execz .LBB84_29
; %bb.25:
	s_load_dwordx2 s[2:3], s[0:1], 0x38
	v_add_f32_e32 v12, v0, v1
	v_and_b32_e32 v1, 0x7fffffff, v4
	v_cmp_eq_u32_e32 vcc, 0, v1
	v_cmp_eq_f32_e64 s[0:1], 0, v5
	v_add_f32_e32 v16, v13, v14
	v_add_f32_e32 v10, v10, v15
	;; [unrolled: 1-line block ×5, first 2 shown]
	s_and_b64 s[0:1], vcc, s[0:1]
	s_and_saveexec_b64 s[4:5], s[0:1]
	s_xor_b64 s[0:1], exec, s[4:5]
	s_cbranch_execz .LBB84_27
; %bb.26:
	v_lshl_add_u32 v4, v6, 1, v6
	v_xor_b32_e32 v18, 0x80000000, v3
	v_ashrrev_i32_e32 v5, 31, v4
	v_mov_b32_e32 v19, v2
	s_waitcnt lgkmcnt(0)
	v_lshl_add_u64 v[20:21], v[4:5], 3, s[2:3]
	v_pk_mul_f32 v[4:5], v[16:17], v[18:19] op_sel_hi:[0,1]
	v_pk_mul_f32 v[6:7], v[14:15], v[18:19] op_sel_hi:[0,1]
	v_pk_fma_f32 v[4:5], v[2:3], v[12:13], v[4:5] op_sel_hi:[1,0,1]
	v_pk_fma_f32 v[6:7], v[2:3], v[10:11], v[6:7] op_sel_hi:[1,0,1]
	global_store_dwordx4 v[20:21], v[4:7], off
                                        ; implicit-def: $vgpr6
                                        ; implicit-def: $vgpr12
                                        ; implicit-def: $vgpr16
                                        ; implicit-def: $vgpr10
                                        ; implicit-def: $vgpr14
	s_nop 1
	v_pk_mul_f32 v[4:5], v[8:9], v[18:19] op_sel_hi:[0,1]
	v_pk_fma_f32 v[0:1], v[2:3], v[0:1], v[4:5] op_sel_hi:[1,0,1]
	global_store_dwordx2 v[20:21], v[0:1], off offset:16
                                        ; implicit-def: $vgpr3
                                        ; implicit-def: $vgpr4
                                        ; implicit-def: $vgpr0
                                        ; implicit-def: $vgpr8
.LBB84_27:
	s_andn2_saveexec_b64 s[0:1], s[0:1]
	s_cbranch_execz .LBB84_29
; %bb.28:
	v_lshl_add_u32 v6, v6, 1, v6
	v_ashrrev_i32_e32 v7, 31, v6
	s_waitcnt lgkmcnt(0)
	v_lshl_add_u64 v[6:7], v[6:7], 3, s[2:3]
	global_load_dwordx4 v[18:21], v[6:7], off
	global_load_dwordx2 v[22:23], v[6:7], off offset:16
	v_xor_b32_e32 v24, 0x80000000, v3
	v_mov_b32_e32 v25, v2
	v_pk_mul_f32 v[16:17], v[16:17], v[24:25] op_sel_hi:[0,1]
	v_pk_mul_f32 v[14:15], v[14:15], v[24:25] op_sel_hi:[0,1]
	;; [unrolled: 1-line block ×3, first 2 shown]
	v_pk_fma_f32 v[12:13], v[2:3], v[12:13], v[16:17] op_sel_hi:[1,0,1]
	v_pk_fma_f32 v[10:11], v[2:3], v[10:11], v[14:15] op_sel_hi:[1,0,1]
	v_xor_b32_e32 v26, 0x80000000, v5
	v_mov_b32_e32 v27, v4
	v_pk_fma_f32 v[0:1], v[2:3], v[0:1], v[8:9] op_sel_hi:[1,0,1]
	s_waitcnt vmcnt(1)
	v_pk_fma_f32 v[2:3], v[4:5], v[18:19], v[12:13] op_sel_hi:[1,0,1]
	v_pk_fma_f32 v[8:9], v[4:5], v[20:21], v[10:11] op_sel_hi:[1,0,1]
	v_mov_b32_e32 v10, v21
	s_waitcnt vmcnt(0)
	v_pk_fma_f32 v[4:5], v[4:5], v[22:23], v[0:1] op_sel_hi:[1,0,1]
	v_pk_fma_f32 v[0:1], v[26:27], v[18:19], v[2:3] op_sel:[0,1,0]
	v_pk_fma_f32 v[2:3], v[26:27], v[10:11], v[8:9] op_sel_hi:[1,0,1]
	v_pk_fma_f32 v[4:5], v[26:27], v[22:23], v[4:5] op_sel:[0,1,0]
	global_store_dwordx4 v[6:7], v[0:3], off
	global_store_dwordx2 v[6:7], v[4:5], off offset:16
.LBB84_29:
	s_endpgm
	.section	.rodata,"a",@progbits
	.p2align	6, 0x0
	.amdhsa_kernel _ZN9rocsparseL19gebsrmvn_3xn_kernelILj128ELj4ELj4E21rocsparse_complex_numIfEEEvi20rocsparse_direction_NS_24const_host_device_scalarIT2_EEPKiS8_PKS5_SA_S6_PS5_21rocsparse_index_base_b
		.amdhsa_group_segment_fixed_size 0
		.amdhsa_private_segment_fixed_size 0
		.amdhsa_kernarg_size 72
		.amdhsa_user_sgpr_count 2
		.amdhsa_user_sgpr_dispatch_ptr 0
		.amdhsa_user_sgpr_queue_ptr 0
		.amdhsa_user_sgpr_kernarg_segment_ptr 1
		.amdhsa_user_sgpr_dispatch_id 0
		.amdhsa_user_sgpr_kernarg_preload_length 0
		.amdhsa_user_sgpr_kernarg_preload_offset 0
		.amdhsa_user_sgpr_private_segment_size 0
		.amdhsa_uses_dynamic_stack 0
		.amdhsa_enable_private_segment 0
		.amdhsa_system_sgpr_workgroup_id_x 1
		.amdhsa_system_sgpr_workgroup_id_y 0
		.amdhsa_system_sgpr_workgroup_id_z 0
		.amdhsa_system_sgpr_workgroup_info 0
		.amdhsa_system_vgpr_workitem_id 0
		.amdhsa_next_free_vgpr 60
		.amdhsa_next_free_sgpr 16
		.amdhsa_accum_offset 60
		.amdhsa_reserve_vcc 1
		.amdhsa_float_round_mode_32 0
		.amdhsa_float_round_mode_16_64 0
		.amdhsa_float_denorm_mode_32 3
		.amdhsa_float_denorm_mode_16_64 3
		.amdhsa_dx10_clamp 1
		.amdhsa_ieee_mode 1
		.amdhsa_fp16_overflow 0
		.amdhsa_tg_split 0
		.amdhsa_exception_fp_ieee_invalid_op 0
		.amdhsa_exception_fp_denorm_src 0
		.amdhsa_exception_fp_ieee_div_zero 0
		.amdhsa_exception_fp_ieee_overflow 0
		.amdhsa_exception_fp_ieee_underflow 0
		.amdhsa_exception_fp_ieee_inexact 0
		.amdhsa_exception_int_div_zero 0
	.end_amdhsa_kernel
	.section	.text._ZN9rocsparseL19gebsrmvn_3xn_kernelILj128ELj4ELj4E21rocsparse_complex_numIfEEEvi20rocsparse_direction_NS_24const_host_device_scalarIT2_EEPKiS8_PKS5_SA_S6_PS5_21rocsparse_index_base_b,"axG",@progbits,_ZN9rocsparseL19gebsrmvn_3xn_kernelILj128ELj4ELj4E21rocsparse_complex_numIfEEEvi20rocsparse_direction_NS_24const_host_device_scalarIT2_EEPKiS8_PKS5_SA_S6_PS5_21rocsparse_index_base_b,comdat
.Lfunc_end84:
	.size	_ZN9rocsparseL19gebsrmvn_3xn_kernelILj128ELj4ELj4E21rocsparse_complex_numIfEEEvi20rocsparse_direction_NS_24const_host_device_scalarIT2_EEPKiS8_PKS5_SA_S6_PS5_21rocsparse_index_base_b, .Lfunc_end84-_ZN9rocsparseL19gebsrmvn_3xn_kernelILj128ELj4ELj4E21rocsparse_complex_numIfEEEvi20rocsparse_direction_NS_24const_host_device_scalarIT2_EEPKiS8_PKS5_SA_S6_PS5_21rocsparse_index_base_b
                                        ; -- End function
	.section	.AMDGPU.csdata,"",@progbits
; Kernel info:
; codeLenInByte = 2084
; NumSgprs: 22
; NumVgprs: 60
; NumAgprs: 0
; TotalNumVgprs: 60
; ScratchSize: 0
; MemoryBound: 0
; FloatMode: 240
; IeeeMode: 1
; LDSByteSize: 0 bytes/workgroup (compile time only)
; SGPRBlocks: 2
; VGPRBlocks: 7
; NumSGPRsForWavesPerEU: 22
; NumVGPRsForWavesPerEU: 60
; AccumOffset: 60
; Occupancy: 8
; WaveLimiterHint : 1
; COMPUTE_PGM_RSRC2:SCRATCH_EN: 0
; COMPUTE_PGM_RSRC2:USER_SGPR: 2
; COMPUTE_PGM_RSRC2:TRAP_HANDLER: 0
; COMPUTE_PGM_RSRC2:TGID_X_EN: 1
; COMPUTE_PGM_RSRC2:TGID_Y_EN: 0
; COMPUTE_PGM_RSRC2:TGID_Z_EN: 0
; COMPUTE_PGM_RSRC2:TIDIG_COMP_CNT: 0
; COMPUTE_PGM_RSRC3_GFX90A:ACCUM_OFFSET: 14
; COMPUTE_PGM_RSRC3_GFX90A:TG_SPLIT: 0
	.section	.text._ZN9rocsparseL19gebsrmvn_3xn_kernelILj128ELj4ELj8E21rocsparse_complex_numIfEEEvi20rocsparse_direction_NS_24const_host_device_scalarIT2_EEPKiS8_PKS5_SA_S6_PS5_21rocsparse_index_base_b,"axG",@progbits,_ZN9rocsparseL19gebsrmvn_3xn_kernelILj128ELj4ELj8E21rocsparse_complex_numIfEEEvi20rocsparse_direction_NS_24const_host_device_scalarIT2_EEPKiS8_PKS5_SA_S6_PS5_21rocsparse_index_base_b,comdat
	.globl	_ZN9rocsparseL19gebsrmvn_3xn_kernelILj128ELj4ELj8E21rocsparse_complex_numIfEEEvi20rocsparse_direction_NS_24const_host_device_scalarIT2_EEPKiS8_PKS5_SA_S6_PS5_21rocsparse_index_base_b ; -- Begin function _ZN9rocsparseL19gebsrmvn_3xn_kernelILj128ELj4ELj8E21rocsparse_complex_numIfEEEvi20rocsparse_direction_NS_24const_host_device_scalarIT2_EEPKiS8_PKS5_SA_S6_PS5_21rocsparse_index_base_b
	.p2align	8
	.type	_ZN9rocsparseL19gebsrmvn_3xn_kernelILj128ELj4ELj8E21rocsparse_complex_numIfEEEvi20rocsparse_direction_NS_24const_host_device_scalarIT2_EEPKiS8_PKS5_SA_S6_PS5_21rocsparse_index_base_b,@function
_ZN9rocsparseL19gebsrmvn_3xn_kernelILj128ELj4ELj8E21rocsparse_complex_numIfEEEvi20rocsparse_direction_NS_24const_host_device_scalarIT2_EEPKiS8_PKS5_SA_S6_PS5_21rocsparse_index_base_b: ; @_ZN9rocsparseL19gebsrmvn_3xn_kernelILj128ELj4ELj8E21rocsparse_complex_numIfEEEvi20rocsparse_direction_NS_24const_host_device_scalarIT2_EEPKiS8_PKS5_SA_S6_PS5_21rocsparse_index_base_b
; %bb.0:
	s_load_dwordx2 s[12:13], s[0:1], 0x40
	s_load_dwordx2 s[8:9], s[0:1], 0x8
	s_load_dwordx2 s[6:7], s[0:1], 0x30
	s_waitcnt lgkmcnt(0)
	s_bitcmp1_b32 s13, 0
	s_cselect_b64 s[4:5], -1, 0
	s_xor_b64 s[10:11], s[4:5], -1
	s_and_b64 vcc, exec, s[4:5]
	v_mov_b32_e32 v2, s8
	s_cbranch_vccnz .LBB85_2
; %bb.1:
	v_mov_b64_e32 v[2:3], s[8:9]
	flat_load_dword v2, v[2:3]
.LBB85_2:
	v_cndmask_b32_e64 v1, 0, 1, s[10:11]
	v_cmp_ne_u32_e64 s[4:5], 1, v1
	s_andn2_b64 vcc, exec, s[10:11]
	v_mov_b32_e32 v3, s9
	s_cbranch_vccz .LBB85_16
; %bb.3:
	s_and_b64 vcc, exec, s[4:5]
	v_mov_b32_e32 v4, s6
	s_cbranch_vccz .LBB85_17
.LBB85_4:
	s_and_b64 vcc, exec, s[4:5]
	v_mov_b32_e32 v5, s7
	s_cbranch_vccnz .LBB85_6
.LBB85_5:
	v_mov_b64_e32 v[6:7], s[6:7]
	flat_load_dword v5, v[6:7] offset:4
.LBB85_6:
	s_waitcnt vmcnt(0) lgkmcnt(0)
	v_and_b32_e32 v1, 0x7fffffff, v2
	v_cmp_eq_u32_e32 vcc, 0, v1
	v_cmp_eq_f32_e64 s[4:5], 0, v3
	s_and_b64 s[8:9], vcc, s[4:5]
	s_mov_b64 s[4:5], -1
	s_and_saveexec_b64 s[6:7], s[8:9]
; %bb.7:
	v_and_b32_e32 v1, 0x7fffffff, v5
	v_cmp_neq_f32_e32 vcc, 1.0, v4
	v_cmp_ne_u32_e64 s[4:5], 0, v1
	s_or_b64 s[4:5], vcc, s[4:5]
	s_orn2_b64 s[4:5], s[4:5], exec
; %bb.8:
	s_or_b64 exec, exec, s[6:7]
	s_and_saveexec_b64 s[6:7], s[4:5]
	s_cbranch_execz .LBB85_29
; %bb.9:
	s_load_dwordx2 s[14:15], s[0:1], 0x0
	v_lshrrev_b32_e32 v1, 3, v0
	v_lshl_or_b32 v6, s2, 4, v1
	s_waitcnt lgkmcnt(0)
	v_cmp_gt_i32_e32 vcc, s14, v6
	s_and_b64 exec, exec, vcc
	s_cbranch_execz .LBB85_29
; %bb.10:
	s_load_dwordx8 s[4:11], s[0:1], 0x10
	v_ashrrev_i32_e32 v7, 31, v6
	s_cmp_lg_u32 s15, 0
	s_waitcnt lgkmcnt(0)
	v_lshl_add_u64 v[8:9], v[6:7], 2, s[4:5]
	global_load_dwordx2 v[8:9], v[8:9], off
	v_and_b32_e32 v7, 7, v0
	s_waitcnt vmcnt(0)
	v_subrev_u32_e32 v0, s12, v8
	v_subrev_u32_e32 v20, s12, v9
	v_add_u32_e32 v0, v0, v7
	v_cmp_lt_i32_e64 s[2:3], v0, v20
	s_cbranch_scc0 .LBB85_18
; %bb.11:
	v_mov_b32_e32 v13, 0
	v_mov_b32_e32 v12, v13
	;; [unrolled: 1-line block ×6, first 2 shown]
	s_and_saveexec_b64 s[4:5], s[2:3]
	s_cbranch_execz .LBB85_15
; %bb.12:
	v_mad_u64_u32 v[14:15], s[14:15], v0, 12, 11
	v_mov_b32_e32 v17, 0
	s_mov_b64 s[14:15], 0
	v_mov_b32_e32 v18, v0
	v_mov_b32_e32 v10, v17
	;; [unrolled: 1-line block ×7, first 2 shown]
.LBB85_13:                              ; =>This Inner Loop Header: Depth=1
	v_ashrrev_i32_e32 v19, 31, v18
	v_lshl_add_u64 v[22:23], v[18:19], 2, s[6:7]
	global_load_dword v1, v[22:23], off
	v_add_u32_e32 v16, -11, v14
	v_lshl_add_u64 v[32:33], v[16:17], 3, s[8:9]
	v_add_u32_e32 v16, -7, v14
	v_lshl_add_u64 v[36:37], v[16:17], 3, s[8:9]
	v_add_u32_e32 v16, -6, v14
	global_load_dwordx4 v[22:25], v[32:33], off offset:16
	global_load_dwordx4 v[26:29], v[32:33], off
	v_lshl_add_u64 v[32:33], v[16:17], 3, s[8:9]
	v_add_u32_e32 v16, -5, v14
	global_load_dwordx2 v[38:39], v[36:37], off
	v_lshl_add_u64 v[36:37], v[16:17], 3, s[8:9]
	v_add_u32_e32 v16, -4, v14
	v_lshl_add_u64 v[40:41], v[16:17], 3, s[8:9]
	v_add_u32_e32 v16, -3, v14
	;; [unrolled: 2-line block ×3, first 2 shown]
	v_mov_b32_e32 v31, v17
	v_mov_b32_e32 v15, v17
	global_load_dwordx2 v[42:43], v[36:37], off
	global_load_dwordx2 v[46:47], v[40:41], off
	;; [unrolled: 1-line block ×3, first 2 shown]
	v_lshl_add_u64 v[32:33], v[16:17], 3, s[8:9]
	v_add_u32_e32 v16, -1, v14
	v_lshl_add_u64 v[34:35], v[14:15], 3, s[8:9]
	v_lshl_add_u64 v[36:37], v[16:17], 3, s[8:9]
	global_load_dwordx2 v[40:41], v[32:33], off
	global_load_dwordx2 v[50:51], v[36:37], off
	;; [unrolled: 1-line block ×3, first 2 shown]
	v_add_u32_e32 v18, 8, v18
	v_cmp_ge_i32_e32 vcc, v18, v20
	s_or_b64 s[14:15], vcc, s[14:15]
	v_add_u32_e32 v14, 0x60, v14
	s_waitcnt vmcnt(9)
	v_subrev_u32_e32 v1, s12, v1
	v_lshlrev_b32_e32 v30, 2, v1
	v_lshl_add_u64 v[54:55], v[30:31], 3, s[10:11]
	global_load_dwordx4 v[30:33], v[54:55], off
	global_load_dwordx4 v[34:37], v[54:55], off offset:16
	global_load_dwordx2 v[56:57], v[44:45], off
	s_waitcnt vmcnt(11)
	v_xor_b32_e32 v44, 0x80000000, v25
	s_waitcnt vmcnt(10)
	v_xor_b32_e32 v54, 0x80000000, v29
	v_mov_b32_e32 v55, v28
	v_mov_b32_e32 v45, v24
	s_waitcnt vmcnt(2)
	v_pk_fma_f32 v[12:13], v[26:27], v[30:31], v[12:13] op_sel_hi:[1,0,1]
	v_pk_fma_f32 v[10:11], v[28:29], v[30:31], v[10:11] op_sel_hi:[1,0,1]
	;; [unrolled: 1-line block ×3, first 2 shown]
	v_pk_fma_f32 v[12:13], v[26:27], v[30:31], v[12:13] op_sel:[1,1,0] op_sel_hi:[0,1,1] neg_lo:[1,0,0]
	v_pk_fma_f32 v[10:11], v[54:55], v[30:31], v[10:11] op_sel:[0,1,0]
	v_pk_fma_f32 v[8:9], v[22:23], v[30:31], v[8:9] op_sel:[1,1,0] op_sel_hi:[0,1,1] neg_lo:[1,0,0]
	v_mov_b32_e32 v16, v33
	v_pk_fma_f32 v[12:13], v[24:25], v[32:33], v[12:13] op_sel_hi:[1,0,1]
	v_pk_fma_f32 v[10:11], v[38:39], v[32:33], v[10:11] op_sel_hi:[1,0,1]
	;; [unrolled: 1-line block ×4, first 2 shown]
	v_pk_fma_f32 v[10:11], v[38:39], v[16:17], v[10:11] op_sel:[1,0,0] op_sel_hi:[0,0,1] neg_lo:[1,0,0]
	v_pk_fma_f32 v[8:9], v[48:49], v[16:17], v[8:9] op_sel:[1,0,0] op_sel_hi:[0,0,1] neg_lo:[1,0,0]
	s_waitcnt vmcnt(1)
	v_pk_fma_f32 v[12:13], v[42:43], v[34:35], v[12:13] op_sel_hi:[1,0,1]
	v_pk_fma_f32 v[10:11], v[46:47], v[34:35], v[10:11] op_sel_hi:[1,0,1]
	s_waitcnt vmcnt(0)
	v_pk_fma_f32 v[8:9], v[56:57], v[34:35], v[8:9] op_sel_hi:[1,0,1]
	v_pk_fma_f32 v[12:13], v[42:43], v[34:35], v[12:13] op_sel:[1,1,0] op_sel_hi:[0,1,1] neg_lo:[1,0,0]
	v_pk_fma_f32 v[10:11], v[46:47], v[34:35], v[10:11] op_sel:[1,1,0] op_sel_hi:[0,1,1] neg_lo:[1,0,0]
	v_pk_fma_f32 v[8:9], v[56:57], v[34:35], v[8:9] op_sel:[1,1,0] op_sel_hi:[0,1,1] neg_lo:[1,0,0]
	v_mov_b32_e32 v58, v37
	v_pk_fma_f32 v[12:13], v[40:41], v[36:37], v[12:13] op_sel_hi:[1,0,1]
	v_pk_fma_f32 v[10:11], v[50:51], v[36:37], v[10:11] op_sel_hi:[1,0,1]
	v_pk_fma_f32 v[8:9], v[52:53], v[36:37], v[8:9] op_sel_hi:[1,0,1]
	v_pk_fma_f32 v[12:13], v[40:41], v[58:59], v[12:13] op_sel:[1,0,0] op_sel_hi:[0,0,1] neg_lo:[1,0,0]
	v_pk_fma_f32 v[10:11], v[50:51], v[58:59], v[10:11] op_sel:[1,0,0] op_sel_hi:[0,0,1] neg_lo:[1,0,0]
	;; [unrolled: 1-line block ×3, first 2 shown]
	s_andn2_b64 exec, exec, s[14:15]
	s_cbranch_execnz .LBB85_13
; %bb.14:
	s_or_b64 exec, exec, s[14:15]
.LBB85_15:
	s_or_b64 exec, exec, s[4:5]
	s_cbranch_execz .LBB85_19
	s_branch .LBB85_24
.LBB85_16:
	v_mov_b64_e32 v[4:5], s[8:9]
	flat_load_dword v3, v[4:5] offset:4
	s_and_b64 vcc, exec, s[4:5]
	v_mov_b32_e32 v4, s6
	s_cbranch_vccnz .LBB85_4
.LBB85_17:
	v_mov_b64_e32 v[4:5], s[6:7]
	flat_load_dword v4, v[4:5]
	s_and_b64 vcc, exec, s[4:5]
	v_mov_b32_e32 v5, s7
	s_cbranch_vccz .LBB85_5
	s_branch .LBB85_6
.LBB85_18:
                                        ; implicit-def: $vgpr13
                                        ; implicit-def: $vgpr9
                                        ; implicit-def: $vgpr11
.LBB85_19:
	v_mov_b32_e32 v13, 0
	v_mov_b32_e32 v12, v13
	;; [unrolled: 1-line block ×6, first 2 shown]
	s_and_saveexec_b64 s[4:5], s[2:3]
	s_cbranch_execz .LBB85_23
; %bb.20:
	v_mad_u64_u32 v[14:15], s[2:3], v0, 12, 11
	v_mov_b32_e32 v17, 0
	s_mov_b64 s[2:3], 0
	v_mov_b32_e32 v10, v17
	v_mov_b32_e32 v11, v17
	;; [unrolled: 1-line block ×6, first 2 shown]
.LBB85_21:                              ; =>This Inner Loop Header: Depth=1
	v_ashrrev_i32_e32 v1, 31, v0
	v_lshl_add_u64 v[18:19], v[0:1], 2, s[6:7]
	global_load_dword v1, v[18:19], off
	v_add_u32_e32 v16, -11, v14
	v_add_u32_e32 v18, -7, v14
	v_mov_b32_e32 v19, v17
	v_lshl_add_u64 v[32:33], v[16:17], 3, s[8:9]
	v_add_u32_e32 v16, -6, v14
	v_add_u32_e32 v22, -3, v14
	v_mov_b32_e32 v23, v17
	v_lshl_add_u64 v[18:19], v[18:19], 3, s[8:9]
	v_lshl_add_u64 v[38:39], v[16:17], 3, s[8:9]
	v_add_u32_e32 v16, -2, v14
	v_lshl_add_u64 v[34:35], v[22:23], 3, s[8:9]
	global_load_dwordx4 v[22:25], v[32:33], off offset:16
	global_load_dwordx4 v[26:29], v[32:33], off
	global_load_dwordx2 v[40:41], v[18:19], off
	v_lshl_add_u64 v[18:19], v[16:17], 3, s[8:9]
	v_add_u32_e32 v16, -5, v14
	global_load_dwordx2 v[38:39], v[38:39], off
	s_nop 0
	global_load_dwordx2 v[42:43], v[18:19], off
	global_load_dwordx2 v[44:45], v[34:35], off
	v_mov_b32_e32 v31, v17
	v_mov_b32_e32 v15, v17
	v_lshl_add_u64 v[32:33], v[16:17], 3, s[8:9]
	v_add_u32_e32 v16, -1, v14
	v_lshl_add_u64 v[36:37], v[14:15], 3, s[8:9]
	v_lshl_add_u64 v[18:19], v[16:17], 3, s[8:9]
	v_add_u32_e32 v16, -4, v14
	global_load_dwordx2 v[46:47], v[32:33], off
	global_load_dwordx2 v[50:51], v[36:37], off
	v_lshl_add_u64 v[48:49], v[16:17], 3, s[8:9]
	v_add_u32_e32 v0, 8, v0
	v_cmp_ge_i32_e32 vcc, v0, v20
	s_or_b64 s[2:3], vcc, s[2:3]
	v_add_u32_e32 v14, 0x60, v14
	s_waitcnt vmcnt(8)
	v_subrev_u32_e32 v1, s12, v1
	v_lshlrev_b32_e32 v30, 2, v1
	v_lshl_add_u64 v[52:53], v[30:31], 3, s[10:11]
	global_load_dwordx4 v[30:33], v[52:53], off
	global_load_dwordx4 v[34:37], v[52:53], off offset:16
	global_load_dwordx2 v[54:55], v[18:19], off
	global_load_dwordx2 v[56:57], v[48:49], off
	s_waitcnt vmcnt(11)
	v_xor_b32_e32 v48, 0x80000000, v25
	s_waitcnt vmcnt(10)
	v_xor_b32_e32 v18, 0x80000000, v29
	v_mov_b32_e32 v19, v28
	v_mov_b32_e32 v49, v24
	s_waitcnt vmcnt(3)
	v_pk_fma_f32 v[12:13], v[26:27], v[30:31], v[12:13] op_sel_hi:[1,0,1]
	v_pk_fma_f32 v[10:11], v[40:41], v[30:31], v[10:11] op_sel_hi:[1,0,1]
	;; [unrolled: 1-line block ×3, first 2 shown]
	v_pk_fma_f32 v[12:13], v[26:27], v[30:31], v[12:13] op_sel:[1,1,0] op_sel_hi:[0,1,1] neg_lo:[1,0,0]
	v_pk_fma_f32 v[10:11], v[40:41], v[30:31], v[10:11] op_sel:[1,1,0] op_sel_hi:[0,1,1] neg_lo:[1,0,0]
	;; [unrolled: 1-line block ×3, first 2 shown]
	v_mov_b32_e32 v16, v33
	v_pk_fma_f32 v[12:13], v[28:29], v[32:33], v[12:13] op_sel_hi:[1,0,1]
	v_pk_fma_f32 v[10:11], v[38:39], v[32:33], v[10:11] op_sel_hi:[1,0,1]
	;; [unrolled: 1-line block ×4, first 2 shown]
	v_pk_fma_f32 v[10:11], v[38:39], v[16:17], v[10:11] op_sel:[1,0,0] op_sel_hi:[0,0,1] neg_lo:[1,0,0]
	v_pk_fma_f32 v[8:9], v[42:43], v[16:17], v[8:9] op_sel:[1,0,0] op_sel_hi:[0,0,1] neg_lo:[1,0,0]
	s_waitcnt vmcnt(2)
	v_pk_fma_f32 v[12:13], v[22:23], v[34:35], v[12:13] op_sel_hi:[1,0,1]
	v_pk_fma_f32 v[10:11], v[46:47], v[34:35], v[10:11] op_sel_hi:[1,0,1]
	s_waitcnt vmcnt(1)
	v_pk_fma_f32 v[8:9], v[54:55], v[34:35], v[8:9] op_sel_hi:[1,0,1]
	v_pk_fma_f32 v[12:13], v[22:23], v[34:35], v[12:13] op_sel:[1,1,0] op_sel_hi:[0,1,1] neg_lo:[1,0,0]
	v_pk_fma_f32 v[10:11], v[46:47], v[34:35], v[10:11] op_sel:[1,1,0] op_sel_hi:[0,1,1] neg_lo:[1,0,0]
	;; [unrolled: 1-line block ×3, first 2 shown]
	v_mov_b32_e32 v52, v37
	v_pk_fma_f32 v[12:13], v[24:25], v[36:37], v[12:13] op_sel_hi:[1,0,1]
	s_waitcnt vmcnt(0)
	v_pk_fma_f32 v[10:11], v[56:57], v[36:37], v[10:11] op_sel_hi:[1,0,1]
	v_pk_fma_f32 v[8:9], v[50:51], v[36:37], v[8:9] op_sel_hi:[1,0,1]
	;; [unrolled: 1-line block ×3, first 2 shown]
	v_pk_fma_f32 v[10:11], v[56:57], v[52:53], v[10:11] op_sel:[1,0,0] op_sel_hi:[0,0,1] neg_lo:[1,0,0]
	v_pk_fma_f32 v[8:9], v[50:51], v[52:53], v[8:9] op_sel:[1,0,0] op_sel_hi:[0,0,1] neg_lo:[1,0,0]
	s_andn2_b64 exec, exec, s[2:3]
	s_cbranch_execnz .LBB85_21
; %bb.22:
	s_or_b64 exec, exec, s[2:3]
.LBB85_23:
	s_or_b64 exec, exec, s[4:5]
.LBB85_24:
	v_mov_b32_dpp v0, v12 row_shr:1 row_mask:0xf bank_mask:0xf
	v_add_f32_e32 v0, v12, v0
	v_mov_b32_dpp v12, v13 row_shr:1 row_mask:0xf bank_mask:0xf
	v_add_f32_e32 v12, v13, v12
	;; [unrolled: 2-line block ×5, first 2 shown]
	v_mov_b32_dpp v1, v0 row_shr:4 row_mask:0xf bank_mask:0xe
	v_mov_b32_dpp v14, v13 row_shr:4 row_mask:0xf bank_mask:0xe
	;; [unrolled: 1-line block ×3, first 2 shown]
	v_add_f32_e32 v10, v10, v12
	v_cmp_eq_u32_e32 vcc, 7, v7
	v_mov_b32_dpp v12, v11 row_shr:1 row_mask:0xf bank_mask:0xf
	v_add_f32_e32 v11, v11, v12
	v_mov_b32_dpp v15, v10 row_shr:4 row_mask:0xf bank_mask:0xe
	s_nop 0
	v_mov_b32_dpp v12, v11 row_shr:2 row_mask:0xf bank_mask:0xf
	v_add_f32_e32 v11, v11, v12
	s_nop 0
	v_mov_b32_dpp v12, v8 row_shr:1 row_mask:0xf bank_mask:0xf
	v_add_f32_e32 v8, v8, v12
	v_mov_b32_dpp v17, v11 row_shr:4 row_mask:0xf bank_mask:0xe
	s_nop 0
	v_mov_b32_dpp v12, v8 row_shr:2 row_mask:0xf bank_mask:0xf
	v_add_f32_e32 v8, v8, v12
	s_nop 0
	;; [unrolled: 7-line block ×3, first 2 shown]
	v_mov_b32_dpp v19, v9 row_shr:4 row_mask:0xf bank_mask:0xe
	s_and_b64 exec, exec, vcc
	s_cbranch_execz .LBB85_29
; %bb.25:
	s_load_dwordx2 s[2:3], s[0:1], 0x38
	v_add_f32_e32 v12, v0, v1
	v_and_b32_e32 v1, 0x7fffffff, v4
	v_cmp_eq_u32_e32 vcc, 0, v1
	v_cmp_eq_f32_e64 s[0:1], 0, v5
	v_add_f32_e32 v16, v13, v14
	v_add_f32_e32 v10, v10, v15
	;; [unrolled: 1-line block ×5, first 2 shown]
	s_and_b64 s[0:1], vcc, s[0:1]
	s_and_saveexec_b64 s[4:5], s[0:1]
	s_xor_b64 s[0:1], exec, s[4:5]
	s_cbranch_execz .LBB85_27
; %bb.26:
	v_lshl_add_u32 v4, v6, 1, v6
	v_xor_b32_e32 v18, 0x80000000, v3
	v_ashrrev_i32_e32 v5, 31, v4
	v_mov_b32_e32 v19, v2
	s_waitcnt lgkmcnt(0)
	v_lshl_add_u64 v[20:21], v[4:5], 3, s[2:3]
	v_pk_mul_f32 v[4:5], v[16:17], v[18:19] op_sel_hi:[0,1]
	v_pk_mul_f32 v[6:7], v[14:15], v[18:19] op_sel_hi:[0,1]
	v_pk_fma_f32 v[4:5], v[2:3], v[12:13], v[4:5] op_sel_hi:[1,0,1]
	v_pk_fma_f32 v[6:7], v[2:3], v[10:11], v[6:7] op_sel_hi:[1,0,1]
	global_store_dwordx4 v[20:21], v[4:7], off
                                        ; implicit-def: $vgpr6
                                        ; implicit-def: $vgpr12
                                        ; implicit-def: $vgpr16
                                        ; implicit-def: $vgpr10
                                        ; implicit-def: $vgpr14
	s_nop 1
	v_pk_mul_f32 v[4:5], v[8:9], v[18:19] op_sel_hi:[0,1]
	v_pk_fma_f32 v[0:1], v[2:3], v[0:1], v[4:5] op_sel_hi:[1,0,1]
	global_store_dwordx2 v[20:21], v[0:1], off offset:16
                                        ; implicit-def: $vgpr3
                                        ; implicit-def: $vgpr4
                                        ; implicit-def: $vgpr0
                                        ; implicit-def: $vgpr8
.LBB85_27:
	s_andn2_saveexec_b64 s[0:1], s[0:1]
	s_cbranch_execz .LBB85_29
; %bb.28:
	v_lshl_add_u32 v6, v6, 1, v6
	v_ashrrev_i32_e32 v7, 31, v6
	s_waitcnt lgkmcnt(0)
	v_lshl_add_u64 v[6:7], v[6:7], 3, s[2:3]
	global_load_dwordx4 v[18:21], v[6:7], off
	global_load_dwordx2 v[22:23], v[6:7], off offset:16
	v_xor_b32_e32 v24, 0x80000000, v3
	v_mov_b32_e32 v25, v2
	v_pk_mul_f32 v[16:17], v[16:17], v[24:25] op_sel_hi:[0,1]
	v_pk_mul_f32 v[14:15], v[14:15], v[24:25] op_sel_hi:[0,1]
	;; [unrolled: 1-line block ×3, first 2 shown]
	v_pk_fma_f32 v[12:13], v[2:3], v[12:13], v[16:17] op_sel_hi:[1,0,1]
	v_pk_fma_f32 v[10:11], v[2:3], v[10:11], v[14:15] op_sel_hi:[1,0,1]
	v_xor_b32_e32 v26, 0x80000000, v5
	v_mov_b32_e32 v27, v4
	v_pk_fma_f32 v[0:1], v[2:3], v[0:1], v[8:9] op_sel_hi:[1,0,1]
	s_waitcnt vmcnt(1)
	v_pk_fma_f32 v[2:3], v[4:5], v[18:19], v[12:13] op_sel_hi:[1,0,1]
	v_pk_fma_f32 v[8:9], v[4:5], v[20:21], v[10:11] op_sel_hi:[1,0,1]
	v_mov_b32_e32 v10, v21
	s_waitcnt vmcnt(0)
	v_pk_fma_f32 v[4:5], v[4:5], v[22:23], v[0:1] op_sel_hi:[1,0,1]
	v_pk_fma_f32 v[0:1], v[26:27], v[18:19], v[2:3] op_sel:[0,1,0]
	v_pk_fma_f32 v[2:3], v[26:27], v[10:11], v[8:9] op_sel_hi:[1,0,1]
	v_pk_fma_f32 v[4:5], v[26:27], v[22:23], v[4:5] op_sel:[0,1,0]
	global_store_dwordx4 v[6:7], v[0:3], off
	global_store_dwordx2 v[6:7], v[4:5], off offset:16
.LBB85_29:
	s_endpgm
	.section	.rodata,"a",@progbits
	.p2align	6, 0x0
	.amdhsa_kernel _ZN9rocsparseL19gebsrmvn_3xn_kernelILj128ELj4ELj8E21rocsparse_complex_numIfEEEvi20rocsparse_direction_NS_24const_host_device_scalarIT2_EEPKiS8_PKS5_SA_S6_PS5_21rocsparse_index_base_b
		.amdhsa_group_segment_fixed_size 0
		.amdhsa_private_segment_fixed_size 0
		.amdhsa_kernarg_size 72
		.amdhsa_user_sgpr_count 2
		.amdhsa_user_sgpr_dispatch_ptr 0
		.amdhsa_user_sgpr_queue_ptr 0
		.amdhsa_user_sgpr_kernarg_segment_ptr 1
		.amdhsa_user_sgpr_dispatch_id 0
		.amdhsa_user_sgpr_kernarg_preload_length 0
		.amdhsa_user_sgpr_kernarg_preload_offset 0
		.amdhsa_user_sgpr_private_segment_size 0
		.amdhsa_uses_dynamic_stack 0
		.amdhsa_enable_private_segment 0
		.amdhsa_system_sgpr_workgroup_id_x 1
		.amdhsa_system_sgpr_workgroup_id_y 0
		.amdhsa_system_sgpr_workgroup_id_z 0
		.amdhsa_system_sgpr_workgroup_info 0
		.amdhsa_system_vgpr_workitem_id 0
		.amdhsa_next_free_vgpr 60
		.amdhsa_next_free_sgpr 16
		.amdhsa_accum_offset 60
		.amdhsa_reserve_vcc 1
		.amdhsa_float_round_mode_32 0
		.amdhsa_float_round_mode_16_64 0
		.amdhsa_float_denorm_mode_32 3
		.amdhsa_float_denorm_mode_16_64 3
		.amdhsa_dx10_clamp 1
		.amdhsa_ieee_mode 1
		.amdhsa_fp16_overflow 0
		.amdhsa_tg_split 0
		.amdhsa_exception_fp_ieee_invalid_op 0
		.amdhsa_exception_fp_denorm_src 0
		.amdhsa_exception_fp_ieee_div_zero 0
		.amdhsa_exception_fp_ieee_overflow 0
		.amdhsa_exception_fp_ieee_underflow 0
		.amdhsa_exception_fp_ieee_inexact 0
		.amdhsa_exception_int_div_zero 0
	.end_amdhsa_kernel
	.section	.text._ZN9rocsparseL19gebsrmvn_3xn_kernelILj128ELj4ELj8E21rocsparse_complex_numIfEEEvi20rocsparse_direction_NS_24const_host_device_scalarIT2_EEPKiS8_PKS5_SA_S6_PS5_21rocsparse_index_base_b,"axG",@progbits,_ZN9rocsparseL19gebsrmvn_3xn_kernelILj128ELj4ELj8E21rocsparse_complex_numIfEEEvi20rocsparse_direction_NS_24const_host_device_scalarIT2_EEPKiS8_PKS5_SA_S6_PS5_21rocsparse_index_base_b,comdat
.Lfunc_end85:
	.size	_ZN9rocsparseL19gebsrmvn_3xn_kernelILj128ELj4ELj8E21rocsparse_complex_numIfEEEvi20rocsparse_direction_NS_24const_host_device_scalarIT2_EEPKiS8_PKS5_SA_S6_PS5_21rocsparse_index_base_b, .Lfunc_end85-_ZN9rocsparseL19gebsrmvn_3xn_kernelILj128ELj4ELj8E21rocsparse_complex_numIfEEEvi20rocsparse_direction_NS_24const_host_device_scalarIT2_EEPKiS8_PKS5_SA_S6_PS5_21rocsparse_index_base_b
                                        ; -- End function
	.section	.AMDGPU.csdata,"",@progbits
; Kernel info:
; codeLenInByte = 2188
; NumSgprs: 22
; NumVgprs: 60
; NumAgprs: 0
; TotalNumVgprs: 60
; ScratchSize: 0
; MemoryBound: 0
; FloatMode: 240
; IeeeMode: 1
; LDSByteSize: 0 bytes/workgroup (compile time only)
; SGPRBlocks: 2
; VGPRBlocks: 7
; NumSGPRsForWavesPerEU: 22
; NumVGPRsForWavesPerEU: 60
; AccumOffset: 60
; Occupancy: 8
; WaveLimiterHint : 1
; COMPUTE_PGM_RSRC2:SCRATCH_EN: 0
; COMPUTE_PGM_RSRC2:USER_SGPR: 2
; COMPUTE_PGM_RSRC2:TRAP_HANDLER: 0
; COMPUTE_PGM_RSRC2:TGID_X_EN: 1
; COMPUTE_PGM_RSRC2:TGID_Y_EN: 0
; COMPUTE_PGM_RSRC2:TGID_Z_EN: 0
; COMPUTE_PGM_RSRC2:TIDIG_COMP_CNT: 0
; COMPUTE_PGM_RSRC3_GFX90A:ACCUM_OFFSET: 14
; COMPUTE_PGM_RSRC3_GFX90A:TG_SPLIT: 0
	.section	.text._ZN9rocsparseL19gebsrmvn_3xn_kernelILj128ELj4ELj16E21rocsparse_complex_numIfEEEvi20rocsparse_direction_NS_24const_host_device_scalarIT2_EEPKiS8_PKS5_SA_S6_PS5_21rocsparse_index_base_b,"axG",@progbits,_ZN9rocsparseL19gebsrmvn_3xn_kernelILj128ELj4ELj16E21rocsparse_complex_numIfEEEvi20rocsparse_direction_NS_24const_host_device_scalarIT2_EEPKiS8_PKS5_SA_S6_PS5_21rocsparse_index_base_b,comdat
	.globl	_ZN9rocsparseL19gebsrmvn_3xn_kernelILj128ELj4ELj16E21rocsparse_complex_numIfEEEvi20rocsparse_direction_NS_24const_host_device_scalarIT2_EEPKiS8_PKS5_SA_S6_PS5_21rocsparse_index_base_b ; -- Begin function _ZN9rocsparseL19gebsrmvn_3xn_kernelILj128ELj4ELj16E21rocsparse_complex_numIfEEEvi20rocsparse_direction_NS_24const_host_device_scalarIT2_EEPKiS8_PKS5_SA_S6_PS5_21rocsparse_index_base_b
	.p2align	8
	.type	_ZN9rocsparseL19gebsrmvn_3xn_kernelILj128ELj4ELj16E21rocsparse_complex_numIfEEEvi20rocsparse_direction_NS_24const_host_device_scalarIT2_EEPKiS8_PKS5_SA_S6_PS5_21rocsparse_index_base_b,@function
_ZN9rocsparseL19gebsrmvn_3xn_kernelILj128ELj4ELj16E21rocsparse_complex_numIfEEEvi20rocsparse_direction_NS_24const_host_device_scalarIT2_EEPKiS8_PKS5_SA_S6_PS5_21rocsparse_index_base_b: ; @_ZN9rocsparseL19gebsrmvn_3xn_kernelILj128ELj4ELj16E21rocsparse_complex_numIfEEEvi20rocsparse_direction_NS_24const_host_device_scalarIT2_EEPKiS8_PKS5_SA_S6_PS5_21rocsparse_index_base_b
; %bb.0:
	s_load_dwordx2 s[12:13], s[0:1], 0x40
	s_load_dwordx2 s[8:9], s[0:1], 0x8
	;; [unrolled: 1-line block ×3, first 2 shown]
	s_waitcnt lgkmcnt(0)
	s_bitcmp1_b32 s13, 0
	s_cselect_b64 s[4:5], -1, 0
	s_xor_b64 s[10:11], s[4:5], -1
	s_and_b64 vcc, exec, s[4:5]
	v_mov_b32_e32 v2, s8
	s_cbranch_vccnz .LBB86_2
; %bb.1:
	v_mov_b64_e32 v[2:3], s[8:9]
	flat_load_dword v2, v[2:3]
.LBB86_2:
	v_cndmask_b32_e64 v1, 0, 1, s[10:11]
	v_cmp_ne_u32_e64 s[4:5], 1, v1
	s_andn2_b64 vcc, exec, s[10:11]
	v_mov_b32_e32 v3, s9
	s_cbranch_vccz .LBB86_16
; %bb.3:
	s_and_b64 vcc, exec, s[4:5]
	v_mov_b32_e32 v4, s6
	s_cbranch_vccz .LBB86_17
.LBB86_4:
	s_and_b64 vcc, exec, s[4:5]
	v_mov_b32_e32 v5, s7
	s_cbranch_vccnz .LBB86_6
.LBB86_5:
	v_mov_b64_e32 v[6:7], s[6:7]
	flat_load_dword v5, v[6:7] offset:4
.LBB86_6:
	s_waitcnt vmcnt(0) lgkmcnt(0)
	v_and_b32_e32 v1, 0x7fffffff, v2
	v_cmp_eq_u32_e32 vcc, 0, v1
	v_cmp_eq_f32_e64 s[4:5], 0, v3
	s_and_b64 s[8:9], vcc, s[4:5]
	s_mov_b64 s[4:5], -1
	s_and_saveexec_b64 s[6:7], s[8:9]
; %bb.7:
	v_and_b32_e32 v1, 0x7fffffff, v5
	v_cmp_neq_f32_e32 vcc, 1.0, v4
	v_cmp_ne_u32_e64 s[4:5], 0, v1
	s_or_b64 s[4:5], vcc, s[4:5]
	s_orn2_b64 s[4:5], s[4:5], exec
; %bb.8:
	s_or_b64 exec, exec, s[6:7]
	s_and_saveexec_b64 s[6:7], s[4:5]
	s_cbranch_execz .LBB86_29
; %bb.9:
	s_load_dwordx2 s[14:15], s[0:1], 0x0
	v_lshrrev_b32_e32 v1, 4, v0
	v_lshl_or_b32 v6, s2, 3, v1
	s_waitcnt lgkmcnt(0)
	v_cmp_gt_i32_e32 vcc, s14, v6
	s_and_b64 exec, exec, vcc
	s_cbranch_execz .LBB86_29
; %bb.10:
	s_load_dwordx8 s[4:11], s[0:1], 0x10
	v_ashrrev_i32_e32 v7, 31, v6
	s_cmp_lg_u32 s15, 0
	s_waitcnt lgkmcnt(0)
	v_lshl_add_u64 v[8:9], v[6:7], 2, s[4:5]
	global_load_dwordx2 v[8:9], v[8:9], off
	v_and_b32_e32 v7, 15, v0
	s_waitcnt vmcnt(0)
	v_subrev_u32_e32 v0, s12, v8
	v_subrev_u32_e32 v20, s12, v9
	v_add_u32_e32 v0, v0, v7
	v_cmp_lt_i32_e64 s[2:3], v0, v20
	s_cbranch_scc0 .LBB86_18
; %bb.11:
	v_mov_b32_e32 v13, 0
	v_mov_b32_e32 v12, v13
	;; [unrolled: 1-line block ×6, first 2 shown]
	s_and_saveexec_b64 s[4:5], s[2:3]
	s_cbranch_execz .LBB86_15
; %bb.12:
	v_mad_u64_u32 v[14:15], s[14:15], v0, 12, 11
	v_mov_b32_e32 v17, 0
	s_mov_b64 s[14:15], 0
	v_mov_b32_e32 v18, v0
	v_mov_b32_e32 v10, v17
	;; [unrolled: 1-line block ×7, first 2 shown]
.LBB86_13:                              ; =>This Inner Loop Header: Depth=1
	v_ashrrev_i32_e32 v19, 31, v18
	v_lshl_add_u64 v[22:23], v[18:19], 2, s[6:7]
	global_load_dword v1, v[22:23], off
	v_add_u32_e32 v16, -11, v14
	v_lshl_add_u64 v[32:33], v[16:17], 3, s[8:9]
	v_add_u32_e32 v16, -7, v14
	v_lshl_add_u64 v[36:37], v[16:17], 3, s[8:9]
	v_add_u32_e32 v16, -6, v14
	global_load_dwordx4 v[22:25], v[32:33], off offset:16
	global_load_dwordx4 v[26:29], v[32:33], off
	v_lshl_add_u64 v[32:33], v[16:17], 3, s[8:9]
	v_add_u32_e32 v16, -5, v14
	global_load_dwordx2 v[38:39], v[36:37], off
	v_lshl_add_u64 v[36:37], v[16:17], 3, s[8:9]
	v_add_u32_e32 v16, -4, v14
	v_lshl_add_u64 v[40:41], v[16:17], 3, s[8:9]
	v_add_u32_e32 v16, -3, v14
	;; [unrolled: 2-line block ×3, first 2 shown]
	v_mov_b32_e32 v31, v17
	v_mov_b32_e32 v15, v17
	global_load_dwordx2 v[42:43], v[36:37], off
	global_load_dwordx2 v[46:47], v[40:41], off
	;; [unrolled: 1-line block ×3, first 2 shown]
	v_lshl_add_u64 v[32:33], v[16:17], 3, s[8:9]
	v_add_u32_e32 v16, -1, v14
	v_lshl_add_u64 v[34:35], v[14:15], 3, s[8:9]
	v_lshl_add_u64 v[36:37], v[16:17], 3, s[8:9]
	global_load_dwordx2 v[40:41], v[32:33], off
	global_load_dwordx2 v[50:51], v[36:37], off
	;; [unrolled: 1-line block ×3, first 2 shown]
	v_add_u32_e32 v18, 16, v18
	v_cmp_ge_i32_e32 vcc, v18, v20
	s_or_b64 s[14:15], vcc, s[14:15]
	v_add_u32_e32 v14, 0xc0, v14
	s_waitcnt vmcnt(9)
	v_subrev_u32_e32 v1, s12, v1
	v_lshlrev_b32_e32 v30, 2, v1
	v_lshl_add_u64 v[54:55], v[30:31], 3, s[10:11]
	global_load_dwordx4 v[30:33], v[54:55], off
	global_load_dwordx4 v[34:37], v[54:55], off offset:16
	global_load_dwordx2 v[56:57], v[44:45], off
	s_waitcnt vmcnt(11)
	v_xor_b32_e32 v44, 0x80000000, v25
	s_waitcnt vmcnt(10)
	v_xor_b32_e32 v54, 0x80000000, v29
	v_mov_b32_e32 v55, v28
	v_mov_b32_e32 v45, v24
	s_waitcnt vmcnt(2)
	v_pk_fma_f32 v[12:13], v[26:27], v[30:31], v[12:13] op_sel_hi:[1,0,1]
	v_pk_fma_f32 v[10:11], v[28:29], v[30:31], v[10:11] op_sel_hi:[1,0,1]
	v_pk_fma_f32 v[8:9], v[22:23], v[30:31], v[8:9] op_sel_hi:[1,0,1]
	v_pk_fma_f32 v[12:13], v[26:27], v[30:31], v[12:13] op_sel:[1,1,0] op_sel_hi:[0,1,1] neg_lo:[1,0,0]
	v_pk_fma_f32 v[10:11], v[54:55], v[30:31], v[10:11] op_sel:[0,1,0]
	v_pk_fma_f32 v[8:9], v[22:23], v[30:31], v[8:9] op_sel:[1,1,0] op_sel_hi:[0,1,1] neg_lo:[1,0,0]
	v_mov_b32_e32 v16, v33
	v_pk_fma_f32 v[12:13], v[24:25], v[32:33], v[12:13] op_sel_hi:[1,0,1]
	v_pk_fma_f32 v[10:11], v[38:39], v[32:33], v[10:11] op_sel_hi:[1,0,1]
	;; [unrolled: 1-line block ×4, first 2 shown]
	v_pk_fma_f32 v[10:11], v[38:39], v[16:17], v[10:11] op_sel:[1,0,0] op_sel_hi:[0,0,1] neg_lo:[1,0,0]
	v_pk_fma_f32 v[8:9], v[48:49], v[16:17], v[8:9] op_sel:[1,0,0] op_sel_hi:[0,0,1] neg_lo:[1,0,0]
	s_waitcnt vmcnt(1)
	v_pk_fma_f32 v[12:13], v[42:43], v[34:35], v[12:13] op_sel_hi:[1,0,1]
	v_pk_fma_f32 v[10:11], v[46:47], v[34:35], v[10:11] op_sel_hi:[1,0,1]
	s_waitcnt vmcnt(0)
	v_pk_fma_f32 v[8:9], v[56:57], v[34:35], v[8:9] op_sel_hi:[1,0,1]
	v_pk_fma_f32 v[12:13], v[42:43], v[34:35], v[12:13] op_sel:[1,1,0] op_sel_hi:[0,1,1] neg_lo:[1,0,0]
	v_pk_fma_f32 v[10:11], v[46:47], v[34:35], v[10:11] op_sel:[1,1,0] op_sel_hi:[0,1,1] neg_lo:[1,0,0]
	;; [unrolled: 1-line block ×3, first 2 shown]
	v_mov_b32_e32 v58, v37
	v_pk_fma_f32 v[12:13], v[40:41], v[36:37], v[12:13] op_sel_hi:[1,0,1]
	v_pk_fma_f32 v[10:11], v[50:51], v[36:37], v[10:11] op_sel_hi:[1,0,1]
	;; [unrolled: 1-line block ×3, first 2 shown]
	v_pk_fma_f32 v[12:13], v[40:41], v[58:59], v[12:13] op_sel:[1,0,0] op_sel_hi:[0,0,1] neg_lo:[1,0,0]
	v_pk_fma_f32 v[10:11], v[50:51], v[58:59], v[10:11] op_sel:[1,0,0] op_sel_hi:[0,0,1] neg_lo:[1,0,0]
	v_pk_fma_f32 v[8:9], v[52:53], v[58:59], v[8:9] op_sel:[1,0,0] op_sel_hi:[0,0,1] neg_lo:[1,0,0]
	s_andn2_b64 exec, exec, s[14:15]
	s_cbranch_execnz .LBB86_13
; %bb.14:
	s_or_b64 exec, exec, s[14:15]
.LBB86_15:
	s_or_b64 exec, exec, s[4:5]
	s_cbranch_execz .LBB86_19
	s_branch .LBB86_24
.LBB86_16:
	v_mov_b64_e32 v[4:5], s[8:9]
	flat_load_dword v3, v[4:5] offset:4
	s_and_b64 vcc, exec, s[4:5]
	v_mov_b32_e32 v4, s6
	s_cbranch_vccnz .LBB86_4
.LBB86_17:
	v_mov_b64_e32 v[4:5], s[6:7]
	flat_load_dword v4, v[4:5]
	s_and_b64 vcc, exec, s[4:5]
	v_mov_b32_e32 v5, s7
	s_cbranch_vccz .LBB86_5
	s_branch .LBB86_6
.LBB86_18:
                                        ; implicit-def: $vgpr13
                                        ; implicit-def: $vgpr9
                                        ; implicit-def: $vgpr11
.LBB86_19:
	v_mov_b32_e32 v13, 0
	v_mov_b32_e32 v12, v13
	;; [unrolled: 1-line block ×6, first 2 shown]
	s_and_saveexec_b64 s[4:5], s[2:3]
	s_cbranch_execz .LBB86_23
; %bb.20:
	v_mad_u64_u32 v[14:15], s[2:3], v0, 12, 11
	v_mov_b32_e32 v17, 0
	s_mov_b64 s[2:3], 0
	v_mov_b32_e32 v10, v17
	v_mov_b32_e32 v11, v17
	;; [unrolled: 1-line block ×6, first 2 shown]
.LBB86_21:                              ; =>This Inner Loop Header: Depth=1
	v_ashrrev_i32_e32 v1, 31, v0
	v_lshl_add_u64 v[18:19], v[0:1], 2, s[6:7]
	global_load_dword v1, v[18:19], off
	v_add_u32_e32 v16, -11, v14
	v_add_u32_e32 v18, -7, v14
	v_mov_b32_e32 v19, v17
	v_lshl_add_u64 v[32:33], v[16:17], 3, s[8:9]
	v_add_u32_e32 v16, -6, v14
	v_add_u32_e32 v22, -3, v14
	v_mov_b32_e32 v23, v17
	v_lshl_add_u64 v[18:19], v[18:19], 3, s[8:9]
	v_lshl_add_u64 v[38:39], v[16:17], 3, s[8:9]
	v_add_u32_e32 v16, -2, v14
	v_lshl_add_u64 v[34:35], v[22:23], 3, s[8:9]
	global_load_dwordx4 v[22:25], v[32:33], off offset:16
	global_load_dwordx4 v[26:29], v[32:33], off
	global_load_dwordx2 v[40:41], v[18:19], off
	v_lshl_add_u64 v[18:19], v[16:17], 3, s[8:9]
	v_add_u32_e32 v16, -5, v14
	global_load_dwordx2 v[38:39], v[38:39], off
	s_nop 0
	global_load_dwordx2 v[42:43], v[18:19], off
	global_load_dwordx2 v[44:45], v[34:35], off
	v_mov_b32_e32 v31, v17
	v_mov_b32_e32 v15, v17
	v_lshl_add_u64 v[32:33], v[16:17], 3, s[8:9]
	v_add_u32_e32 v16, -1, v14
	v_lshl_add_u64 v[36:37], v[14:15], 3, s[8:9]
	v_lshl_add_u64 v[18:19], v[16:17], 3, s[8:9]
	v_add_u32_e32 v16, -4, v14
	global_load_dwordx2 v[46:47], v[32:33], off
	global_load_dwordx2 v[50:51], v[36:37], off
	v_lshl_add_u64 v[48:49], v[16:17], 3, s[8:9]
	v_add_u32_e32 v0, 16, v0
	v_cmp_ge_i32_e32 vcc, v0, v20
	s_or_b64 s[2:3], vcc, s[2:3]
	v_add_u32_e32 v14, 0xc0, v14
	s_waitcnt vmcnt(8)
	v_subrev_u32_e32 v1, s12, v1
	v_lshlrev_b32_e32 v30, 2, v1
	v_lshl_add_u64 v[52:53], v[30:31], 3, s[10:11]
	global_load_dwordx4 v[30:33], v[52:53], off
	global_load_dwordx4 v[34:37], v[52:53], off offset:16
	global_load_dwordx2 v[54:55], v[18:19], off
	global_load_dwordx2 v[56:57], v[48:49], off
	s_waitcnt vmcnt(11)
	v_xor_b32_e32 v48, 0x80000000, v25
	s_waitcnt vmcnt(10)
	v_xor_b32_e32 v18, 0x80000000, v29
	v_mov_b32_e32 v19, v28
	v_mov_b32_e32 v49, v24
	s_waitcnt vmcnt(3)
	v_pk_fma_f32 v[12:13], v[26:27], v[30:31], v[12:13] op_sel_hi:[1,0,1]
	v_pk_fma_f32 v[10:11], v[40:41], v[30:31], v[10:11] op_sel_hi:[1,0,1]
	;; [unrolled: 1-line block ×3, first 2 shown]
	v_pk_fma_f32 v[12:13], v[26:27], v[30:31], v[12:13] op_sel:[1,1,0] op_sel_hi:[0,1,1] neg_lo:[1,0,0]
	v_pk_fma_f32 v[10:11], v[40:41], v[30:31], v[10:11] op_sel:[1,1,0] op_sel_hi:[0,1,1] neg_lo:[1,0,0]
	;; [unrolled: 1-line block ×3, first 2 shown]
	v_mov_b32_e32 v16, v33
	v_pk_fma_f32 v[12:13], v[28:29], v[32:33], v[12:13] op_sel_hi:[1,0,1]
	v_pk_fma_f32 v[10:11], v[38:39], v[32:33], v[10:11] op_sel_hi:[1,0,1]
	;; [unrolled: 1-line block ×4, first 2 shown]
	v_pk_fma_f32 v[10:11], v[38:39], v[16:17], v[10:11] op_sel:[1,0,0] op_sel_hi:[0,0,1] neg_lo:[1,0,0]
	v_pk_fma_f32 v[8:9], v[42:43], v[16:17], v[8:9] op_sel:[1,0,0] op_sel_hi:[0,0,1] neg_lo:[1,0,0]
	s_waitcnt vmcnt(2)
	v_pk_fma_f32 v[12:13], v[22:23], v[34:35], v[12:13] op_sel_hi:[1,0,1]
	v_pk_fma_f32 v[10:11], v[46:47], v[34:35], v[10:11] op_sel_hi:[1,0,1]
	s_waitcnt vmcnt(1)
	v_pk_fma_f32 v[8:9], v[54:55], v[34:35], v[8:9] op_sel_hi:[1,0,1]
	v_pk_fma_f32 v[12:13], v[22:23], v[34:35], v[12:13] op_sel:[1,1,0] op_sel_hi:[0,1,1] neg_lo:[1,0,0]
	v_pk_fma_f32 v[10:11], v[46:47], v[34:35], v[10:11] op_sel:[1,1,0] op_sel_hi:[0,1,1] neg_lo:[1,0,0]
	;; [unrolled: 1-line block ×3, first 2 shown]
	v_mov_b32_e32 v52, v37
	v_pk_fma_f32 v[12:13], v[24:25], v[36:37], v[12:13] op_sel_hi:[1,0,1]
	s_waitcnt vmcnt(0)
	v_pk_fma_f32 v[10:11], v[56:57], v[36:37], v[10:11] op_sel_hi:[1,0,1]
	v_pk_fma_f32 v[8:9], v[50:51], v[36:37], v[8:9] op_sel_hi:[1,0,1]
	v_pk_fma_f32 v[12:13], v[48:49], v[52:53], v[12:13] op_sel_hi:[1,0,1]
	v_pk_fma_f32 v[10:11], v[56:57], v[52:53], v[10:11] op_sel:[1,0,0] op_sel_hi:[0,0,1] neg_lo:[1,0,0]
	v_pk_fma_f32 v[8:9], v[50:51], v[52:53], v[8:9] op_sel:[1,0,0] op_sel_hi:[0,0,1] neg_lo:[1,0,0]
	s_andn2_b64 exec, exec, s[2:3]
	s_cbranch_execnz .LBB86_21
; %bb.22:
	s_or_b64 exec, exec, s[2:3]
.LBB86_23:
	s_or_b64 exec, exec, s[4:5]
.LBB86_24:
	v_mov_b32_dpp v0, v12 row_shr:1 row_mask:0xf bank_mask:0xf
	v_add_f32_e32 v0, v12, v0
	v_mov_b32_dpp v12, v13 row_shr:1 row_mask:0xf bank_mask:0xf
	v_add_f32_e32 v12, v13, v12
	;; [unrolled: 2-line block ×7, first 2 shown]
	v_mov_b32_dpp v1, v0 row_shr:8 row_mask:0xf bank_mask:0xc
	v_mov_b32_dpp v14, v13 row_shr:8 row_mask:0xf bank_mask:0xc
	;; [unrolled: 1-line block ×3, first 2 shown]
	v_add_f32_e32 v10, v10, v12
	v_cmp_eq_u32_e32 vcc, 15, v7
	s_nop 0
	v_mov_b32_dpp v12, v10 row_shr:4 row_mask:0xf bank_mask:0xe
	v_add_f32_e32 v10, v10, v12
	s_nop 0
	v_mov_b32_dpp v12, v11 row_shr:1 row_mask:0xf bank_mask:0xf
	v_add_f32_e32 v11, v11, v12
	v_mov_b32_dpp v15, v10 row_shr:8 row_mask:0xf bank_mask:0xc
	s_nop 0
	v_mov_b32_dpp v12, v11 row_shr:2 row_mask:0xf bank_mask:0xf
	v_add_f32_e32 v11, v11, v12
	s_nop 1
	v_mov_b32_dpp v12, v11 row_shr:4 row_mask:0xf bank_mask:0xe
	v_add_f32_e32 v11, v11, v12
	s_nop 0
	v_mov_b32_dpp v12, v8 row_shr:1 row_mask:0xf bank_mask:0xf
	v_add_f32_e32 v8, v8, v12
	v_mov_b32_dpp v17, v11 row_shr:8 row_mask:0xf bank_mask:0xc
	s_nop 0
	v_mov_b32_dpp v12, v8 row_shr:2 row_mask:0xf bank_mask:0xf
	v_add_f32_e32 v8, v8, v12
	;; [unrolled: 10-line block ×3, first 2 shown]
	s_nop 1
	v_mov_b32_dpp v12, v9 row_shr:4 row_mask:0xf bank_mask:0xe
	v_add_f32_e32 v9, v9, v12
	s_nop 1
	v_mov_b32_dpp v19, v9 row_shr:8 row_mask:0xf bank_mask:0xc
	s_and_b64 exec, exec, vcc
	s_cbranch_execz .LBB86_29
; %bb.25:
	s_load_dwordx2 s[2:3], s[0:1], 0x38
	v_add_f32_e32 v12, v0, v1
	v_and_b32_e32 v1, 0x7fffffff, v4
	v_cmp_eq_u32_e32 vcc, 0, v1
	v_cmp_eq_f32_e64 s[0:1], 0, v5
	v_add_f32_e32 v16, v13, v14
	v_add_f32_e32 v10, v10, v15
	;; [unrolled: 1-line block ×5, first 2 shown]
	s_and_b64 s[0:1], vcc, s[0:1]
	s_and_saveexec_b64 s[4:5], s[0:1]
	s_xor_b64 s[0:1], exec, s[4:5]
	s_cbranch_execz .LBB86_27
; %bb.26:
	v_lshl_add_u32 v4, v6, 1, v6
	v_xor_b32_e32 v18, 0x80000000, v3
	v_ashrrev_i32_e32 v5, 31, v4
	v_mov_b32_e32 v19, v2
	s_waitcnt lgkmcnt(0)
	v_lshl_add_u64 v[20:21], v[4:5], 3, s[2:3]
	v_pk_mul_f32 v[4:5], v[16:17], v[18:19] op_sel_hi:[0,1]
	v_pk_mul_f32 v[6:7], v[14:15], v[18:19] op_sel_hi:[0,1]
	v_pk_fma_f32 v[4:5], v[2:3], v[12:13], v[4:5] op_sel_hi:[1,0,1]
	v_pk_fma_f32 v[6:7], v[2:3], v[10:11], v[6:7] op_sel_hi:[1,0,1]
	global_store_dwordx4 v[20:21], v[4:7], off
                                        ; implicit-def: $vgpr6
                                        ; implicit-def: $vgpr12
                                        ; implicit-def: $vgpr16
                                        ; implicit-def: $vgpr10
                                        ; implicit-def: $vgpr14
	s_nop 1
	v_pk_mul_f32 v[4:5], v[8:9], v[18:19] op_sel_hi:[0,1]
	v_pk_fma_f32 v[0:1], v[2:3], v[0:1], v[4:5] op_sel_hi:[1,0,1]
	global_store_dwordx2 v[20:21], v[0:1], off offset:16
                                        ; implicit-def: $vgpr3
                                        ; implicit-def: $vgpr4
                                        ; implicit-def: $vgpr0
                                        ; implicit-def: $vgpr8
.LBB86_27:
	s_andn2_saveexec_b64 s[0:1], s[0:1]
	s_cbranch_execz .LBB86_29
; %bb.28:
	v_lshl_add_u32 v6, v6, 1, v6
	v_ashrrev_i32_e32 v7, 31, v6
	s_waitcnt lgkmcnt(0)
	v_lshl_add_u64 v[6:7], v[6:7], 3, s[2:3]
	global_load_dwordx4 v[18:21], v[6:7], off
	global_load_dwordx2 v[22:23], v[6:7], off offset:16
	v_xor_b32_e32 v24, 0x80000000, v3
	v_mov_b32_e32 v25, v2
	v_pk_mul_f32 v[16:17], v[16:17], v[24:25] op_sel_hi:[0,1]
	v_pk_mul_f32 v[14:15], v[14:15], v[24:25] op_sel_hi:[0,1]
	;; [unrolled: 1-line block ×3, first 2 shown]
	v_pk_fma_f32 v[12:13], v[2:3], v[12:13], v[16:17] op_sel_hi:[1,0,1]
	v_pk_fma_f32 v[10:11], v[2:3], v[10:11], v[14:15] op_sel_hi:[1,0,1]
	v_xor_b32_e32 v26, 0x80000000, v5
	v_mov_b32_e32 v27, v4
	v_pk_fma_f32 v[0:1], v[2:3], v[0:1], v[8:9] op_sel_hi:[1,0,1]
	s_waitcnt vmcnt(1)
	v_pk_fma_f32 v[2:3], v[4:5], v[18:19], v[12:13] op_sel_hi:[1,0,1]
	v_pk_fma_f32 v[8:9], v[4:5], v[20:21], v[10:11] op_sel_hi:[1,0,1]
	v_mov_b32_e32 v10, v21
	s_waitcnt vmcnt(0)
	v_pk_fma_f32 v[4:5], v[4:5], v[22:23], v[0:1] op_sel_hi:[1,0,1]
	v_pk_fma_f32 v[0:1], v[26:27], v[18:19], v[2:3] op_sel:[0,1,0]
	v_pk_fma_f32 v[2:3], v[26:27], v[10:11], v[8:9] op_sel_hi:[1,0,1]
	v_pk_fma_f32 v[4:5], v[26:27], v[22:23], v[4:5] op_sel:[0,1,0]
	global_store_dwordx4 v[6:7], v[0:3], off
	global_store_dwordx2 v[6:7], v[4:5], off offset:16
.LBB86_29:
	s_endpgm
	.section	.rodata,"a",@progbits
	.p2align	6, 0x0
	.amdhsa_kernel _ZN9rocsparseL19gebsrmvn_3xn_kernelILj128ELj4ELj16E21rocsparse_complex_numIfEEEvi20rocsparse_direction_NS_24const_host_device_scalarIT2_EEPKiS8_PKS5_SA_S6_PS5_21rocsparse_index_base_b
		.amdhsa_group_segment_fixed_size 0
		.amdhsa_private_segment_fixed_size 0
		.amdhsa_kernarg_size 72
		.amdhsa_user_sgpr_count 2
		.amdhsa_user_sgpr_dispatch_ptr 0
		.amdhsa_user_sgpr_queue_ptr 0
		.amdhsa_user_sgpr_kernarg_segment_ptr 1
		.amdhsa_user_sgpr_dispatch_id 0
		.amdhsa_user_sgpr_kernarg_preload_length 0
		.amdhsa_user_sgpr_kernarg_preload_offset 0
		.amdhsa_user_sgpr_private_segment_size 0
		.amdhsa_uses_dynamic_stack 0
		.amdhsa_enable_private_segment 0
		.amdhsa_system_sgpr_workgroup_id_x 1
		.amdhsa_system_sgpr_workgroup_id_y 0
		.amdhsa_system_sgpr_workgroup_id_z 0
		.amdhsa_system_sgpr_workgroup_info 0
		.amdhsa_system_vgpr_workitem_id 0
		.amdhsa_next_free_vgpr 60
		.amdhsa_next_free_sgpr 16
		.amdhsa_accum_offset 60
		.amdhsa_reserve_vcc 1
		.amdhsa_float_round_mode_32 0
		.amdhsa_float_round_mode_16_64 0
		.amdhsa_float_denorm_mode_32 3
		.amdhsa_float_denorm_mode_16_64 3
		.amdhsa_dx10_clamp 1
		.amdhsa_ieee_mode 1
		.amdhsa_fp16_overflow 0
		.amdhsa_tg_split 0
		.amdhsa_exception_fp_ieee_invalid_op 0
		.amdhsa_exception_fp_denorm_src 0
		.amdhsa_exception_fp_ieee_div_zero 0
		.amdhsa_exception_fp_ieee_overflow 0
		.amdhsa_exception_fp_ieee_underflow 0
		.amdhsa_exception_fp_ieee_inexact 0
		.amdhsa_exception_int_div_zero 0
	.end_amdhsa_kernel
	.section	.text._ZN9rocsparseL19gebsrmvn_3xn_kernelILj128ELj4ELj16E21rocsparse_complex_numIfEEEvi20rocsparse_direction_NS_24const_host_device_scalarIT2_EEPKiS8_PKS5_SA_S6_PS5_21rocsparse_index_base_b,"axG",@progbits,_ZN9rocsparseL19gebsrmvn_3xn_kernelILj128ELj4ELj16E21rocsparse_complex_numIfEEEvi20rocsparse_direction_NS_24const_host_device_scalarIT2_EEPKiS8_PKS5_SA_S6_PS5_21rocsparse_index_base_b,comdat
.Lfunc_end86:
	.size	_ZN9rocsparseL19gebsrmvn_3xn_kernelILj128ELj4ELj16E21rocsparse_complex_numIfEEEvi20rocsparse_direction_NS_24const_host_device_scalarIT2_EEPKiS8_PKS5_SA_S6_PS5_21rocsparse_index_base_b, .Lfunc_end86-_ZN9rocsparseL19gebsrmvn_3xn_kernelILj128ELj4ELj16E21rocsparse_complex_numIfEEEvi20rocsparse_direction_NS_24const_host_device_scalarIT2_EEPKiS8_PKS5_SA_S6_PS5_21rocsparse_index_base_b
                                        ; -- End function
	.section	.AMDGPU.csdata,"",@progbits
; Kernel info:
; codeLenInByte = 2280
; NumSgprs: 22
; NumVgprs: 60
; NumAgprs: 0
; TotalNumVgprs: 60
; ScratchSize: 0
; MemoryBound: 0
; FloatMode: 240
; IeeeMode: 1
; LDSByteSize: 0 bytes/workgroup (compile time only)
; SGPRBlocks: 2
; VGPRBlocks: 7
; NumSGPRsForWavesPerEU: 22
; NumVGPRsForWavesPerEU: 60
; AccumOffset: 60
; Occupancy: 8
; WaveLimiterHint : 1
; COMPUTE_PGM_RSRC2:SCRATCH_EN: 0
; COMPUTE_PGM_RSRC2:USER_SGPR: 2
; COMPUTE_PGM_RSRC2:TRAP_HANDLER: 0
; COMPUTE_PGM_RSRC2:TGID_X_EN: 1
; COMPUTE_PGM_RSRC2:TGID_Y_EN: 0
; COMPUTE_PGM_RSRC2:TGID_Z_EN: 0
; COMPUTE_PGM_RSRC2:TIDIG_COMP_CNT: 0
; COMPUTE_PGM_RSRC3_GFX90A:ACCUM_OFFSET: 14
; COMPUTE_PGM_RSRC3_GFX90A:TG_SPLIT: 0
	.section	.text._ZN9rocsparseL19gebsrmvn_3xn_kernelILj128ELj4ELj32E21rocsparse_complex_numIfEEEvi20rocsparse_direction_NS_24const_host_device_scalarIT2_EEPKiS8_PKS5_SA_S6_PS5_21rocsparse_index_base_b,"axG",@progbits,_ZN9rocsparseL19gebsrmvn_3xn_kernelILj128ELj4ELj32E21rocsparse_complex_numIfEEEvi20rocsparse_direction_NS_24const_host_device_scalarIT2_EEPKiS8_PKS5_SA_S6_PS5_21rocsparse_index_base_b,comdat
	.globl	_ZN9rocsparseL19gebsrmvn_3xn_kernelILj128ELj4ELj32E21rocsparse_complex_numIfEEEvi20rocsparse_direction_NS_24const_host_device_scalarIT2_EEPKiS8_PKS5_SA_S6_PS5_21rocsparse_index_base_b ; -- Begin function _ZN9rocsparseL19gebsrmvn_3xn_kernelILj128ELj4ELj32E21rocsparse_complex_numIfEEEvi20rocsparse_direction_NS_24const_host_device_scalarIT2_EEPKiS8_PKS5_SA_S6_PS5_21rocsparse_index_base_b
	.p2align	8
	.type	_ZN9rocsparseL19gebsrmvn_3xn_kernelILj128ELj4ELj32E21rocsparse_complex_numIfEEEvi20rocsparse_direction_NS_24const_host_device_scalarIT2_EEPKiS8_PKS5_SA_S6_PS5_21rocsparse_index_base_b,@function
_ZN9rocsparseL19gebsrmvn_3xn_kernelILj128ELj4ELj32E21rocsparse_complex_numIfEEEvi20rocsparse_direction_NS_24const_host_device_scalarIT2_EEPKiS8_PKS5_SA_S6_PS5_21rocsparse_index_base_b: ; @_ZN9rocsparseL19gebsrmvn_3xn_kernelILj128ELj4ELj32E21rocsparse_complex_numIfEEEvi20rocsparse_direction_NS_24const_host_device_scalarIT2_EEPKiS8_PKS5_SA_S6_PS5_21rocsparse_index_base_b
; %bb.0:
	s_load_dwordx2 s[12:13], s[0:1], 0x40
	s_load_dwordx2 s[8:9], s[0:1], 0x8
	;; [unrolled: 1-line block ×3, first 2 shown]
	s_waitcnt lgkmcnt(0)
	s_bitcmp1_b32 s13, 0
	s_cselect_b64 s[4:5], -1, 0
	s_xor_b64 s[10:11], s[4:5], -1
	s_and_b64 vcc, exec, s[4:5]
	v_mov_b32_e32 v2, s8
	s_cbranch_vccnz .LBB87_2
; %bb.1:
	v_mov_b64_e32 v[2:3], s[8:9]
	flat_load_dword v2, v[2:3]
.LBB87_2:
	v_cndmask_b32_e64 v1, 0, 1, s[10:11]
	v_cmp_ne_u32_e64 s[4:5], 1, v1
	s_andn2_b64 vcc, exec, s[10:11]
	v_mov_b32_e32 v3, s9
	s_cbranch_vccz .LBB87_16
; %bb.3:
	s_and_b64 vcc, exec, s[4:5]
	v_mov_b32_e32 v4, s6
	s_cbranch_vccz .LBB87_17
.LBB87_4:
	s_and_b64 vcc, exec, s[4:5]
	v_mov_b32_e32 v5, s7
	s_cbranch_vccnz .LBB87_6
.LBB87_5:
	v_mov_b64_e32 v[6:7], s[6:7]
	flat_load_dword v5, v[6:7] offset:4
.LBB87_6:
	s_waitcnt vmcnt(0) lgkmcnt(0)
	v_and_b32_e32 v1, 0x7fffffff, v2
	v_cmp_eq_u32_e32 vcc, 0, v1
	v_cmp_eq_f32_e64 s[4:5], 0, v3
	s_and_b64 s[8:9], vcc, s[4:5]
	s_mov_b64 s[4:5], -1
	s_and_saveexec_b64 s[6:7], s[8:9]
; %bb.7:
	v_and_b32_e32 v1, 0x7fffffff, v5
	v_cmp_neq_f32_e32 vcc, 1.0, v4
	v_cmp_ne_u32_e64 s[4:5], 0, v1
	s_or_b64 s[4:5], vcc, s[4:5]
	s_orn2_b64 s[4:5], s[4:5], exec
; %bb.8:
	s_or_b64 exec, exec, s[6:7]
	s_and_saveexec_b64 s[6:7], s[4:5]
	s_cbranch_execz .LBB87_29
; %bb.9:
	s_load_dwordx2 s[14:15], s[0:1], 0x0
	v_lshrrev_b32_e32 v1, 5, v0
	v_lshl_or_b32 v6, s2, 2, v1
	s_waitcnt lgkmcnt(0)
	v_cmp_gt_i32_e32 vcc, s14, v6
	s_and_b64 exec, exec, vcc
	s_cbranch_execz .LBB87_29
; %bb.10:
	s_load_dwordx8 s[4:11], s[0:1], 0x10
	v_ashrrev_i32_e32 v7, 31, v6
	s_cmp_lg_u32 s15, 0
	s_waitcnt lgkmcnt(0)
	v_lshl_add_u64 v[8:9], v[6:7], 2, s[4:5]
	global_load_dwordx2 v[8:9], v[8:9], off
	v_and_b32_e32 v7, 31, v0
	s_waitcnt vmcnt(0)
	v_subrev_u32_e32 v0, s12, v8
	v_subrev_u32_e32 v20, s12, v9
	v_add_u32_e32 v0, v0, v7
	v_cmp_lt_i32_e64 s[2:3], v0, v20
	s_cbranch_scc0 .LBB87_18
; %bb.11:
	v_mov_b32_e32 v13, 0
	v_mov_b32_e32 v12, v13
	;; [unrolled: 1-line block ×6, first 2 shown]
	s_and_saveexec_b64 s[4:5], s[2:3]
	s_cbranch_execz .LBB87_15
; %bb.12:
	v_mad_u64_u32 v[14:15], s[14:15], v0, 12, 11
	v_mov_b32_e32 v17, 0
	s_mov_b64 s[14:15], 0
	v_mov_b32_e32 v18, v0
	v_mov_b32_e32 v10, v17
	;; [unrolled: 1-line block ×7, first 2 shown]
.LBB87_13:                              ; =>This Inner Loop Header: Depth=1
	v_ashrrev_i32_e32 v19, 31, v18
	v_lshl_add_u64 v[22:23], v[18:19], 2, s[6:7]
	global_load_dword v1, v[22:23], off
	v_add_u32_e32 v16, -11, v14
	v_lshl_add_u64 v[32:33], v[16:17], 3, s[8:9]
	v_add_u32_e32 v16, -7, v14
	v_lshl_add_u64 v[36:37], v[16:17], 3, s[8:9]
	v_add_u32_e32 v16, -6, v14
	global_load_dwordx4 v[22:25], v[32:33], off offset:16
	global_load_dwordx4 v[26:29], v[32:33], off
	v_lshl_add_u64 v[32:33], v[16:17], 3, s[8:9]
	v_add_u32_e32 v16, -5, v14
	global_load_dwordx2 v[38:39], v[36:37], off
	v_lshl_add_u64 v[36:37], v[16:17], 3, s[8:9]
	v_add_u32_e32 v16, -4, v14
	v_lshl_add_u64 v[40:41], v[16:17], 3, s[8:9]
	v_add_u32_e32 v16, -3, v14
	;; [unrolled: 2-line block ×3, first 2 shown]
	v_mov_b32_e32 v31, v17
	v_mov_b32_e32 v15, v17
	global_load_dwordx2 v[42:43], v[36:37], off
	global_load_dwordx2 v[46:47], v[40:41], off
	;; [unrolled: 1-line block ×3, first 2 shown]
	v_lshl_add_u64 v[32:33], v[16:17], 3, s[8:9]
	v_add_u32_e32 v16, -1, v14
	v_lshl_add_u64 v[34:35], v[14:15], 3, s[8:9]
	v_lshl_add_u64 v[36:37], v[16:17], 3, s[8:9]
	global_load_dwordx2 v[40:41], v[32:33], off
	global_load_dwordx2 v[50:51], v[36:37], off
	;; [unrolled: 1-line block ×3, first 2 shown]
	v_add_u32_e32 v18, 32, v18
	v_cmp_ge_i32_e32 vcc, v18, v20
	s_or_b64 s[14:15], vcc, s[14:15]
	v_add_u32_e32 v14, 0x180, v14
	s_waitcnt vmcnt(9)
	v_subrev_u32_e32 v1, s12, v1
	v_lshlrev_b32_e32 v30, 2, v1
	v_lshl_add_u64 v[54:55], v[30:31], 3, s[10:11]
	global_load_dwordx4 v[30:33], v[54:55], off
	global_load_dwordx4 v[34:37], v[54:55], off offset:16
	global_load_dwordx2 v[56:57], v[44:45], off
	s_waitcnt vmcnt(11)
	v_xor_b32_e32 v44, 0x80000000, v25
	s_waitcnt vmcnt(10)
	v_xor_b32_e32 v54, 0x80000000, v29
	v_mov_b32_e32 v55, v28
	v_mov_b32_e32 v45, v24
	s_waitcnt vmcnt(2)
	v_pk_fma_f32 v[12:13], v[26:27], v[30:31], v[12:13] op_sel_hi:[1,0,1]
	v_pk_fma_f32 v[10:11], v[28:29], v[30:31], v[10:11] op_sel_hi:[1,0,1]
	;; [unrolled: 1-line block ×3, first 2 shown]
	v_pk_fma_f32 v[12:13], v[26:27], v[30:31], v[12:13] op_sel:[1,1,0] op_sel_hi:[0,1,1] neg_lo:[1,0,0]
	v_pk_fma_f32 v[10:11], v[54:55], v[30:31], v[10:11] op_sel:[0,1,0]
	v_pk_fma_f32 v[8:9], v[22:23], v[30:31], v[8:9] op_sel:[1,1,0] op_sel_hi:[0,1,1] neg_lo:[1,0,0]
	v_mov_b32_e32 v16, v33
	v_pk_fma_f32 v[12:13], v[24:25], v[32:33], v[12:13] op_sel_hi:[1,0,1]
	v_pk_fma_f32 v[10:11], v[38:39], v[32:33], v[10:11] op_sel_hi:[1,0,1]
	;; [unrolled: 1-line block ×4, first 2 shown]
	v_pk_fma_f32 v[10:11], v[38:39], v[16:17], v[10:11] op_sel:[1,0,0] op_sel_hi:[0,0,1] neg_lo:[1,0,0]
	v_pk_fma_f32 v[8:9], v[48:49], v[16:17], v[8:9] op_sel:[1,0,0] op_sel_hi:[0,0,1] neg_lo:[1,0,0]
	s_waitcnt vmcnt(1)
	v_pk_fma_f32 v[12:13], v[42:43], v[34:35], v[12:13] op_sel_hi:[1,0,1]
	v_pk_fma_f32 v[10:11], v[46:47], v[34:35], v[10:11] op_sel_hi:[1,0,1]
	s_waitcnt vmcnt(0)
	v_pk_fma_f32 v[8:9], v[56:57], v[34:35], v[8:9] op_sel_hi:[1,0,1]
	v_pk_fma_f32 v[12:13], v[42:43], v[34:35], v[12:13] op_sel:[1,1,0] op_sel_hi:[0,1,1] neg_lo:[1,0,0]
	v_pk_fma_f32 v[10:11], v[46:47], v[34:35], v[10:11] op_sel:[1,1,0] op_sel_hi:[0,1,1] neg_lo:[1,0,0]
	;; [unrolled: 1-line block ×3, first 2 shown]
	v_mov_b32_e32 v58, v37
	v_pk_fma_f32 v[12:13], v[40:41], v[36:37], v[12:13] op_sel_hi:[1,0,1]
	v_pk_fma_f32 v[10:11], v[50:51], v[36:37], v[10:11] op_sel_hi:[1,0,1]
	;; [unrolled: 1-line block ×3, first 2 shown]
	v_pk_fma_f32 v[12:13], v[40:41], v[58:59], v[12:13] op_sel:[1,0,0] op_sel_hi:[0,0,1] neg_lo:[1,0,0]
	v_pk_fma_f32 v[10:11], v[50:51], v[58:59], v[10:11] op_sel:[1,0,0] op_sel_hi:[0,0,1] neg_lo:[1,0,0]
	;; [unrolled: 1-line block ×3, first 2 shown]
	s_andn2_b64 exec, exec, s[14:15]
	s_cbranch_execnz .LBB87_13
; %bb.14:
	s_or_b64 exec, exec, s[14:15]
.LBB87_15:
	s_or_b64 exec, exec, s[4:5]
	s_cbranch_execz .LBB87_19
	s_branch .LBB87_24
.LBB87_16:
	v_mov_b64_e32 v[4:5], s[8:9]
	flat_load_dword v3, v[4:5] offset:4
	s_and_b64 vcc, exec, s[4:5]
	v_mov_b32_e32 v4, s6
	s_cbranch_vccnz .LBB87_4
.LBB87_17:
	v_mov_b64_e32 v[4:5], s[6:7]
	flat_load_dword v4, v[4:5]
	s_and_b64 vcc, exec, s[4:5]
	v_mov_b32_e32 v5, s7
	s_cbranch_vccz .LBB87_5
	s_branch .LBB87_6
.LBB87_18:
                                        ; implicit-def: $vgpr13
                                        ; implicit-def: $vgpr9
                                        ; implicit-def: $vgpr11
.LBB87_19:
	v_mov_b32_e32 v13, 0
	v_mov_b32_e32 v12, v13
	;; [unrolled: 1-line block ×6, first 2 shown]
	s_and_saveexec_b64 s[4:5], s[2:3]
	s_cbranch_execz .LBB87_23
; %bb.20:
	v_mad_u64_u32 v[14:15], s[2:3], v0, 12, 11
	v_mov_b32_e32 v17, 0
	s_mov_b64 s[2:3], 0
	v_mov_b32_e32 v10, v17
	v_mov_b32_e32 v11, v17
	;; [unrolled: 1-line block ×6, first 2 shown]
.LBB87_21:                              ; =>This Inner Loop Header: Depth=1
	v_ashrrev_i32_e32 v1, 31, v0
	v_lshl_add_u64 v[18:19], v[0:1], 2, s[6:7]
	global_load_dword v1, v[18:19], off
	v_add_u32_e32 v16, -11, v14
	v_add_u32_e32 v18, -7, v14
	v_mov_b32_e32 v19, v17
	v_lshl_add_u64 v[32:33], v[16:17], 3, s[8:9]
	v_add_u32_e32 v16, -6, v14
	v_add_u32_e32 v22, -3, v14
	v_mov_b32_e32 v23, v17
	v_lshl_add_u64 v[18:19], v[18:19], 3, s[8:9]
	v_lshl_add_u64 v[38:39], v[16:17], 3, s[8:9]
	v_add_u32_e32 v16, -2, v14
	v_lshl_add_u64 v[34:35], v[22:23], 3, s[8:9]
	global_load_dwordx4 v[22:25], v[32:33], off offset:16
	global_load_dwordx4 v[26:29], v[32:33], off
	global_load_dwordx2 v[40:41], v[18:19], off
	v_lshl_add_u64 v[18:19], v[16:17], 3, s[8:9]
	v_add_u32_e32 v16, -5, v14
	global_load_dwordx2 v[38:39], v[38:39], off
	s_nop 0
	global_load_dwordx2 v[42:43], v[18:19], off
	global_load_dwordx2 v[44:45], v[34:35], off
	v_mov_b32_e32 v31, v17
	v_mov_b32_e32 v15, v17
	v_lshl_add_u64 v[32:33], v[16:17], 3, s[8:9]
	v_add_u32_e32 v16, -1, v14
	v_lshl_add_u64 v[36:37], v[14:15], 3, s[8:9]
	v_lshl_add_u64 v[18:19], v[16:17], 3, s[8:9]
	v_add_u32_e32 v16, -4, v14
	global_load_dwordx2 v[46:47], v[32:33], off
	global_load_dwordx2 v[50:51], v[36:37], off
	v_lshl_add_u64 v[48:49], v[16:17], 3, s[8:9]
	v_add_u32_e32 v0, 32, v0
	v_cmp_ge_i32_e32 vcc, v0, v20
	s_or_b64 s[2:3], vcc, s[2:3]
	v_add_u32_e32 v14, 0x180, v14
	s_waitcnt vmcnt(8)
	v_subrev_u32_e32 v1, s12, v1
	v_lshlrev_b32_e32 v30, 2, v1
	v_lshl_add_u64 v[52:53], v[30:31], 3, s[10:11]
	global_load_dwordx4 v[30:33], v[52:53], off
	global_load_dwordx4 v[34:37], v[52:53], off offset:16
	global_load_dwordx2 v[54:55], v[18:19], off
	global_load_dwordx2 v[56:57], v[48:49], off
	s_waitcnt vmcnt(11)
	v_xor_b32_e32 v48, 0x80000000, v25
	s_waitcnt vmcnt(10)
	v_xor_b32_e32 v18, 0x80000000, v29
	v_mov_b32_e32 v19, v28
	v_mov_b32_e32 v49, v24
	s_waitcnt vmcnt(3)
	v_pk_fma_f32 v[12:13], v[26:27], v[30:31], v[12:13] op_sel_hi:[1,0,1]
	v_pk_fma_f32 v[10:11], v[40:41], v[30:31], v[10:11] op_sel_hi:[1,0,1]
	;; [unrolled: 1-line block ×3, first 2 shown]
	v_pk_fma_f32 v[12:13], v[26:27], v[30:31], v[12:13] op_sel:[1,1,0] op_sel_hi:[0,1,1] neg_lo:[1,0,0]
	v_pk_fma_f32 v[10:11], v[40:41], v[30:31], v[10:11] op_sel:[1,1,0] op_sel_hi:[0,1,1] neg_lo:[1,0,0]
	;; [unrolled: 1-line block ×3, first 2 shown]
	v_mov_b32_e32 v16, v33
	v_pk_fma_f32 v[12:13], v[28:29], v[32:33], v[12:13] op_sel_hi:[1,0,1]
	v_pk_fma_f32 v[10:11], v[38:39], v[32:33], v[10:11] op_sel_hi:[1,0,1]
	;; [unrolled: 1-line block ×4, first 2 shown]
	v_pk_fma_f32 v[10:11], v[38:39], v[16:17], v[10:11] op_sel:[1,0,0] op_sel_hi:[0,0,1] neg_lo:[1,0,0]
	v_pk_fma_f32 v[8:9], v[42:43], v[16:17], v[8:9] op_sel:[1,0,0] op_sel_hi:[0,0,1] neg_lo:[1,0,0]
	s_waitcnt vmcnt(2)
	v_pk_fma_f32 v[12:13], v[22:23], v[34:35], v[12:13] op_sel_hi:[1,0,1]
	v_pk_fma_f32 v[10:11], v[46:47], v[34:35], v[10:11] op_sel_hi:[1,0,1]
	s_waitcnt vmcnt(1)
	v_pk_fma_f32 v[8:9], v[54:55], v[34:35], v[8:9] op_sel_hi:[1,0,1]
	v_pk_fma_f32 v[12:13], v[22:23], v[34:35], v[12:13] op_sel:[1,1,0] op_sel_hi:[0,1,1] neg_lo:[1,0,0]
	v_pk_fma_f32 v[10:11], v[46:47], v[34:35], v[10:11] op_sel:[1,1,0] op_sel_hi:[0,1,1] neg_lo:[1,0,0]
	;; [unrolled: 1-line block ×3, first 2 shown]
	v_mov_b32_e32 v52, v37
	v_pk_fma_f32 v[12:13], v[24:25], v[36:37], v[12:13] op_sel_hi:[1,0,1]
	s_waitcnt vmcnt(0)
	v_pk_fma_f32 v[10:11], v[56:57], v[36:37], v[10:11] op_sel_hi:[1,0,1]
	v_pk_fma_f32 v[8:9], v[50:51], v[36:37], v[8:9] op_sel_hi:[1,0,1]
	;; [unrolled: 1-line block ×3, first 2 shown]
	v_pk_fma_f32 v[10:11], v[56:57], v[52:53], v[10:11] op_sel:[1,0,0] op_sel_hi:[0,0,1] neg_lo:[1,0,0]
	v_pk_fma_f32 v[8:9], v[50:51], v[52:53], v[8:9] op_sel:[1,0,0] op_sel_hi:[0,0,1] neg_lo:[1,0,0]
	s_andn2_b64 exec, exec, s[2:3]
	s_cbranch_execnz .LBB87_21
; %bb.22:
	s_or_b64 exec, exec, s[2:3]
.LBB87_23:
	s_or_b64 exec, exec, s[4:5]
.LBB87_24:
	v_mov_b32_dpp v0, v12 row_shr:1 row_mask:0xf bank_mask:0xf
	v_add_f32_e32 v0, v12, v0
	v_mov_b32_dpp v12, v13 row_shr:1 row_mask:0xf bank_mask:0xf
	v_add_f32_e32 v12, v13, v12
	;; [unrolled: 2-line block ×9, first 2 shown]
	v_mov_b32_dpp v1, v0 row_bcast:15 row_mask:0xa bank_mask:0xf
	v_mov_b32_dpp v14, v13 row_bcast:15 row_mask:0xa bank_mask:0xf
	v_mov_b32_dpp v12, v10 row_shr:2 row_mask:0xf bank_mask:0xf
	v_add_f32_e32 v10, v10, v12
	v_cmp_eq_u32_e32 vcc, 31, v7
	s_nop 0
	v_mov_b32_dpp v12, v10 row_shr:4 row_mask:0xf bank_mask:0xe
	v_add_f32_e32 v10, v10, v12
	s_nop 1
	v_mov_b32_dpp v12, v10 row_shr:8 row_mask:0xf bank_mask:0xc
	v_add_f32_e32 v10, v10, v12
	s_nop 0
	v_mov_b32_dpp v12, v11 row_shr:1 row_mask:0xf bank_mask:0xf
	v_add_f32_e32 v11, v11, v12
	v_mov_b32_dpp v15, v10 row_bcast:15 row_mask:0xa bank_mask:0xf
	s_nop 0
	v_mov_b32_dpp v12, v11 row_shr:2 row_mask:0xf bank_mask:0xf
	v_add_f32_e32 v11, v11, v12
	s_nop 1
	v_mov_b32_dpp v12, v11 row_shr:4 row_mask:0xf bank_mask:0xe
	v_add_f32_e32 v11, v11, v12
	s_nop 1
	v_mov_b32_dpp v12, v11 row_shr:8 row_mask:0xf bank_mask:0xc
	v_add_f32_e32 v11, v11, v12
	s_nop 0
	v_mov_b32_dpp v12, v8 row_shr:1 row_mask:0xf bank_mask:0xf
	v_add_f32_e32 v8, v8, v12
	v_mov_b32_dpp v17, v11 row_bcast:15 row_mask:0xa bank_mask:0xf
	s_nop 0
	v_mov_b32_dpp v12, v8 row_shr:2 row_mask:0xf bank_mask:0xf
	v_add_f32_e32 v8, v8, v12
	s_nop 1
	v_mov_b32_dpp v12, v8 row_shr:4 row_mask:0xf bank_mask:0xe
	v_add_f32_e32 v8, v8, v12
	s_nop 1
	v_mov_b32_dpp v12, v8 row_shr:8 row_mask:0xf bank_mask:0xc
	v_add_f32_e32 v8, v8, v12
	s_nop 0
	v_mov_b32_dpp v12, v9 row_shr:1 row_mask:0xf bank_mask:0xf
	v_add_f32_e32 v9, v9, v12
	v_mov_b32_dpp v18, v8 row_bcast:15 row_mask:0xa bank_mask:0xf
	s_nop 0
	v_mov_b32_dpp v12, v9 row_shr:2 row_mask:0xf bank_mask:0xf
	v_add_f32_e32 v9, v9, v12
	s_nop 1
	v_mov_b32_dpp v12, v9 row_shr:4 row_mask:0xf bank_mask:0xe
	v_add_f32_e32 v9, v9, v12
	s_nop 1
	v_mov_b32_dpp v12, v9 row_shr:8 row_mask:0xf bank_mask:0xc
	v_add_f32_e32 v9, v9, v12
	s_nop 1
	v_mov_b32_dpp v19, v9 row_bcast:15 row_mask:0xa bank_mask:0xf
	s_and_b64 exec, exec, vcc
	s_cbranch_execz .LBB87_29
; %bb.25:
	s_load_dwordx2 s[2:3], s[0:1], 0x38
	v_add_f32_e32 v12, v0, v1
	v_and_b32_e32 v1, 0x7fffffff, v4
	v_cmp_eq_u32_e32 vcc, 0, v1
	v_cmp_eq_f32_e64 s[0:1], 0, v5
	v_add_f32_e32 v16, v13, v14
	v_add_f32_e32 v10, v10, v15
	v_add_f32_e32 v14, v11, v17
	v_add_f32_e32 v0, v8, v18
	v_add_f32_e32 v8, v9, v19
	s_and_b64 s[0:1], vcc, s[0:1]
	s_and_saveexec_b64 s[4:5], s[0:1]
	s_xor_b64 s[0:1], exec, s[4:5]
	s_cbranch_execz .LBB87_27
; %bb.26:
	v_lshl_add_u32 v4, v6, 1, v6
	v_xor_b32_e32 v18, 0x80000000, v3
	v_ashrrev_i32_e32 v5, 31, v4
	v_mov_b32_e32 v19, v2
	s_waitcnt lgkmcnt(0)
	v_lshl_add_u64 v[20:21], v[4:5], 3, s[2:3]
	v_pk_mul_f32 v[4:5], v[16:17], v[18:19] op_sel_hi:[0,1]
	v_pk_mul_f32 v[6:7], v[14:15], v[18:19] op_sel_hi:[0,1]
	v_pk_fma_f32 v[4:5], v[2:3], v[12:13], v[4:5] op_sel_hi:[1,0,1]
	v_pk_fma_f32 v[6:7], v[2:3], v[10:11], v[6:7] op_sel_hi:[1,0,1]
	global_store_dwordx4 v[20:21], v[4:7], off
                                        ; implicit-def: $vgpr6
                                        ; implicit-def: $vgpr12
                                        ; implicit-def: $vgpr16
                                        ; implicit-def: $vgpr10
                                        ; implicit-def: $vgpr14
	s_nop 1
	v_pk_mul_f32 v[4:5], v[8:9], v[18:19] op_sel_hi:[0,1]
	v_pk_fma_f32 v[0:1], v[2:3], v[0:1], v[4:5] op_sel_hi:[1,0,1]
	global_store_dwordx2 v[20:21], v[0:1], off offset:16
                                        ; implicit-def: $vgpr3
                                        ; implicit-def: $vgpr4
                                        ; implicit-def: $vgpr0
                                        ; implicit-def: $vgpr8
.LBB87_27:
	s_andn2_saveexec_b64 s[0:1], s[0:1]
	s_cbranch_execz .LBB87_29
; %bb.28:
	v_lshl_add_u32 v6, v6, 1, v6
	v_ashrrev_i32_e32 v7, 31, v6
	s_waitcnt lgkmcnt(0)
	v_lshl_add_u64 v[6:7], v[6:7], 3, s[2:3]
	global_load_dwordx4 v[18:21], v[6:7], off
	global_load_dwordx2 v[22:23], v[6:7], off offset:16
	v_xor_b32_e32 v24, 0x80000000, v3
	v_mov_b32_e32 v25, v2
	v_pk_mul_f32 v[16:17], v[16:17], v[24:25] op_sel_hi:[0,1]
	v_pk_mul_f32 v[14:15], v[14:15], v[24:25] op_sel_hi:[0,1]
	;; [unrolled: 1-line block ×3, first 2 shown]
	v_pk_fma_f32 v[12:13], v[2:3], v[12:13], v[16:17] op_sel_hi:[1,0,1]
	v_pk_fma_f32 v[10:11], v[2:3], v[10:11], v[14:15] op_sel_hi:[1,0,1]
	v_xor_b32_e32 v26, 0x80000000, v5
	v_mov_b32_e32 v27, v4
	v_pk_fma_f32 v[0:1], v[2:3], v[0:1], v[8:9] op_sel_hi:[1,0,1]
	s_waitcnt vmcnt(1)
	v_pk_fma_f32 v[2:3], v[4:5], v[18:19], v[12:13] op_sel_hi:[1,0,1]
	v_pk_fma_f32 v[8:9], v[4:5], v[20:21], v[10:11] op_sel_hi:[1,0,1]
	v_mov_b32_e32 v10, v21
	s_waitcnt vmcnt(0)
	v_pk_fma_f32 v[4:5], v[4:5], v[22:23], v[0:1] op_sel_hi:[1,0,1]
	v_pk_fma_f32 v[0:1], v[26:27], v[18:19], v[2:3] op_sel:[0,1,0]
	v_pk_fma_f32 v[2:3], v[26:27], v[10:11], v[8:9] op_sel_hi:[1,0,1]
	v_pk_fma_f32 v[4:5], v[26:27], v[22:23], v[4:5] op_sel:[0,1,0]
	global_store_dwordx4 v[6:7], v[0:3], off
	global_store_dwordx2 v[6:7], v[4:5], off offset:16
.LBB87_29:
	s_endpgm
	.section	.rodata,"a",@progbits
	.p2align	6, 0x0
	.amdhsa_kernel _ZN9rocsparseL19gebsrmvn_3xn_kernelILj128ELj4ELj32E21rocsparse_complex_numIfEEEvi20rocsparse_direction_NS_24const_host_device_scalarIT2_EEPKiS8_PKS5_SA_S6_PS5_21rocsparse_index_base_b
		.amdhsa_group_segment_fixed_size 0
		.amdhsa_private_segment_fixed_size 0
		.amdhsa_kernarg_size 72
		.amdhsa_user_sgpr_count 2
		.amdhsa_user_sgpr_dispatch_ptr 0
		.amdhsa_user_sgpr_queue_ptr 0
		.amdhsa_user_sgpr_kernarg_segment_ptr 1
		.amdhsa_user_sgpr_dispatch_id 0
		.amdhsa_user_sgpr_kernarg_preload_length 0
		.amdhsa_user_sgpr_kernarg_preload_offset 0
		.amdhsa_user_sgpr_private_segment_size 0
		.amdhsa_uses_dynamic_stack 0
		.amdhsa_enable_private_segment 0
		.amdhsa_system_sgpr_workgroup_id_x 1
		.amdhsa_system_sgpr_workgroup_id_y 0
		.amdhsa_system_sgpr_workgroup_id_z 0
		.amdhsa_system_sgpr_workgroup_info 0
		.amdhsa_system_vgpr_workitem_id 0
		.amdhsa_next_free_vgpr 60
		.amdhsa_next_free_sgpr 16
		.amdhsa_accum_offset 60
		.amdhsa_reserve_vcc 1
		.amdhsa_float_round_mode_32 0
		.amdhsa_float_round_mode_16_64 0
		.amdhsa_float_denorm_mode_32 3
		.amdhsa_float_denorm_mode_16_64 3
		.amdhsa_dx10_clamp 1
		.amdhsa_ieee_mode 1
		.amdhsa_fp16_overflow 0
		.amdhsa_tg_split 0
		.amdhsa_exception_fp_ieee_invalid_op 0
		.amdhsa_exception_fp_denorm_src 0
		.amdhsa_exception_fp_ieee_div_zero 0
		.amdhsa_exception_fp_ieee_overflow 0
		.amdhsa_exception_fp_ieee_underflow 0
		.amdhsa_exception_fp_ieee_inexact 0
		.amdhsa_exception_int_div_zero 0
	.end_amdhsa_kernel
	.section	.text._ZN9rocsparseL19gebsrmvn_3xn_kernelILj128ELj4ELj32E21rocsparse_complex_numIfEEEvi20rocsparse_direction_NS_24const_host_device_scalarIT2_EEPKiS8_PKS5_SA_S6_PS5_21rocsparse_index_base_b,"axG",@progbits,_ZN9rocsparseL19gebsrmvn_3xn_kernelILj128ELj4ELj32E21rocsparse_complex_numIfEEEvi20rocsparse_direction_NS_24const_host_device_scalarIT2_EEPKiS8_PKS5_SA_S6_PS5_21rocsparse_index_base_b,comdat
.Lfunc_end87:
	.size	_ZN9rocsparseL19gebsrmvn_3xn_kernelILj128ELj4ELj32E21rocsparse_complex_numIfEEEvi20rocsparse_direction_NS_24const_host_device_scalarIT2_EEPKiS8_PKS5_SA_S6_PS5_21rocsparse_index_base_b, .Lfunc_end87-_ZN9rocsparseL19gebsrmvn_3xn_kernelILj128ELj4ELj32E21rocsparse_complex_numIfEEEvi20rocsparse_direction_NS_24const_host_device_scalarIT2_EEPKiS8_PKS5_SA_S6_PS5_21rocsparse_index_base_b
                                        ; -- End function
	.section	.AMDGPU.csdata,"",@progbits
; Kernel info:
; codeLenInByte = 2368
; NumSgprs: 22
; NumVgprs: 60
; NumAgprs: 0
; TotalNumVgprs: 60
; ScratchSize: 0
; MemoryBound: 0
; FloatMode: 240
; IeeeMode: 1
; LDSByteSize: 0 bytes/workgroup (compile time only)
; SGPRBlocks: 2
; VGPRBlocks: 7
; NumSGPRsForWavesPerEU: 22
; NumVGPRsForWavesPerEU: 60
; AccumOffset: 60
; Occupancy: 8
; WaveLimiterHint : 1
; COMPUTE_PGM_RSRC2:SCRATCH_EN: 0
; COMPUTE_PGM_RSRC2:USER_SGPR: 2
; COMPUTE_PGM_RSRC2:TRAP_HANDLER: 0
; COMPUTE_PGM_RSRC2:TGID_X_EN: 1
; COMPUTE_PGM_RSRC2:TGID_Y_EN: 0
; COMPUTE_PGM_RSRC2:TGID_Z_EN: 0
; COMPUTE_PGM_RSRC2:TIDIG_COMP_CNT: 0
; COMPUTE_PGM_RSRC3_GFX90A:ACCUM_OFFSET: 14
; COMPUTE_PGM_RSRC3_GFX90A:TG_SPLIT: 0
	.section	.text._ZN9rocsparseL19gebsrmvn_3xn_kernelILj128ELj4ELj64E21rocsparse_complex_numIfEEEvi20rocsparse_direction_NS_24const_host_device_scalarIT2_EEPKiS8_PKS5_SA_S6_PS5_21rocsparse_index_base_b,"axG",@progbits,_ZN9rocsparseL19gebsrmvn_3xn_kernelILj128ELj4ELj64E21rocsparse_complex_numIfEEEvi20rocsparse_direction_NS_24const_host_device_scalarIT2_EEPKiS8_PKS5_SA_S6_PS5_21rocsparse_index_base_b,comdat
	.globl	_ZN9rocsparseL19gebsrmvn_3xn_kernelILj128ELj4ELj64E21rocsparse_complex_numIfEEEvi20rocsparse_direction_NS_24const_host_device_scalarIT2_EEPKiS8_PKS5_SA_S6_PS5_21rocsparse_index_base_b ; -- Begin function _ZN9rocsparseL19gebsrmvn_3xn_kernelILj128ELj4ELj64E21rocsparse_complex_numIfEEEvi20rocsparse_direction_NS_24const_host_device_scalarIT2_EEPKiS8_PKS5_SA_S6_PS5_21rocsparse_index_base_b
	.p2align	8
	.type	_ZN9rocsparseL19gebsrmvn_3xn_kernelILj128ELj4ELj64E21rocsparse_complex_numIfEEEvi20rocsparse_direction_NS_24const_host_device_scalarIT2_EEPKiS8_PKS5_SA_S6_PS5_21rocsparse_index_base_b,@function
_ZN9rocsparseL19gebsrmvn_3xn_kernelILj128ELj4ELj64E21rocsparse_complex_numIfEEEvi20rocsparse_direction_NS_24const_host_device_scalarIT2_EEPKiS8_PKS5_SA_S6_PS5_21rocsparse_index_base_b: ; @_ZN9rocsparseL19gebsrmvn_3xn_kernelILj128ELj4ELj64E21rocsparse_complex_numIfEEEvi20rocsparse_direction_NS_24const_host_device_scalarIT2_EEPKiS8_PKS5_SA_S6_PS5_21rocsparse_index_base_b
; %bb.0:
	s_load_dwordx2 s[12:13], s[0:1], 0x40
	s_load_dwordx2 s[8:9], s[0:1], 0x8
	s_load_dwordx2 s[6:7], s[0:1], 0x30
	s_waitcnt lgkmcnt(0)
	s_bitcmp1_b32 s13, 0
	s_cselect_b64 s[4:5], -1, 0
	s_xor_b64 s[10:11], s[4:5], -1
	s_and_b64 vcc, exec, s[4:5]
	v_mov_b32_e32 v2, s8
	s_cbranch_vccnz .LBB88_2
; %bb.1:
	v_mov_b64_e32 v[2:3], s[8:9]
	flat_load_dword v2, v[2:3]
.LBB88_2:
	v_cndmask_b32_e64 v1, 0, 1, s[10:11]
	v_cmp_ne_u32_e64 s[4:5], 1, v1
	s_andn2_b64 vcc, exec, s[10:11]
	v_mov_b32_e32 v3, s9
	s_cbranch_vccz .LBB88_16
; %bb.3:
	s_and_b64 vcc, exec, s[4:5]
	v_mov_b32_e32 v4, s6
	s_cbranch_vccz .LBB88_17
.LBB88_4:
	s_and_b64 vcc, exec, s[4:5]
	v_mov_b32_e32 v5, s7
	s_cbranch_vccnz .LBB88_6
.LBB88_5:
	v_mov_b64_e32 v[6:7], s[6:7]
	flat_load_dword v5, v[6:7] offset:4
.LBB88_6:
	s_waitcnt vmcnt(0) lgkmcnt(0)
	v_and_b32_e32 v1, 0x7fffffff, v2
	v_cmp_eq_u32_e32 vcc, 0, v1
	v_cmp_eq_f32_e64 s[4:5], 0, v3
	s_and_b64 s[8:9], vcc, s[4:5]
	s_mov_b64 s[4:5], -1
	s_and_saveexec_b64 s[6:7], s[8:9]
; %bb.7:
	v_and_b32_e32 v1, 0x7fffffff, v5
	v_cmp_neq_f32_e32 vcc, 1.0, v4
	v_cmp_ne_u32_e64 s[4:5], 0, v1
	s_or_b64 s[4:5], vcc, s[4:5]
	s_orn2_b64 s[4:5], s[4:5], exec
; %bb.8:
	s_or_b64 exec, exec, s[6:7]
	s_and_saveexec_b64 s[6:7], s[4:5]
	s_cbranch_execz .LBB88_29
; %bb.9:
	s_load_dwordx2 s[14:15], s[0:1], 0x0
	v_lshrrev_b32_e32 v1, 6, v0
	v_lshl_or_b32 v6, s2, 1, v1
	s_waitcnt lgkmcnt(0)
	v_cmp_gt_i32_e32 vcc, s14, v6
	s_and_b64 exec, exec, vcc
	s_cbranch_execz .LBB88_29
; %bb.10:
	s_load_dwordx8 s[4:11], s[0:1], 0x10
	v_ashrrev_i32_e32 v7, 31, v6
	s_cmp_lg_u32 s15, 0
	s_waitcnt lgkmcnt(0)
	v_lshl_add_u64 v[8:9], v[6:7], 2, s[4:5]
	global_load_dwordx2 v[8:9], v[8:9], off
	v_and_b32_e32 v7, 63, v0
	s_waitcnt vmcnt(0)
	v_subrev_u32_e32 v0, s12, v8
	v_subrev_u32_e32 v20, s12, v9
	v_add_u32_e32 v8, v0, v7
	v_cmp_lt_i32_e64 s[2:3], v8, v20
	s_cbranch_scc0 .LBB88_18
; %bb.11:
	v_mov_b32_e32 v13, 0
	v_mov_b32_e32 v12, v13
	;; [unrolled: 1-line block ×6, first 2 shown]
	s_and_saveexec_b64 s[4:5], s[2:3]
	s_cbranch_execz .LBB88_15
; %bb.12:
	v_mad_u64_u32 v[14:15], s[14:15], v8, 12, 11
	v_mov_b32_e32 v17, 0
	s_mov_b64 s[14:15], 0
	v_mov_b32_e32 v18, v8
	v_mov_b32_e32 v10, v17
	;; [unrolled: 1-line block ×7, first 2 shown]
.LBB88_13:                              ; =>This Inner Loop Header: Depth=1
	v_ashrrev_i32_e32 v19, 31, v18
	v_lshl_add_u64 v[22:23], v[18:19], 2, s[6:7]
	global_load_dword v9, v[22:23], off
	v_add_u32_e32 v16, -11, v14
	v_lshl_add_u64 v[32:33], v[16:17], 3, s[8:9]
	v_add_u32_e32 v16, -7, v14
	v_lshl_add_u64 v[36:37], v[16:17], 3, s[8:9]
	v_add_u32_e32 v16, -6, v14
	global_load_dwordx4 v[22:25], v[32:33], off offset:16
	global_load_dwordx4 v[26:29], v[32:33], off
	v_lshl_add_u64 v[32:33], v[16:17], 3, s[8:9]
	v_add_u32_e32 v16, -5, v14
	global_load_dwordx2 v[38:39], v[36:37], off
	v_lshl_add_u64 v[36:37], v[16:17], 3, s[8:9]
	v_add_u32_e32 v16, -4, v14
	v_lshl_add_u64 v[40:41], v[16:17], 3, s[8:9]
	v_add_u32_e32 v16, -3, v14
	v_lshl_add_u64 v[44:45], v[16:17], 3, s[8:9]
	v_add_u32_e32 v16, -2, v14
	v_mov_b32_e32 v31, v17
	v_mov_b32_e32 v15, v17
	global_load_dwordx2 v[42:43], v[36:37], off
	global_load_dwordx2 v[46:47], v[40:41], off
	;; [unrolled: 1-line block ×3, first 2 shown]
	v_lshl_add_u64 v[32:33], v[16:17], 3, s[8:9]
	v_add_u32_e32 v16, -1, v14
	v_lshl_add_u64 v[34:35], v[14:15], 3, s[8:9]
	v_lshl_add_u64 v[36:37], v[16:17], 3, s[8:9]
	global_load_dwordx2 v[40:41], v[32:33], off
	global_load_dwordx2 v[50:51], v[36:37], off
	;; [unrolled: 1-line block ×3, first 2 shown]
	v_add_u32_e32 v18, 64, v18
	v_cmp_ge_i32_e32 vcc, v18, v20
	s_or_b64 s[14:15], vcc, s[14:15]
	v_add_u32_e32 v14, 0x300, v14
	s_waitcnt vmcnt(9)
	v_subrev_u32_e32 v9, s12, v9
	v_lshlrev_b32_e32 v30, 2, v9
	v_lshl_add_u64 v[54:55], v[30:31], 3, s[10:11]
	global_load_dwordx4 v[30:33], v[54:55], off
	global_load_dwordx4 v[34:37], v[54:55], off offset:16
	global_load_dwordx2 v[56:57], v[44:45], off
	s_waitcnt vmcnt(11)
	v_xor_b32_e32 v44, 0x80000000, v25
	s_waitcnt vmcnt(10)
	v_xor_b32_e32 v54, 0x80000000, v29
	v_mov_b32_e32 v55, v28
	v_mov_b32_e32 v45, v24
	s_waitcnt vmcnt(2)
	v_pk_fma_f32 v[12:13], v[26:27], v[30:31], v[12:13] op_sel_hi:[1,0,1]
	v_pk_fma_f32 v[10:11], v[28:29], v[30:31], v[10:11] op_sel_hi:[1,0,1]
	;; [unrolled: 1-line block ×3, first 2 shown]
	v_pk_fma_f32 v[12:13], v[26:27], v[30:31], v[12:13] op_sel:[1,1,0] op_sel_hi:[0,1,1] neg_lo:[1,0,0]
	v_pk_fma_f32 v[10:11], v[54:55], v[30:31], v[10:11] op_sel:[0,1,0]
	v_pk_fma_f32 v[0:1], v[22:23], v[30:31], v[0:1] op_sel:[1,1,0] op_sel_hi:[0,1,1] neg_lo:[1,0,0]
	v_mov_b32_e32 v16, v33
	v_pk_fma_f32 v[12:13], v[24:25], v[32:33], v[12:13] op_sel_hi:[1,0,1]
	v_pk_fma_f32 v[10:11], v[38:39], v[32:33], v[10:11] op_sel_hi:[1,0,1]
	;; [unrolled: 1-line block ×4, first 2 shown]
	v_pk_fma_f32 v[10:11], v[38:39], v[16:17], v[10:11] op_sel:[1,0,0] op_sel_hi:[0,0,1] neg_lo:[1,0,0]
	v_pk_fma_f32 v[0:1], v[48:49], v[16:17], v[0:1] op_sel:[1,0,0] op_sel_hi:[0,0,1] neg_lo:[1,0,0]
	s_waitcnt vmcnt(1)
	v_pk_fma_f32 v[12:13], v[42:43], v[34:35], v[12:13] op_sel_hi:[1,0,1]
	v_pk_fma_f32 v[10:11], v[46:47], v[34:35], v[10:11] op_sel_hi:[1,0,1]
	s_waitcnt vmcnt(0)
	v_pk_fma_f32 v[0:1], v[56:57], v[34:35], v[0:1] op_sel_hi:[1,0,1]
	v_pk_fma_f32 v[12:13], v[42:43], v[34:35], v[12:13] op_sel:[1,1,0] op_sel_hi:[0,1,1] neg_lo:[1,0,0]
	v_pk_fma_f32 v[10:11], v[46:47], v[34:35], v[10:11] op_sel:[1,1,0] op_sel_hi:[0,1,1] neg_lo:[1,0,0]
	;; [unrolled: 1-line block ×3, first 2 shown]
	v_mov_b32_e32 v58, v37
	v_pk_fma_f32 v[12:13], v[40:41], v[36:37], v[12:13] op_sel_hi:[1,0,1]
	v_pk_fma_f32 v[10:11], v[50:51], v[36:37], v[10:11] op_sel_hi:[1,0,1]
	;; [unrolled: 1-line block ×3, first 2 shown]
	v_pk_fma_f32 v[12:13], v[40:41], v[58:59], v[12:13] op_sel:[1,0,0] op_sel_hi:[0,0,1] neg_lo:[1,0,0]
	v_pk_fma_f32 v[10:11], v[50:51], v[58:59], v[10:11] op_sel:[1,0,0] op_sel_hi:[0,0,1] neg_lo:[1,0,0]
	;; [unrolled: 1-line block ×3, first 2 shown]
	s_andn2_b64 exec, exec, s[14:15]
	s_cbranch_execnz .LBB88_13
; %bb.14:
	s_or_b64 exec, exec, s[14:15]
.LBB88_15:
	s_or_b64 exec, exec, s[4:5]
	s_cbranch_execz .LBB88_19
	s_branch .LBB88_24
.LBB88_16:
	v_mov_b64_e32 v[4:5], s[8:9]
	flat_load_dword v3, v[4:5] offset:4
	s_and_b64 vcc, exec, s[4:5]
	v_mov_b32_e32 v4, s6
	s_cbranch_vccnz .LBB88_4
.LBB88_17:
	v_mov_b64_e32 v[4:5], s[6:7]
	flat_load_dword v4, v[4:5]
	s_and_b64 vcc, exec, s[4:5]
	v_mov_b32_e32 v5, s7
	s_cbranch_vccz .LBB88_5
	s_branch .LBB88_6
.LBB88_18:
                                        ; implicit-def: $vgpr13
                                        ; implicit-def: $vgpr1
                                        ; implicit-def: $vgpr11
.LBB88_19:
	v_mov_b32_e32 v13, 0
	v_mov_b32_e32 v12, v13
	;; [unrolled: 1-line block ×6, first 2 shown]
	s_and_saveexec_b64 s[4:5], s[2:3]
	s_cbranch_execz .LBB88_23
; %bb.20:
	v_mad_u64_u32 v[14:15], s[2:3], v8, 12, 11
	v_mov_b32_e32 v17, 0
	s_mov_b64 s[2:3], 0
	v_mov_b32_e32 v10, v17
	v_mov_b32_e32 v11, v17
	;; [unrolled: 1-line block ×6, first 2 shown]
.LBB88_21:                              ; =>This Inner Loop Header: Depth=1
	v_ashrrev_i32_e32 v9, 31, v8
	v_lshl_add_u64 v[18:19], v[8:9], 2, s[6:7]
	global_load_dword v9, v[18:19], off
	v_add_u32_e32 v16, -11, v14
	v_add_u32_e32 v18, -7, v14
	v_mov_b32_e32 v19, v17
	v_lshl_add_u64 v[32:33], v[16:17], 3, s[8:9]
	v_add_u32_e32 v16, -6, v14
	v_add_u32_e32 v22, -3, v14
	v_mov_b32_e32 v23, v17
	v_lshl_add_u64 v[18:19], v[18:19], 3, s[8:9]
	v_lshl_add_u64 v[38:39], v[16:17], 3, s[8:9]
	v_add_u32_e32 v16, -2, v14
	v_lshl_add_u64 v[34:35], v[22:23], 3, s[8:9]
	global_load_dwordx4 v[22:25], v[32:33], off offset:16
	global_load_dwordx4 v[26:29], v[32:33], off
	global_load_dwordx2 v[40:41], v[18:19], off
	v_lshl_add_u64 v[18:19], v[16:17], 3, s[8:9]
	v_add_u32_e32 v16, -5, v14
	global_load_dwordx2 v[38:39], v[38:39], off
	s_nop 0
	global_load_dwordx2 v[42:43], v[18:19], off
	global_load_dwordx2 v[44:45], v[34:35], off
	v_mov_b32_e32 v31, v17
	v_mov_b32_e32 v15, v17
	v_lshl_add_u64 v[32:33], v[16:17], 3, s[8:9]
	v_add_u32_e32 v16, -1, v14
	v_lshl_add_u64 v[36:37], v[14:15], 3, s[8:9]
	v_lshl_add_u64 v[18:19], v[16:17], 3, s[8:9]
	v_add_u32_e32 v16, -4, v14
	global_load_dwordx2 v[46:47], v[32:33], off
	global_load_dwordx2 v[50:51], v[36:37], off
	v_lshl_add_u64 v[48:49], v[16:17], 3, s[8:9]
	v_add_u32_e32 v8, 64, v8
	v_cmp_ge_i32_e32 vcc, v8, v20
	s_or_b64 s[2:3], vcc, s[2:3]
	v_add_u32_e32 v14, 0x300, v14
	s_waitcnt vmcnt(8)
	v_subrev_u32_e32 v9, s12, v9
	v_lshlrev_b32_e32 v30, 2, v9
	v_lshl_add_u64 v[52:53], v[30:31], 3, s[10:11]
	global_load_dwordx4 v[30:33], v[52:53], off
	global_load_dwordx4 v[34:37], v[52:53], off offset:16
	global_load_dwordx2 v[54:55], v[18:19], off
	global_load_dwordx2 v[56:57], v[48:49], off
	s_waitcnt vmcnt(11)
	v_xor_b32_e32 v48, 0x80000000, v25
	s_waitcnt vmcnt(10)
	v_xor_b32_e32 v18, 0x80000000, v29
	v_mov_b32_e32 v19, v28
	v_mov_b32_e32 v49, v24
	s_waitcnt vmcnt(3)
	v_pk_fma_f32 v[12:13], v[26:27], v[30:31], v[12:13] op_sel_hi:[1,0,1]
	v_pk_fma_f32 v[10:11], v[40:41], v[30:31], v[10:11] op_sel_hi:[1,0,1]
	;; [unrolled: 1-line block ×3, first 2 shown]
	v_pk_fma_f32 v[12:13], v[26:27], v[30:31], v[12:13] op_sel:[1,1,0] op_sel_hi:[0,1,1] neg_lo:[1,0,0]
	v_pk_fma_f32 v[10:11], v[40:41], v[30:31], v[10:11] op_sel:[1,1,0] op_sel_hi:[0,1,1] neg_lo:[1,0,0]
	;; [unrolled: 1-line block ×3, first 2 shown]
	v_mov_b32_e32 v16, v33
	v_pk_fma_f32 v[12:13], v[28:29], v[32:33], v[12:13] op_sel_hi:[1,0,1]
	v_pk_fma_f32 v[10:11], v[38:39], v[32:33], v[10:11] op_sel_hi:[1,0,1]
	;; [unrolled: 1-line block ×4, first 2 shown]
	v_pk_fma_f32 v[10:11], v[38:39], v[16:17], v[10:11] op_sel:[1,0,0] op_sel_hi:[0,0,1] neg_lo:[1,0,0]
	v_pk_fma_f32 v[0:1], v[42:43], v[16:17], v[0:1] op_sel:[1,0,0] op_sel_hi:[0,0,1] neg_lo:[1,0,0]
	s_waitcnt vmcnt(2)
	v_pk_fma_f32 v[12:13], v[22:23], v[34:35], v[12:13] op_sel_hi:[1,0,1]
	v_pk_fma_f32 v[10:11], v[46:47], v[34:35], v[10:11] op_sel_hi:[1,0,1]
	s_waitcnt vmcnt(1)
	v_pk_fma_f32 v[0:1], v[54:55], v[34:35], v[0:1] op_sel_hi:[1,0,1]
	v_pk_fma_f32 v[12:13], v[22:23], v[34:35], v[12:13] op_sel:[1,1,0] op_sel_hi:[0,1,1] neg_lo:[1,0,0]
	v_pk_fma_f32 v[10:11], v[46:47], v[34:35], v[10:11] op_sel:[1,1,0] op_sel_hi:[0,1,1] neg_lo:[1,0,0]
	;; [unrolled: 1-line block ×3, first 2 shown]
	v_mov_b32_e32 v52, v37
	v_pk_fma_f32 v[12:13], v[24:25], v[36:37], v[12:13] op_sel_hi:[1,0,1]
	s_waitcnt vmcnt(0)
	v_pk_fma_f32 v[10:11], v[56:57], v[36:37], v[10:11] op_sel_hi:[1,0,1]
	v_pk_fma_f32 v[0:1], v[50:51], v[36:37], v[0:1] op_sel_hi:[1,0,1]
	;; [unrolled: 1-line block ×3, first 2 shown]
	v_pk_fma_f32 v[10:11], v[56:57], v[52:53], v[10:11] op_sel:[1,0,0] op_sel_hi:[0,0,1] neg_lo:[1,0,0]
	v_pk_fma_f32 v[0:1], v[50:51], v[52:53], v[0:1] op_sel:[1,0,0] op_sel_hi:[0,0,1] neg_lo:[1,0,0]
	s_andn2_b64 exec, exec, s[2:3]
	s_cbranch_execnz .LBB88_21
; %bb.22:
	s_or_b64 exec, exec, s[2:3]
.LBB88_23:
	s_or_b64 exec, exec, s[4:5]
.LBB88_24:
	v_mov_b32_dpp v8, v12 row_shr:1 row_mask:0xf bank_mask:0xf
	v_add_f32_e32 v8, v12, v8
	v_mov_b32_dpp v12, v13 row_shr:1 row_mask:0xf bank_mask:0xf
	v_add_f32_e32 v12, v13, v12
	v_mov_b32_dpp v9, v8 row_shr:2 row_mask:0xf bank_mask:0xf
	v_add_f32_e32 v8, v8, v9
	v_mov_b32_dpp v13, v12 row_shr:2 row_mask:0xf bank_mask:0xf
	v_add_f32_e32 v12, v12, v13
	v_mov_b32_dpp v9, v8 row_shr:4 row_mask:0xf bank_mask:0xe
	v_add_f32_e32 v8, v8, v9
	v_mov_b32_dpp v13, v12 row_shr:4 row_mask:0xf bank_mask:0xe
	v_add_f32_e32 v12, v12, v13
	v_mov_b32_dpp v9, v8 row_shr:8 row_mask:0xf bank_mask:0xc
	v_add_f32_e32 v8, v8, v9
	v_mov_b32_dpp v13, v12 row_shr:8 row_mask:0xf bank_mask:0xc
	v_add_f32_e32 v12, v12, v13
	v_mov_b32_dpp v9, v8 row_bcast:15 row_mask:0xa bank_mask:0xf
	v_add_f32_e32 v8, v8, v9
	v_mov_b32_dpp v13, v12 row_bcast:15 row_mask:0xa bank_mask:0xf
	v_add_f32_e32 v13, v12, v13
	v_mov_b32_dpp v12, v10 row_shr:1 row_mask:0xf bank_mask:0xf
	v_add_f32_e32 v10, v10, v12
	v_mov_b32_dpp v9, v8 row_bcast:31 row_mask:0xc bank_mask:0xf
	v_mov_b32_dpp v14, v13 row_bcast:31 row_mask:0xc bank_mask:0xf
	v_mov_b32_dpp v12, v10 row_shr:2 row_mask:0xf bank_mask:0xf
	v_add_f32_e32 v10, v10, v12
	v_cmp_eq_u32_e32 vcc, 63, v7
	s_nop 0
	v_mov_b32_dpp v12, v10 row_shr:4 row_mask:0xf bank_mask:0xe
	v_add_f32_e32 v10, v10, v12
	s_nop 1
	v_mov_b32_dpp v12, v10 row_shr:8 row_mask:0xf bank_mask:0xc
	v_add_f32_e32 v10, v10, v12
	s_nop 1
	v_mov_b32_dpp v12, v10 row_bcast:15 row_mask:0xa bank_mask:0xf
	v_add_f32_e32 v10, v10, v12
	s_nop 0
	v_mov_b32_dpp v12, v11 row_shr:1 row_mask:0xf bank_mask:0xf
	v_add_f32_e32 v11, v11, v12
	v_mov_b32_dpp v15, v10 row_bcast:31 row_mask:0xc bank_mask:0xf
	s_nop 0
	v_mov_b32_dpp v12, v11 row_shr:2 row_mask:0xf bank_mask:0xf
	v_add_f32_e32 v11, v11, v12
	s_nop 1
	v_mov_b32_dpp v12, v11 row_shr:4 row_mask:0xf bank_mask:0xe
	v_add_f32_e32 v11, v11, v12
	s_nop 1
	v_mov_b32_dpp v12, v11 row_shr:8 row_mask:0xf bank_mask:0xc
	v_add_f32_e32 v11, v11, v12
	s_nop 1
	v_mov_b32_dpp v12, v11 row_bcast:15 row_mask:0xa bank_mask:0xf
	v_add_f32_e32 v11, v11, v12
	s_nop 0
	v_mov_b32_dpp v12, v0 row_shr:1 row_mask:0xf bank_mask:0xf
	v_add_f32_e32 v0, v0, v12
	v_mov_b32_dpp v17, v11 row_bcast:31 row_mask:0xc bank_mask:0xf
	s_nop 0
	v_mov_b32_dpp v12, v0 row_shr:2 row_mask:0xf bank_mask:0xf
	v_add_f32_e32 v0, v0, v12
	;; [unrolled: 16-line block ×3, first 2 shown]
	s_nop 1
	v_mov_b32_dpp v12, v1 row_shr:4 row_mask:0xf bank_mask:0xe
	v_add_f32_e32 v1, v1, v12
	s_nop 1
	v_mov_b32_dpp v12, v1 row_shr:8 row_mask:0xf bank_mask:0xc
	v_add_f32_e32 v1, v1, v12
	s_nop 1
	v_mov_b32_dpp v12, v1 row_bcast:15 row_mask:0xa bank_mask:0xf
	v_add_f32_e32 v1, v1, v12
	s_nop 1
	v_mov_b32_dpp v19, v1 row_bcast:31 row_mask:0xc bank_mask:0xf
	s_and_b64 exec, exec, vcc
	s_cbranch_execz .LBB88_29
; %bb.25:
	s_load_dwordx2 s[2:3], s[0:1], 0x38
	v_add_f32_e32 v12, v8, v9
	v_add_f32_e32 v8, v1, v19
	v_and_b32_e32 v1, 0x7fffffff, v4
	v_cmp_eq_u32_e32 vcc, 0, v1
	v_cmp_eq_f32_e64 s[0:1], 0, v5
	v_add_f32_e32 v16, v13, v14
	v_add_f32_e32 v10, v10, v15
	v_add_f32_e32 v14, v11, v17
	v_add_f32_e32 v0, v0, v18
	s_and_b64 s[0:1], vcc, s[0:1]
	s_and_saveexec_b64 s[4:5], s[0:1]
	s_xor_b64 s[0:1], exec, s[4:5]
	s_cbranch_execz .LBB88_27
; %bb.26:
	v_lshl_add_u32 v4, v6, 1, v6
	v_xor_b32_e32 v18, 0x80000000, v3
	v_ashrrev_i32_e32 v5, 31, v4
	v_mov_b32_e32 v19, v2
	s_waitcnt lgkmcnt(0)
	v_lshl_add_u64 v[20:21], v[4:5], 3, s[2:3]
	v_pk_mul_f32 v[4:5], v[16:17], v[18:19] op_sel_hi:[0,1]
	v_pk_mul_f32 v[6:7], v[14:15], v[18:19] op_sel_hi:[0,1]
	v_pk_fma_f32 v[4:5], v[2:3], v[12:13], v[4:5] op_sel_hi:[1,0,1]
	v_pk_fma_f32 v[6:7], v[2:3], v[10:11], v[6:7] op_sel_hi:[1,0,1]
	global_store_dwordx4 v[20:21], v[4:7], off
                                        ; implicit-def: $vgpr6
                                        ; implicit-def: $vgpr12
                                        ; implicit-def: $vgpr16
                                        ; implicit-def: $vgpr10
                                        ; implicit-def: $vgpr14
	s_nop 1
	v_pk_mul_f32 v[4:5], v[8:9], v[18:19] op_sel_hi:[0,1]
	v_pk_fma_f32 v[0:1], v[2:3], v[0:1], v[4:5] op_sel_hi:[1,0,1]
	global_store_dwordx2 v[20:21], v[0:1], off offset:16
                                        ; implicit-def: $vgpr3
                                        ; implicit-def: $vgpr4
                                        ; implicit-def: $vgpr0
                                        ; implicit-def: $vgpr8
.LBB88_27:
	s_andn2_saveexec_b64 s[0:1], s[0:1]
	s_cbranch_execz .LBB88_29
; %bb.28:
	v_lshl_add_u32 v6, v6, 1, v6
	v_ashrrev_i32_e32 v7, 31, v6
	s_waitcnt lgkmcnt(0)
	v_lshl_add_u64 v[6:7], v[6:7], 3, s[2:3]
	global_load_dwordx4 v[18:21], v[6:7], off
	global_load_dwordx2 v[22:23], v[6:7], off offset:16
	v_xor_b32_e32 v24, 0x80000000, v3
	v_mov_b32_e32 v25, v2
	v_pk_mul_f32 v[16:17], v[16:17], v[24:25] op_sel_hi:[0,1]
	v_pk_mul_f32 v[14:15], v[14:15], v[24:25] op_sel_hi:[0,1]
	;; [unrolled: 1-line block ×3, first 2 shown]
	v_pk_fma_f32 v[12:13], v[2:3], v[12:13], v[16:17] op_sel_hi:[1,0,1]
	v_pk_fma_f32 v[10:11], v[2:3], v[10:11], v[14:15] op_sel_hi:[1,0,1]
	v_xor_b32_e32 v26, 0x80000000, v5
	v_mov_b32_e32 v27, v4
	v_pk_fma_f32 v[0:1], v[2:3], v[0:1], v[8:9] op_sel_hi:[1,0,1]
	s_waitcnt vmcnt(1)
	v_pk_fma_f32 v[2:3], v[4:5], v[18:19], v[12:13] op_sel_hi:[1,0,1]
	v_pk_fma_f32 v[8:9], v[4:5], v[20:21], v[10:11] op_sel_hi:[1,0,1]
	v_mov_b32_e32 v10, v21
	s_waitcnt vmcnt(0)
	v_pk_fma_f32 v[4:5], v[4:5], v[22:23], v[0:1] op_sel_hi:[1,0,1]
	v_pk_fma_f32 v[0:1], v[26:27], v[18:19], v[2:3] op_sel:[0,1,0]
	v_pk_fma_f32 v[2:3], v[26:27], v[10:11], v[8:9] op_sel_hi:[1,0,1]
	v_pk_fma_f32 v[4:5], v[26:27], v[22:23], v[4:5] op_sel:[0,1,0]
	global_store_dwordx4 v[6:7], v[0:3], off
	global_store_dwordx2 v[6:7], v[4:5], off offset:16
.LBB88_29:
	s_endpgm
	.section	.rodata,"a",@progbits
	.p2align	6, 0x0
	.amdhsa_kernel _ZN9rocsparseL19gebsrmvn_3xn_kernelILj128ELj4ELj64E21rocsparse_complex_numIfEEEvi20rocsparse_direction_NS_24const_host_device_scalarIT2_EEPKiS8_PKS5_SA_S6_PS5_21rocsparse_index_base_b
		.amdhsa_group_segment_fixed_size 0
		.amdhsa_private_segment_fixed_size 0
		.amdhsa_kernarg_size 72
		.amdhsa_user_sgpr_count 2
		.amdhsa_user_sgpr_dispatch_ptr 0
		.amdhsa_user_sgpr_queue_ptr 0
		.amdhsa_user_sgpr_kernarg_segment_ptr 1
		.amdhsa_user_sgpr_dispatch_id 0
		.amdhsa_user_sgpr_kernarg_preload_length 0
		.amdhsa_user_sgpr_kernarg_preload_offset 0
		.amdhsa_user_sgpr_private_segment_size 0
		.amdhsa_uses_dynamic_stack 0
		.amdhsa_enable_private_segment 0
		.amdhsa_system_sgpr_workgroup_id_x 1
		.amdhsa_system_sgpr_workgroup_id_y 0
		.amdhsa_system_sgpr_workgroup_id_z 0
		.amdhsa_system_sgpr_workgroup_info 0
		.amdhsa_system_vgpr_workitem_id 0
		.amdhsa_next_free_vgpr 60
		.amdhsa_next_free_sgpr 16
		.amdhsa_accum_offset 60
		.amdhsa_reserve_vcc 1
		.amdhsa_float_round_mode_32 0
		.amdhsa_float_round_mode_16_64 0
		.amdhsa_float_denorm_mode_32 3
		.amdhsa_float_denorm_mode_16_64 3
		.amdhsa_dx10_clamp 1
		.amdhsa_ieee_mode 1
		.amdhsa_fp16_overflow 0
		.amdhsa_tg_split 0
		.amdhsa_exception_fp_ieee_invalid_op 0
		.amdhsa_exception_fp_denorm_src 0
		.amdhsa_exception_fp_ieee_div_zero 0
		.amdhsa_exception_fp_ieee_overflow 0
		.amdhsa_exception_fp_ieee_underflow 0
		.amdhsa_exception_fp_ieee_inexact 0
		.amdhsa_exception_int_div_zero 0
	.end_amdhsa_kernel
	.section	.text._ZN9rocsparseL19gebsrmvn_3xn_kernelILj128ELj4ELj64E21rocsparse_complex_numIfEEEvi20rocsparse_direction_NS_24const_host_device_scalarIT2_EEPKiS8_PKS5_SA_S6_PS5_21rocsparse_index_base_b,"axG",@progbits,_ZN9rocsparseL19gebsrmvn_3xn_kernelILj128ELj4ELj64E21rocsparse_complex_numIfEEEvi20rocsparse_direction_NS_24const_host_device_scalarIT2_EEPKiS8_PKS5_SA_S6_PS5_21rocsparse_index_base_b,comdat
.Lfunc_end88:
	.size	_ZN9rocsparseL19gebsrmvn_3xn_kernelILj128ELj4ELj64E21rocsparse_complex_numIfEEEvi20rocsparse_direction_NS_24const_host_device_scalarIT2_EEPKiS8_PKS5_SA_S6_PS5_21rocsparse_index_base_b, .Lfunc_end88-_ZN9rocsparseL19gebsrmvn_3xn_kernelILj128ELj4ELj64E21rocsparse_complex_numIfEEEvi20rocsparse_direction_NS_24const_host_device_scalarIT2_EEPKiS8_PKS5_SA_S6_PS5_21rocsparse_index_base_b
                                        ; -- End function
	.section	.AMDGPU.csdata,"",@progbits
; Kernel info:
; codeLenInByte = 2456
; NumSgprs: 22
; NumVgprs: 60
; NumAgprs: 0
; TotalNumVgprs: 60
; ScratchSize: 0
; MemoryBound: 0
; FloatMode: 240
; IeeeMode: 1
; LDSByteSize: 0 bytes/workgroup (compile time only)
; SGPRBlocks: 2
; VGPRBlocks: 7
; NumSGPRsForWavesPerEU: 22
; NumVGPRsForWavesPerEU: 60
; AccumOffset: 60
; Occupancy: 8
; WaveLimiterHint : 1
; COMPUTE_PGM_RSRC2:SCRATCH_EN: 0
; COMPUTE_PGM_RSRC2:USER_SGPR: 2
; COMPUTE_PGM_RSRC2:TRAP_HANDLER: 0
; COMPUTE_PGM_RSRC2:TGID_X_EN: 1
; COMPUTE_PGM_RSRC2:TGID_Y_EN: 0
; COMPUTE_PGM_RSRC2:TGID_Z_EN: 0
; COMPUTE_PGM_RSRC2:TIDIG_COMP_CNT: 0
; COMPUTE_PGM_RSRC3_GFX90A:ACCUM_OFFSET: 14
; COMPUTE_PGM_RSRC3_GFX90A:TG_SPLIT: 0
	.section	.text._ZN9rocsparseL19gebsrmvn_3xn_kernelILj128ELj5ELj4E21rocsparse_complex_numIfEEEvi20rocsparse_direction_NS_24const_host_device_scalarIT2_EEPKiS8_PKS5_SA_S6_PS5_21rocsparse_index_base_b,"axG",@progbits,_ZN9rocsparseL19gebsrmvn_3xn_kernelILj128ELj5ELj4E21rocsparse_complex_numIfEEEvi20rocsparse_direction_NS_24const_host_device_scalarIT2_EEPKiS8_PKS5_SA_S6_PS5_21rocsparse_index_base_b,comdat
	.globl	_ZN9rocsparseL19gebsrmvn_3xn_kernelILj128ELj5ELj4E21rocsparse_complex_numIfEEEvi20rocsparse_direction_NS_24const_host_device_scalarIT2_EEPKiS8_PKS5_SA_S6_PS5_21rocsparse_index_base_b ; -- Begin function _ZN9rocsparseL19gebsrmvn_3xn_kernelILj128ELj5ELj4E21rocsparse_complex_numIfEEEvi20rocsparse_direction_NS_24const_host_device_scalarIT2_EEPKiS8_PKS5_SA_S6_PS5_21rocsparse_index_base_b
	.p2align	8
	.type	_ZN9rocsparseL19gebsrmvn_3xn_kernelILj128ELj5ELj4E21rocsparse_complex_numIfEEEvi20rocsparse_direction_NS_24const_host_device_scalarIT2_EEPKiS8_PKS5_SA_S6_PS5_21rocsparse_index_base_b,@function
_ZN9rocsparseL19gebsrmvn_3xn_kernelILj128ELj5ELj4E21rocsparse_complex_numIfEEEvi20rocsparse_direction_NS_24const_host_device_scalarIT2_EEPKiS8_PKS5_SA_S6_PS5_21rocsparse_index_base_b: ; @_ZN9rocsparseL19gebsrmvn_3xn_kernelILj128ELj5ELj4E21rocsparse_complex_numIfEEEvi20rocsparse_direction_NS_24const_host_device_scalarIT2_EEPKiS8_PKS5_SA_S6_PS5_21rocsparse_index_base_b
; %bb.0:
	s_load_dwordx2 s[12:13], s[0:1], 0x40
	s_load_dwordx2 s[8:9], s[0:1], 0x8
	;; [unrolled: 1-line block ×3, first 2 shown]
	s_waitcnt lgkmcnt(0)
	s_bitcmp1_b32 s13, 0
	s_cselect_b64 s[4:5], -1, 0
	s_xor_b64 s[10:11], s[4:5], -1
	s_and_b64 vcc, exec, s[4:5]
	v_mov_b32_e32 v2, s8
	s_cbranch_vccnz .LBB89_2
; %bb.1:
	v_mov_b64_e32 v[2:3], s[8:9]
	flat_load_dword v2, v[2:3]
.LBB89_2:
	v_cndmask_b32_e64 v1, 0, 1, s[10:11]
	v_cmp_ne_u32_e64 s[4:5], 1, v1
	s_andn2_b64 vcc, exec, s[10:11]
	v_mov_b32_e32 v3, s9
	s_cbranch_vccz .LBB89_16
; %bb.3:
	s_and_b64 vcc, exec, s[4:5]
	v_mov_b32_e32 v4, s6
	s_cbranch_vccz .LBB89_17
.LBB89_4:
	s_and_b64 vcc, exec, s[4:5]
	v_mov_b32_e32 v5, s7
	s_cbranch_vccnz .LBB89_6
.LBB89_5:
	v_mov_b64_e32 v[6:7], s[6:7]
	flat_load_dword v5, v[6:7] offset:4
.LBB89_6:
	s_waitcnt vmcnt(0) lgkmcnt(0)
	v_and_b32_e32 v1, 0x7fffffff, v2
	v_cmp_eq_u32_e32 vcc, 0, v1
	v_cmp_eq_f32_e64 s[4:5], 0, v3
	s_and_b64 s[8:9], vcc, s[4:5]
	s_mov_b64 s[4:5], -1
	s_and_saveexec_b64 s[6:7], s[8:9]
; %bb.7:
	v_and_b32_e32 v1, 0x7fffffff, v5
	v_cmp_neq_f32_e32 vcc, 1.0, v4
	v_cmp_ne_u32_e64 s[4:5], 0, v1
	s_or_b64 s[4:5], vcc, s[4:5]
	s_orn2_b64 s[4:5], s[4:5], exec
; %bb.8:
	s_or_b64 exec, exec, s[6:7]
	s_and_saveexec_b64 s[6:7], s[4:5]
	s_cbranch_execz .LBB89_29
; %bb.9:
	s_load_dwordx2 s[14:15], s[0:1], 0x0
	v_lshrrev_b32_e32 v1, 2, v0
	v_lshl_or_b32 v6, s2, 5, v1
	s_waitcnt lgkmcnt(0)
	v_cmp_gt_i32_e32 vcc, s14, v6
	s_and_b64 exec, exec, vcc
	s_cbranch_execz .LBB89_29
; %bb.10:
	s_load_dwordx8 s[4:11], s[0:1], 0x10
	v_ashrrev_i32_e32 v7, 31, v6
	s_cmp_lg_u32 s15, 0
	s_waitcnt lgkmcnt(0)
	v_lshl_add_u64 v[8:9], v[6:7], 2, s[4:5]
	global_load_dwordx2 v[8:9], v[8:9], off
	v_and_b32_e32 v7, 3, v0
	s_waitcnt vmcnt(0)
	v_subrev_u32_e32 v0, s12, v8
	v_subrev_u32_e32 v20, s12, v9
	v_add_u32_e32 v0, v0, v7
	v_cmp_lt_i32_e64 s[2:3], v0, v20
	s_cbranch_scc0 .LBB89_18
; %bb.11:
	v_mov_b32_e32 v9, 0
	v_mov_b32_e32 v8, v9
	;; [unrolled: 1-line block ×6, first 2 shown]
	s_and_saveexec_b64 s[4:5], s[2:3]
	s_cbranch_execz .LBB89_15
; %bb.12:
	v_mad_u64_u32 v[14:15], s[14:15], v0, 15, 14
	v_mov_b32_e32 v17, 0
	s_mov_b64 s[14:15], 0
	v_mov_b32_e32 v18, v0
	v_mov_b32_e32 v12, v17
	v_mov_b32_e32 v13, v17
	v_mov_b32_e32 v10, v17
	v_mov_b32_e32 v11, v17
	v_mov_b32_e32 v8, v17
	v_mov_b32_e32 v9, v17
.LBB89_13:                              ; =>This Inner Loop Header: Depth=1
	v_ashrrev_i32_e32 v19, 31, v18
	v_lshl_add_u64 v[22:23], v[18:19], 2, s[6:7]
	global_load_dword v1, v[22:23], off
	v_add_u32_e32 v16, -14, v14
	v_lshl_add_u64 v[24:25], v[16:17], 3, s[8:9]
	v_add_u32_e32 v16, -13, v14
	v_lshl_add_u64 v[28:29], v[16:17], 3, s[8:9]
	;; [unrolled: 2-line block ×4, first 2 shown]
	global_load_dwordx2 v[24:25], v[24:25], off
	v_mov_b32_e32 v23, v17
	global_load_dwordx2 v[28:29], v[28:29], off
	s_nop 0
	global_load_dwordx2 v[34:35], v[32:33], off
	global_load_dwordx2 v[36:37], v[30:31], off
	v_mov_b32_e32 v15, v17
	v_lshl_add_u64 v[26:27], v[14:15], 3, s[8:9]
	v_add_u32_e32 v18, 4, v18
	v_cmp_ge_i32_e32 vcc, v18, v20
	s_or_b64 s[14:15], vcc, s[14:15]
	s_waitcnt vmcnt(4)
	v_subrev_u32_e32 v1, s12, v1
	v_lshl_add_u32 v22, v1, 2, v1
	v_add_u32_e32 v16, 1, v22
	v_lshl_add_u64 v[32:33], v[16:17], 3, s[10:11]
	v_add_u32_e32 v16, -10, v14
	v_lshl_add_u64 v[38:39], v[16:17], 3, s[8:9]
	v_add_u32_e32 v16, -9, v14
	;; [unrolled: 2-line block ×3, first 2 shown]
	v_lshl_add_u64 v[42:43], v[16:17], 3, s[8:9]
	v_add_u32_e32 v16, 2, v22
	v_lshl_add_u64 v[30:31], v[22:23], 3, s[10:11]
	v_lshl_add_u64 v[44:45], v[16:17], 3, s[10:11]
	v_add_u32_e32 v16, -7, v14
	global_load_dwordx2 v[30:31], v[30:31], off
	s_waitcnt vmcnt(3)
	v_xor_b32_e32 v1, 0x80000000, v29
	global_load_dwordx2 v[32:33], v[32:33], off
	s_waitcnt vmcnt(2)
	v_xor_b32_e32 v15, 0x80000000, v37
	global_load_dwordx2 v[38:39], v[38:39], off
	s_nop 0
	global_load_dwordx2 v[46:47], v[42:43], off
	global_load_dwordx2 v[48:49], v[40:41], off
	;; [unrolled: 1-line block ×3, first 2 shown]
	v_lshl_add_u64 v[40:41], v[16:17], 3, s[8:9]
	v_add_u32_e32 v16, -6, v14
	v_lshl_add_u64 v[42:43], v[16:17], 3, s[8:9]
	v_add_u32_e32 v16, -5, v14
	v_lshl_add_u64 v[44:45], v[16:17], 3, s[8:9]
	v_add_u32_e32 v16, 3, v22
	v_lshl_add_u64 v[52:53], v[16:17], 3, s[10:11]
	v_add_u32_e32 v16, -4, v14
	global_load_dwordx2 v[40:41], v[40:41], off
	s_nop 0
	global_load_dwordx2 v[54:55], v[44:45], off
	global_load_dwordx2 v[56:57], v[42:43], off
	;; [unrolled: 1-line block ×3, first 2 shown]
	v_lshl_add_u64 v[42:43], v[16:17], 3, s[8:9]
	v_add_u32_e32 v16, -3, v14
	v_lshl_add_u64 v[44:45], v[16:17], 3, s[8:9]
	v_add_u32_e32 v16, -2, v14
	global_load_dwordx2 v[42:43], v[42:43], off
	v_lshl_add_u64 v[52:53], v[16:17], 3, s[8:9]
	v_add_u32_e32 v16, 4, v22
	global_load_dwordx2 v[60:61], v[52:53], off
	global_load_dwordx2 v[62:63], v[44:45], off
	v_lshl_add_u64 v[22:23], v[16:17], 3, s[10:11]
	v_add_u32_e32 v16, -1, v14
	v_lshl_add_u64 v[44:45], v[16:17], 3, s[8:9]
	global_load_dwordx2 v[52:53], v[44:45], off
	global_load_dwordx2 v[64:65], v[26:27], off
	;; [unrolled: 1-line block ×3, first 2 shown]
	v_add_u32_e32 v14, 60, v14
	s_waitcnt vmcnt(15)
	v_pk_fma_f32 v[12:13], v[28:29], v[30:31], v[12:13] op_sel:[1,0,0] op_sel_hi:[0,0,1]
	v_mov_b32_e32 v29, v1
	v_pk_fma_f32 v[8:9], v[24:25], v[30:31], v[8:9] op_sel_hi:[1,0,1]
	v_pk_fma_f32 v[10:11], v[36:37], v[30:31], v[10:11] op_sel:[1,0,0] op_sel_hi:[0,0,1]
	v_mov_b32_e32 v37, v15
	v_pk_fma_f32 v[12:13], v[28:29], v[30:31], v[12:13] op_sel:[0,1,0]
	s_waitcnt vmcnt(13)
	v_xor_b32_e32 v1, 0x80000000, v39
	v_pk_fma_f32 v[8:9], v[24:25], v[30:31], v[8:9] op_sel:[1,1,0] op_sel_hi:[0,1,1] neg_lo:[1,0,0]
	v_pk_fma_f32 v[10:11], v[36:37], v[30:31], v[10:11] op_sel:[0,1,0]
	v_pk_fma_f32 v[12:13], v[38:39], v[32:33], v[12:13] op_sel:[1,0,0] op_sel_hi:[0,0,1]
	v_mov_b32_e32 v39, v1
	s_waitcnt vmcnt(11)
	v_xor_b32_e32 v1, 0x80000000, v49
	v_pk_fma_f32 v[8:9], v[34:35], v[32:33], v[8:9] op_sel_hi:[1,0,1]
	v_pk_fma_f32 v[12:13], v[38:39], v[32:33], v[12:13] op_sel:[0,1,0]
	v_pk_fma_f32 v[10:11], v[48:49], v[32:33], v[10:11] op_sel:[1,0,0] op_sel_hi:[0,0,1]
	v_mov_b32_e32 v49, v1
	s_waitcnt vmcnt(9)
	v_xor_b32_e32 v1, 0x80000000, v41
	v_pk_fma_f32 v[8:9], v[34:35], v[32:33], v[8:9] op_sel:[1,1,0] op_sel_hi:[0,1,1] neg_lo:[1,0,0]
	v_pk_fma_f32 v[12:13], v[40:41], v[50:51], v[12:13] op_sel:[1,0,0] op_sel_hi:[0,0,1]
	v_pk_fma_f32 v[10:11], v[48:49], v[32:33], v[10:11] op_sel:[0,1,0]
	v_mov_b32_e32 v41, v1
	s_waitcnt vmcnt(7)
	v_xor_b32_e32 v1, 0x80000000, v57
	v_pk_fma_f32 v[8:9], v[46:47], v[50:51], v[8:9] op_sel_hi:[1,0,1]
	v_pk_fma_f32 v[12:13], v[40:41], v[50:51], v[12:13] op_sel:[0,1,0]
	v_pk_fma_f32 v[10:11], v[56:57], v[50:51], v[10:11] op_sel:[1,0,0] op_sel_hi:[0,0,1]
	v_mov_b32_e32 v57, v1
	s_waitcnt vmcnt(5)
	v_xor_b32_e32 v1, 0x80000000, v43
	v_pk_fma_f32 v[8:9], v[46:47], v[50:51], v[8:9] op_sel:[1,1,0] op_sel_hi:[0,1,1] neg_lo:[1,0,0]
	v_pk_fma_f32 v[12:13], v[42:43], v[58:59], v[12:13] op_sel:[1,0,0] op_sel_hi:[0,0,1]
	v_pk_fma_f32 v[10:11], v[56:57], v[50:51], v[10:11] op_sel:[0,1,0]
	v_mov_b32_e32 v43, v1
	s_waitcnt vmcnt(3)
	v_xor_b32_e32 v1, 0x80000000, v63
	v_pk_fma_f32 v[8:9], v[54:55], v[58:59], v[8:9] op_sel_hi:[1,0,1]
	v_pk_fma_f32 v[10:11], v[62:63], v[58:59], v[10:11] op_sel:[1,0,0] op_sel_hi:[0,0,1]
	v_mov_b32_e32 v63, v1
	v_pk_fma_f32 v[8:9], v[54:55], v[58:59], v[8:9] op_sel:[1,1,0] op_sel_hi:[0,1,1] neg_lo:[1,0,0]
	v_pk_fma_f32 v[12:13], v[42:43], v[58:59], v[12:13] op_sel:[0,1,0]
	s_waitcnt vmcnt(2)
	v_xor_b32_e32 v1, 0x80000000, v53
	v_pk_fma_f32 v[10:11], v[62:63], v[58:59], v[10:11] op_sel:[0,1,0]
	s_waitcnt vmcnt(1)
	v_xor_b32_e32 v15, 0x80000000, v65
	s_waitcnt vmcnt(0)
	v_pk_fma_f32 v[8:9], v[60:61], v[66:67], v[8:9] op_sel_hi:[1,0,1]
	v_pk_fma_f32 v[12:13], v[52:53], v[66:67], v[12:13] op_sel:[1,0,0] op_sel_hi:[0,0,1]
	v_mov_b32_e32 v53, v1
	v_pk_fma_f32 v[10:11], v[64:65], v[66:67], v[10:11] op_sel:[1,0,0] op_sel_hi:[0,0,1]
	v_mov_b32_e32 v65, v15
	v_pk_fma_f32 v[8:9], v[60:61], v[66:67], v[8:9] op_sel:[1,1,0] op_sel_hi:[0,1,1] neg_lo:[1,0,0]
	v_pk_fma_f32 v[12:13], v[52:53], v[66:67], v[12:13] op_sel:[0,1,0]
	v_pk_fma_f32 v[10:11], v[64:65], v[66:67], v[10:11] op_sel:[0,1,0]
	s_andn2_b64 exec, exec, s[14:15]
	s_cbranch_execnz .LBB89_13
; %bb.14:
	s_or_b64 exec, exec, s[14:15]
.LBB89_15:
	s_or_b64 exec, exec, s[4:5]
	s_cbranch_execz .LBB89_19
	s_branch .LBB89_24
.LBB89_16:
	v_mov_b64_e32 v[4:5], s[8:9]
	flat_load_dword v3, v[4:5] offset:4
	s_and_b64 vcc, exec, s[4:5]
	v_mov_b32_e32 v4, s6
	s_cbranch_vccnz .LBB89_4
.LBB89_17:
	v_mov_b64_e32 v[4:5], s[6:7]
	flat_load_dword v4, v[4:5]
	s_and_b64 vcc, exec, s[4:5]
	v_mov_b32_e32 v5, s7
	s_cbranch_vccz .LBB89_5
	s_branch .LBB89_6
.LBB89_18:
                                        ; implicit-def: $vgpr9
                                        ; implicit-def: $vgpr11
                                        ; implicit-def: $vgpr13
.LBB89_19:
	v_mov_b32_e32 v9, 0
	v_mov_b32_e32 v8, v9
	;; [unrolled: 1-line block ×6, first 2 shown]
	s_and_saveexec_b64 s[4:5], s[2:3]
	s_cbranch_execz .LBB89_23
; %bb.20:
	v_mad_u64_u32 v[14:15], s[2:3], v0, 15, 14
	v_mov_b32_e32 v17, 0
	s_mov_b64 s[2:3], 0
	v_mov_b32_e32 v12, v17
	v_mov_b32_e32 v13, v17
	;; [unrolled: 1-line block ×6, first 2 shown]
.LBB89_21:                              ; =>This Inner Loop Header: Depth=1
	v_ashrrev_i32_e32 v1, 31, v0
	v_lshl_add_u64 v[18:19], v[0:1], 2, s[6:7]
	global_load_dword v1, v[18:19], off
	v_add_u32_e32 v16, -14, v14
	v_add_u32_e32 v22, -4, v14
	v_mov_b32_e32 v23, v17
	v_lshl_add_u64 v[26:27], v[16:17], 3, s[8:9]
	v_add_u32_e32 v16, -13, v14
	v_add_u32_e32 v18, -9, v14
	v_mov_b32_e32 v19, v17
	v_lshl_add_u64 v[22:23], v[22:23], 3, s[8:9]
	v_lshl_add_u64 v[30:31], v[16:17], 3, s[8:9]
	;; [unrolled: 1-line block ×3, first 2 shown]
	global_load_dwordx2 v[32:33], v[26:27], off
	global_load_dwordx2 v[34:35], v[18:19], off
	global_load_dwordx2 v[36:37], v[30:31], off
	global_load_dwordx2 v[38:39], v[22:23], off
	v_mov_b32_e32 v25, v17
	v_mov_b32_e32 v15, v17
	v_lshl_add_u64 v[28:29], v[14:15], 3, s[8:9]
	v_add_u32_e32 v0, 4, v0
	v_cmp_ge_i32_e32 vcc, v0, v20
	s_or_b64 s[2:3], vcc, s[2:3]
	s_waitcnt vmcnt(4)
	v_subrev_u32_e32 v1, s12, v1
	v_lshl_add_u32 v24, v1, 2, v1
	v_add_u32_e32 v16, 1, v24
	v_lshl_add_u64 v[22:23], v[16:17], 3, s[10:11]
	v_add_u32_e32 v16, -8, v14
	v_lshl_add_u64 v[26:27], v[16:17], 3, s[8:9]
	v_add_u32_e32 v16, -3, v14
	;; [unrolled: 2-line block ×3, first 2 shown]
	v_lshl_add_u64 v[40:41], v[16:17], 3, s[8:9]
	v_add_u32_e32 v16, 2, v24
	v_lshl_add_u64 v[18:19], v[24:25], 3, s[10:11]
	v_lshl_add_u64 v[42:43], v[16:17], 3, s[10:11]
	v_add_u32_e32 v16, -7, v14
	global_load_dwordx2 v[18:19], v[18:19], off
	s_waitcnt vmcnt(3)
	v_xor_b32_e32 v1, 0x80000000, v35
	global_load_dwordx2 v[22:23], v[22:23], off
	s_waitcnt vmcnt(2)
	v_xor_b32_e32 v15, 0x80000000, v39
	global_load_dwordx2 v[26:27], v[26:27], off
	s_nop 0
	global_load_dwordx2 v[44:45], v[40:41], off
	global_load_dwordx2 v[46:47], v[30:31], off
	;; [unrolled: 1-line block ×3, first 2 shown]
	v_lshl_add_u64 v[30:31], v[16:17], 3, s[8:9]
	v_add_u32_e32 v16, -2, v14
	v_lshl_add_u64 v[40:41], v[16:17], 3, s[8:9]
	v_add_u32_e32 v16, -11, v14
	v_lshl_add_u64 v[42:43], v[16:17], 3, s[8:9]
	v_add_u32_e32 v16, 3, v24
	v_lshl_add_u64 v[50:51], v[16:17], 3, s[10:11]
	v_add_u32_e32 v16, -6, v14
	global_load_dwordx2 v[30:31], v[30:31], off
	s_nop 0
	global_load_dwordx2 v[52:53], v[42:43], off
	global_load_dwordx2 v[54:55], v[40:41], off
	;; [unrolled: 1-line block ×3, first 2 shown]
	v_lshl_add_u64 v[40:41], v[16:17], 3, s[8:9]
	v_add_u32_e32 v16, -1, v14
	v_lshl_add_u64 v[42:43], v[16:17], 3, s[8:9]
	v_add_u32_e32 v16, -10, v14
	global_load_dwordx2 v[40:41], v[40:41], off
	v_lshl_add_u64 v[50:51], v[16:17], 3, s[8:9]
	v_add_u32_e32 v16, 4, v24
	global_load_dwordx2 v[58:59], v[50:51], off
	global_load_dwordx2 v[60:61], v[42:43], off
	v_lshl_add_u64 v[24:25], v[16:17], 3, s[10:11]
	v_add_u32_e32 v16, -5, v14
	v_lshl_add_u64 v[42:43], v[16:17], 3, s[8:9]
	global_load_dwordx2 v[50:51], v[42:43], off
	global_load_dwordx2 v[62:63], v[28:29], off
	;; [unrolled: 1-line block ×3, first 2 shown]
	v_add_u32_e32 v14, 60, v14
	s_waitcnt vmcnt(15)
	v_pk_fma_f32 v[12:13], v[34:35], v[18:19], v[12:13] op_sel:[1,0,0] op_sel_hi:[0,0,1]
	v_mov_b32_e32 v35, v1
	v_pk_fma_f32 v[8:9], v[32:33], v[18:19], v[8:9] op_sel_hi:[1,0,1]
	v_pk_fma_f32 v[10:11], v[38:39], v[18:19], v[10:11] op_sel:[1,0,0] op_sel_hi:[0,0,1]
	v_mov_b32_e32 v39, v15
	v_pk_fma_f32 v[12:13], v[34:35], v[18:19], v[12:13] op_sel:[0,1,0]
	s_waitcnt vmcnt(13)
	v_xor_b32_e32 v1, 0x80000000, v27
	v_pk_fma_f32 v[8:9], v[32:33], v[18:19], v[8:9] op_sel:[1,1,0] op_sel_hi:[0,1,1] neg_lo:[1,0,0]
	v_pk_fma_f32 v[10:11], v[38:39], v[18:19], v[10:11] op_sel:[0,1,0]
	v_pk_fma_f32 v[12:13], v[26:27], v[22:23], v[12:13] op_sel:[1,0,0] op_sel_hi:[0,0,1]
	v_mov_b32_e32 v27, v1
	s_waitcnt vmcnt(11)
	v_xor_b32_e32 v1, 0x80000000, v47
	v_pk_fma_f32 v[8:9], v[36:37], v[22:23], v[8:9] op_sel_hi:[1,0,1]
	v_pk_fma_f32 v[12:13], v[26:27], v[22:23], v[12:13] op_sel:[0,1,0]
	v_pk_fma_f32 v[10:11], v[46:47], v[22:23], v[10:11] op_sel:[1,0,0] op_sel_hi:[0,0,1]
	v_mov_b32_e32 v47, v1
	s_waitcnt vmcnt(9)
	v_xor_b32_e32 v1, 0x80000000, v31
	v_pk_fma_f32 v[8:9], v[36:37], v[22:23], v[8:9] op_sel:[1,1,0] op_sel_hi:[0,1,1] neg_lo:[1,0,0]
	v_pk_fma_f32 v[12:13], v[30:31], v[48:49], v[12:13] op_sel:[1,0,0] op_sel_hi:[0,0,1]
	v_pk_fma_f32 v[10:11], v[46:47], v[22:23], v[10:11] op_sel:[0,1,0]
	v_mov_b32_e32 v31, v1
	s_waitcnt vmcnt(7)
	v_xor_b32_e32 v1, 0x80000000, v55
	v_pk_fma_f32 v[8:9], v[44:45], v[48:49], v[8:9] op_sel_hi:[1,0,1]
	v_pk_fma_f32 v[12:13], v[30:31], v[48:49], v[12:13] op_sel:[0,1,0]
	v_pk_fma_f32 v[10:11], v[54:55], v[48:49], v[10:11] op_sel:[1,0,0] op_sel_hi:[0,0,1]
	v_mov_b32_e32 v55, v1
	s_waitcnt vmcnt(5)
	v_xor_b32_e32 v1, 0x80000000, v41
	v_pk_fma_f32 v[8:9], v[44:45], v[48:49], v[8:9] op_sel:[1,1,0] op_sel_hi:[0,1,1] neg_lo:[1,0,0]
	v_pk_fma_f32 v[12:13], v[40:41], v[56:57], v[12:13] op_sel:[1,0,0] op_sel_hi:[0,0,1]
	v_pk_fma_f32 v[10:11], v[54:55], v[48:49], v[10:11] op_sel:[0,1,0]
	v_mov_b32_e32 v41, v1
	s_waitcnt vmcnt(3)
	v_xor_b32_e32 v1, 0x80000000, v61
	v_pk_fma_f32 v[8:9], v[52:53], v[56:57], v[8:9] op_sel_hi:[1,0,1]
	v_pk_fma_f32 v[10:11], v[60:61], v[56:57], v[10:11] op_sel:[1,0,0] op_sel_hi:[0,0,1]
	v_mov_b32_e32 v61, v1
	v_pk_fma_f32 v[8:9], v[52:53], v[56:57], v[8:9] op_sel:[1,1,0] op_sel_hi:[0,1,1] neg_lo:[1,0,0]
	v_pk_fma_f32 v[12:13], v[40:41], v[56:57], v[12:13] op_sel:[0,1,0]
	s_waitcnt vmcnt(2)
	v_xor_b32_e32 v1, 0x80000000, v51
	v_pk_fma_f32 v[10:11], v[60:61], v[56:57], v[10:11] op_sel:[0,1,0]
	s_waitcnt vmcnt(1)
	v_xor_b32_e32 v15, 0x80000000, v63
	s_waitcnt vmcnt(0)
	v_pk_fma_f32 v[8:9], v[58:59], v[64:65], v[8:9] op_sel_hi:[1,0,1]
	v_pk_fma_f32 v[12:13], v[50:51], v[64:65], v[12:13] op_sel:[1,0,0] op_sel_hi:[0,0,1]
	v_mov_b32_e32 v51, v1
	v_pk_fma_f32 v[10:11], v[62:63], v[64:65], v[10:11] op_sel:[1,0,0] op_sel_hi:[0,0,1]
	v_mov_b32_e32 v63, v15
	v_pk_fma_f32 v[8:9], v[58:59], v[64:65], v[8:9] op_sel:[1,1,0] op_sel_hi:[0,1,1] neg_lo:[1,0,0]
	v_pk_fma_f32 v[12:13], v[50:51], v[64:65], v[12:13] op_sel:[0,1,0]
	v_pk_fma_f32 v[10:11], v[62:63], v[64:65], v[10:11] op_sel:[0,1,0]
	s_andn2_b64 exec, exec, s[2:3]
	s_cbranch_execnz .LBB89_21
; %bb.22:
	s_or_b64 exec, exec, s[2:3]
.LBB89_23:
	s_or_b64 exec, exec, s[4:5]
.LBB89_24:
	v_mov_b32_dpp v15, v12 row_shr:1 row_mask:0xf bank_mask:0xf
	v_mov_b32_dpp v0, v8 row_shr:1 row_mask:0xf bank_mask:0xf
	v_add_f32_e32 v15, v12, v15
	v_mov_b32_dpp v12, v11 row_shr:1 row_mask:0xf bank_mask:0xf
	v_add_f32_e32 v0, v8, v0
	v_mov_b32_dpp v8, v9 row_shr:1 row_mask:0xf bank_mask:0xf
	v_mov_b32_dpp v14, v13 row_shr:1 row_mask:0xf bank_mask:0xf
	v_add_f32_e32 v11, v11, v12
	v_mov_b32_dpp v12, v10 row_shr:1 row_mask:0xf bank_mask:0xf
	v_add_f32_e32 v8, v9, v8
	v_add_f32_e32 v13, v13, v14
	;; [unrolled: 1-line block ×3, first 2 shown]
	v_mov_b32_dpp v1, v0 row_shr:2 row_mask:0xf bank_mask:0xf
	v_mov_b32_dpp v9, v8 row_shr:2 row_mask:0xf bank_mask:0xf
	;; [unrolled: 1-line block ×6, first 2 shown]
	v_cmp_eq_u32_e32 vcc, 3, v7
	s_and_b64 exec, exec, vcc
	s_cbranch_execz .LBB89_29
; %bb.25:
	s_load_dwordx2 s[2:3], s[0:1], 0x38
	v_add_f32_e32 v12, v0, v1
	v_and_b32_e32 v1, 0x7fffffff, v4
	v_cmp_eq_u32_e32 vcc, 0, v1
	v_cmp_eq_f32_e64 s[0:1], 0, v5
	v_add_f32_e32 v16, v8, v9
	v_add_f32_e32 v10, v13, v14
	;; [unrolled: 1-line block ×5, first 2 shown]
	s_and_b64 s[0:1], vcc, s[0:1]
	s_and_saveexec_b64 s[4:5], s[0:1]
	s_xor_b64 s[0:1], exec, s[4:5]
	s_cbranch_execz .LBB89_27
; %bb.26:
	v_lshl_add_u32 v4, v6, 1, v6
	v_xor_b32_e32 v18, 0x80000000, v3
	v_ashrrev_i32_e32 v5, 31, v4
	v_mov_b32_e32 v19, v2
	s_waitcnt lgkmcnt(0)
	v_lshl_add_u64 v[20:21], v[4:5], 3, s[2:3]
	v_pk_mul_f32 v[4:5], v[16:17], v[18:19] op_sel_hi:[0,1]
	v_pk_mul_f32 v[6:7], v[14:15], v[18:19] op_sel_hi:[0,1]
	v_pk_fma_f32 v[4:5], v[2:3], v[12:13], v[4:5] op_sel_hi:[1,0,1]
	v_pk_fma_f32 v[6:7], v[2:3], v[10:11], v[6:7] op_sel_hi:[1,0,1]
	global_store_dwordx4 v[20:21], v[4:7], off
                                        ; implicit-def: $vgpr6
                                        ; implicit-def: $vgpr12
                                        ; implicit-def: $vgpr16
                                        ; implicit-def: $vgpr10
                                        ; implicit-def: $vgpr14
	s_nop 1
	v_pk_mul_f32 v[4:5], v[8:9], v[18:19] op_sel_hi:[0,1]
	v_pk_fma_f32 v[0:1], v[2:3], v[0:1], v[4:5] op_sel_hi:[1,0,1]
	global_store_dwordx2 v[20:21], v[0:1], off offset:16
                                        ; implicit-def: $vgpr3
                                        ; implicit-def: $vgpr4
                                        ; implicit-def: $vgpr0
                                        ; implicit-def: $vgpr8
.LBB89_27:
	s_andn2_saveexec_b64 s[0:1], s[0:1]
	s_cbranch_execz .LBB89_29
; %bb.28:
	v_lshl_add_u32 v6, v6, 1, v6
	v_ashrrev_i32_e32 v7, 31, v6
	s_waitcnt lgkmcnt(0)
	v_lshl_add_u64 v[6:7], v[6:7], 3, s[2:3]
	global_load_dwordx4 v[18:21], v[6:7], off
	global_load_dwordx2 v[22:23], v[6:7], off offset:16
	v_xor_b32_e32 v24, 0x80000000, v3
	v_mov_b32_e32 v25, v2
	v_pk_mul_f32 v[16:17], v[16:17], v[24:25] op_sel_hi:[0,1]
	v_pk_mul_f32 v[14:15], v[14:15], v[24:25] op_sel_hi:[0,1]
	;; [unrolled: 1-line block ×3, first 2 shown]
	v_pk_fma_f32 v[12:13], v[2:3], v[12:13], v[16:17] op_sel_hi:[1,0,1]
	v_pk_fma_f32 v[10:11], v[2:3], v[10:11], v[14:15] op_sel_hi:[1,0,1]
	v_xor_b32_e32 v26, 0x80000000, v5
	v_mov_b32_e32 v27, v4
	v_pk_fma_f32 v[0:1], v[2:3], v[0:1], v[8:9] op_sel_hi:[1,0,1]
	s_waitcnt vmcnt(1)
	v_pk_fma_f32 v[2:3], v[4:5], v[18:19], v[12:13] op_sel_hi:[1,0,1]
	v_pk_fma_f32 v[8:9], v[4:5], v[20:21], v[10:11] op_sel_hi:[1,0,1]
	v_mov_b32_e32 v10, v21
	s_waitcnt vmcnt(0)
	v_pk_fma_f32 v[4:5], v[4:5], v[22:23], v[0:1] op_sel_hi:[1,0,1]
	v_pk_fma_f32 v[0:1], v[26:27], v[18:19], v[2:3] op_sel:[0,1,0]
	v_pk_fma_f32 v[2:3], v[26:27], v[10:11], v[8:9] op_sel_hi:[1,0,1]
	v_pk_fma_f32 v[4:5], v[26:27], v[22:23], v[4:5] op_sel:[0,1,0]
	global_store_dwordx4 v[6:7], v[0:3], off
	global_store_dwordx2 v[6:7], v[4:5], off offset:16
.LBB89_29:
	s_endpgm
	.section	.rodata,"a",@progbits
	.p2align	6, 0x0
	.amdhsa_kernel _ZN9rocsparseL19gebsrmvn_3xn_kernelILj128ELj5ELj4E21rocsparse_complex_numIfEEEvi20rocsparse_direction_NS_24const_host_device_scalarIT2_EEPKiS8_PKS5_SA_S6_PS5_21rocsparse_index_base_b
		.amdhsa_group_segment_fixed_size 0
		.amdhsa_private_segment_fixed_size 0
		.amdhsa_kernarg_size 72
		.amdhsa_user_sgpr_count 2
		.amdhsa_user_sgpr_dispatch_ptr 0
		.amdhsa_user_sgpr_queue_ptr 0
		.amdhsa_user_sgpr_kernarg_segment_ptr 1
		.amdhsa_user_sgpr_dispatch_id 0
		.amdhsa_user_sgpr_kernarg_preload_length 0
		.amdhsa_user_sgpr_kernarg_preload_offset 0
		.amdhsa_user_sgpr_private_segment_size 0
		.amdhsa_uses_dynamic_stack 0
		.amdhsa_enable_private_segment 0
		.amdhsa_system_sgpr_workgroup_id_x 1
		.amdhsa_system_sgpr_workgroup_id_y 0
		.amdhsa_system_sgpr_workgroup_id_z 0
		.amdhsa_system_sgpr_workgroup_info 0
		.amdhsa_system_vgpr_workitem_id 0
		.amdhsa_next_free_vgpr 68
		.amdhsa_next_free_sgpr 16
		.amdhsa_accum_offset 68
		.amdhsa_reserve_vcc 1
		.amdhsa_float_round_mode_32 0
		.amdhsa_float_round_mode_16_64 0
		.amdhsa_float_denorm_mode_32 3
		.amdhsa_float_denorm_mode_16_64 3
		.amdhsa_dx10_clamp 1
		.amdhsa_ieee_mode 1
		.amdhsa_fp16_overflow 0
		.amdhsa_tg_split 0
		.amdhsa_exception_fp_ieee_invalid_op 0
		.amdhsa_exception_fp_denorm_src 0
		.amdhsa_exception_fp_ieee_div_zero 0
		.amdhsa_exception_fp_ieee_overflow 0
		.amdhsa_exception_fp_ieee_underflow 0
		.amdhsa_exception_fp_ieee_inexact 0
		.amdhsa_exception_int_div_zero 0
	.end_amdhsa_kernel
	.section	.text._ZN9rocsparseL19gebsrmvn_3xn_kernelILj128ELj5ELj4E21rocsparse_complex_numIfEEEvi20rocsparse_direction_NS_24const_host_device_scalarIT2_EEPKiS8_PKS5_SA_S6_PS5_21rocsparse_index_base_b,"axG",@progbits,_ZN9rocsparseL19gebsrmvn_3xn_kernelILj128ELj5ELj4E21rocsparse_complex_numIfEEEvi20rocsparse_direction_NS_24const_host_device_scalarIT2_EEPKiS8_PKS5_SA_S6_PS5_21rocsparse_index_base_b,comdat
.Lfunc_end89:
	.size	_ZN9rocsparseL19gebsrmvn_3xn_kernelILj128ELj5ELj4E21rocsparse_complex_numIfEEEvi20rocsparse_direction_NS_24const_host_device_scalarIT2_EEPKiS8_PKS5_SA_S6_PS5_21rocsparse_index_base_b, .Lfunc_end89-_ZN9rocsparseL19gebsrmvn_3xn_kernelILj128ELj5ELj4E21rocsparse_complex_numIfEEEvi20rocsparse_direction_NS_24const_host_device_scalarIT2_EEPKiS8_PKS5_SA_S6_PS5_21rocsparse_index_base_b
                                        ; -- End function
	.section	.AMDGPU.csdata,"",@progbits
; Kernel info:
; codeLenInByte = 2800
; NumSgprs: 22
; NumVgprs: 68
; NumAgprs: 0
; TotalNumVgprs: 68
; ScratchSize: 0
; MemoryBound: 0
; FloatMode: 240
; IeeeMode: 1
; LDSByteSize: 0 bytes/workgroup (compile time only)
; SGPRBlocks: 2
; VGPRBlocks: 8
; NumSGPRsForWavesPerEU: 22
; NumVGPRsForWavesPerEU: 68
; AccumOffset: 68
; Occupancy: 7
; WaveLimiterHint : 1
; COMPUTE_PGM_RSRC2:SCRATCH_EN: 0
; COMPUTE_PGM_RSRC2:USER_SGPR: 2
; COMPUTE_PGM_RSRC2:TRAP_HANDLER: 0
; COMPUTE_PGM_RSRC2:TGID_X_EN: 1
; COMPUTE_PGM_RSRC2:TGID_Y_EN: 0
; COMPUTE_PGM_RSRC2:TGID_Z_EN: 0
; COMPUTE_PGM_RSRC2:TIDIG_COMP_CNT: 0
; COMPUTE_PGM_RSRC3_GFX90A:ACCUM_OFFSET: 16
; COMPUTE_PGM_RSRC3_GFX90A:TG_SPLIT: 0
	.section	.text._ZN9rocsparseL19gebsrmvn_3xn_kernelILj128ELj5ELj8E21rocsparse_complex_numIfEEEvi20rocsparse_direction_NS_24const_host_device_scalarIT2_EEPKiS8_PKS5_SA_S6_PS5_21rocsparse_index_base_b,"axG",@progbits,_ZN9rocsparseL19gebsrmvn_3xn_kernelILj128ELj5ELj8E21rocsparse_complex_numIfEEEvi20rocsparse_direction_NS_24const_host_device_scalarIT2_EEPKiS8_PKS5_SA_S6_PS5_21rocsparse_index_base_b,comdat
	.globl	_ZN9rocsparseL19gebsrmvn_3xn_kernelILj128ELj5ELj8E21rocsparse_complex_numIfEEEvi20rocsparse_direction_NS_24const_host_device_scalarIT2_EEPKiS8_PKS5_SA_S6_PS5_21rocsparse_index_base_b ; -- Begin function _ZN9rocsparseL19gebsrmvn_3xn_kernelILj128ELj5ELj8E21rocsparse_complex_numIfEEEvi20rocsparse_direction_NS_24const_host_device_scalarIT2_EEPKiS8_PKS5_SA_S6_PS5_21rocsparse_index_base_b
	.p2align	8
	.type	_ZN9rocsparseL19gebsrmvn_3xn_kernelILj128ELj5ELj8E21rocsparse_complex_numIfEEEvi20rocsparse_direction_NS_24const_host_device_scalarIT2_EEPKiS8_PKS5_SA_S6_PS5_21rocsparse_index_base_b,@function
_ZN9rocsparseL19gebsrmvn_3xn_kernelILj128ELj5ELj8E21rocsparse_complex_numIfEEEvi20rocsparse_direction_NS_24const_host_device_scalarIT2_EEPKiS8_PKS5_SA_S6_PS5_21rocsparse_index_base_b: ; @_ZN9rocsparseL19gebsrmvn_3xn_kernelILj128ELj5ELj8E21rocsparse_complex_numIfEEEvi20rocsparse_direction_NS_24const_host_device_scalarIT2_EEPKiS8_PKS5_SA_S6_PS5_21rocsparse_index_base_b
; %bb.0:
	s_load_dwordx2 s[12:13], s[0:1], 0x40
	s_load_dwordx2 s[8:9], s[0:1], 0x8
	;; [unrolled: 1-line block ×3, first 2 shown]
	s_waitcnt lgkmcnt(0)
	s_bitcmp1_b32 s13, 0
	s_cselect_b64 s[4:5], -1, 0
	s_xor_b64 s[10:11], s[4:5], -1
	s_and_b64 vcc, exec, s[4:5]
	v_mov_b32_e32 v2, s8
	s_cbranch_vccnz .LBB90_2
; %bb.1:
	v_mov_b64_e32 v[2:3], s[8:9]
	flat_load_dword v2, v[2:3]
.LBB90_2:
	v_cndmask_b32_e64 v1, 0, 1, s[10:11]
	v_cmp_ne_u32_e64 s[4:5], 1, v1
	s_andn2_b64 vcc, exec, s[10:11]
	v_mov_b32_e32 v3, s9
	s_cbranch_vccz .LBB90_16
; %bb.3:
	s_and_b64 vcc, exec, s[4:5]
	v_mov_b32_e32 v4, s6
	s_cbranch_vccz .LBB90_17
.LBB90_4:
	s_and_b64 vcc, exec, s[4:5]
	v_mov_b32_e32 v5, s7
	s_cbranch_vccnz .LBB90_6
.LBB90_5:
	v_mov_b64_e32 v[6:7], s[6:7]
	flat_load_dword v5, v[6:7] offset:4
.LBB90_6:
	s_waitcnt vmcnt(0) lgkmcnt(0)
	v_and_b32_e32 v1, 0x7fffffff, v2
	v_cmp_eq_u32_e32 vcc, 0, v1
	v_cmp_eq_f32_e64 s[4:5], 0, v3
	s_and_b64 s[8:9], vcc, s[4:5]
	s_mov_b64 s[4:5], -1
	s_and_saveexec_b64 s[6:7], s[8:9]
; %bb.7:
	v_and_b32_e32 v1, 0x7fffffff, v5
	v_cmp_neq_f32_e32 vcc, 1.0, v4
	v_cmp_ne_u32_e64 s[4:5], 0, v1
	s_or_b64 s[4:5], vcc, s[4:5]
	s_orn2_b64 s[4:5], s[4:5], exec
; %bb.8:
	s_or_b64 exec, exec, s[6:7]
	s_and_saveexec_b64 s[6:7], s[4:5]
	s_cbranch_execz .LBB90_29
; %bb.9:
	s_load_dwordx2 s[14:15], s[0:1], 0x0
	v_lshrrev_b32_e32 v1, 3, v0
	v_lshl_or_b32 v6, s2, 4, v1
	s_waitcnt lgkmcnt(0)
	v_cmp_gt_i32_e32 vcc, s14, v6
	s_and_b64 exec, exec, vcc
	s_cbranch_execz .LBB90_29
; %bb.10:
	s_load_dwordx8 s[4:11], s[0:1], 0x10
	v_ashrrev_i32_e32 v7, 31, v6
	s_cmp_lg_u32 s15, 0
	s_waitcnt lgkmcnt(0)
	v_lshl_add_u64 v[8:9], v[6:7], 2, s[4:5]
	global_load_dwordx2 v[8:9], v[8:9], off
	v_and_b32_e32 v7, 7, v0
	s_waitcnt vmcnt(0)
	v_subrev_u32_e32 v0, s12, v8
	v_subrev_u32_e32 v20, s12, v9
	v_add_u32_e32 v0, v0, v7
	v_cmp_lt_i32_e64 s[2:3], v0, v20
	s_cbranch_scc0 .LBB90_18
; %bb.11:
	v_mov_b32_e32 v11, 0
	v_mov_b32_e32 v10, v11
	;; [unrolled: 1-line block ×6, first 2 shown]
	s_and_saveexec_b64 s[4:5], s[2:3]
	s_cbranch_execz .LBB90_15
; %bb.12:
	v_mad_u64_u32 v[14:15], s[14:15], v0, 15, 14
	v_mov_b32_e32 v17, 0
	s_mov_b64 s[14:15], 0
	v_mov_b32_e32 v18, v0
	v_mov_b32_e32 v12, v17
	;; [unrolled: 1-line block ×7, first 2 shown]
.LBB90_13:                              ; =>This Inner Loop Header: Depth=1
	v_ashrrev_i32_e32 v19, 31, v18
	v_lshl_add_u64 v[22:23], v[18:19], 2, s[6:7]
	global_load_dword v1, v[22:23], off
	v_add_u32_e32 v16, -14, v14
	v_lshl_add_u64 v[24:25], v[16:17], 3, s[8:9]
	v_add_u32_e32 v16, -13, v14
	v_lshl_add_u64 v[28:29], v[16:17], 3, s[8:9]
	;; [unrolled: 2-line block ×4, first 2 shown]
	global_load_dwordx2 v[24:25], v[24:25], off
	v_mov_b32_e32 v23, v17
	global_load_dwordx2 v[28:29], v[28:29], off
	s_nop 0
	global_load_dwordx2 v[34:35], v[32:33], off
	global_load_dwordx2 v[36:37], v[30:31], off
	v_mov_b32_e32 v15, v17
	v_lshl_add_u64 v[26:27], v[14:15], 3, s[8:9]
	v_add_u32_e32 v18, 8, v18
	v_cmp_ge_i32_e32 vcc, v18, v20
	s_or_b64 s[14:15], vcc, s[14:15]
	s_waitcnt vmcnt(4)
	v_subrev_u32_e32 v1, s12, v1
	v_lshl_add_u32 v22, v1, 2, v1
	v_add_u32_e32 v16, 1, v22
	v_lshl_add_u64 v[32:33], v[16:17], 3, s[10:11]
	v_add_u32_e32 v16, -10, v14
	v_lshl_add_u64 v[38:39], v[16:17], 3, s[8:9]
	v_add_u32_e32 v16, -9, v14
	;; [unrolled: 2-line block ×3, first 2 shown]
	v_lshl_add_u64 v[42:43], v[16:17], 3, s[8:9]
	v_add_u32_e32 v16, 2, v22
	v_lshl_add_u64 v[30:31], v[22:23], 3, s[10:11]
	v_lshl_add_u64 v[44:45], v[16:17], 3, s[10:11]
	v_add_u32_e32 v16, -7, v14
	global_load_dwordx2 v[30:31], v[30:31], off
	s_waitcnt vmcnt(3)
	v_xor_b32_e32 v1, 0x80000000, v29
	global_load_dwordx2 v[32:33], v[32:33], off
	s_waitcnt vmcnt(2)
	v_xor_b32_e32 v15, 0x80000000, v37
	global_load_dwordx2 v[38:39], v[38:39], off
	s_nop 0
	global_load_dwordx2 v[46:47], v[42:43], off
	global_load_dwordx2 v[48:49], v[40:41], off
	global_load_dwordx2 v[50:51], v[44:45], off
	v_lshl_add_u64 v[40:41], v[16:17], 3, s[8:9]
	v_add_u32_e32 v16, -6, v14
	v_lshl_add_u64 v[42:43], v[16:17], 3, s[8:9]
	v_add_u32_e32 v16, -5, v14
	v_lshl_add_u64 v[44:45], v[16:17], 3, s[8:9]
	v_add_u32_e32 v16, 3, v22
	v_lshl_add_u64 v[52:53], v[16:17], 3, s[10:11]
	v_add_u32_e32 v16, -4, v14
	global_load_dwordx2 v[40:41], v[40:41], off
	s_nop 0
	global_load_dwordx2 v[54:55], v[44:45], off
	global_load_dwordx2 v[56:57], v[42:43], off
	;; [unrolled: 1-line block ×3, first 2 shown]
	v_lshl_add_u64 v[42:43], v[16:17], 3, s[8:9]
	v_add_u32_e32 v16, -3, v14
	v_lshl_add_u64 v[44:45], v[16:17], 3, s[8:9]
	v_add_u32_e32 v16, -2, v14
	global_load_dwordx2 v[42:43], v[42:43], off
	v_lshl_add_u64 v[52:53], v[16:17], 3, s[8:9]
	v_add_u32_e32 v16, 4, v22
	global_load_dwordx2 v[60:61], v[52:53], off
	global_load_dwordx2 v[62:63], v[44:45], off
	v_lshl_add_u64 v[22:23], v[16:17], 3, s[10:11]
	v_add_u32_e32 v16, -1, v14
	v_lshl_add_u64 v[44:45], v[16:17], 3, s[8:9]
	global_load_dwordx2 v[52:53], v[44:45], off
	global_load_dwordx2 v[64:65], v[26:27], off
	;; [unrolled: 1-line block ×3, first 2 shown]
	v_add_u32_e32 v14, 0x78, v14
	s_waitcnt vmcnt(15)
	v_pk_fma_f32 v[12:13], v[28:29], v[30:31], v[12:13] op_sel:[1,0,0] op_sel_hi:[0,0,1]
	v_mov_b32_e32 v29, v1
	v_pk_fma_f32 v[10:11], v[24:25], v[30:31], v[10:11] op_sel_hi:[1,0,1]
	v_pk_fma_f32 v[8:9], v[36:37], v[30:31], v[8:9] op_sel:[1,0,0] op_sel_hi:[0,0,1]
	v_mov_b32_e32 v37, v15
	v_pk_fma_f32 v[12:13], v[28:29], v[30:31], v[12:13] op_sel:[0,1,0]
	s_waitcnt vmcnt(13)
	v_xor_b32_e32 v1, 0x80000000, v39
	v_pk_fma_f32 v[10:11], v[24:25], v[30:31], v[10:11] op_sel:[1,1,0] op_sel_hi:[0,1,1] neg_lo:[1,0,0]
	v_pk_fma_f32 v[8:9], v[36:37], v[30:31], v[8:9] op_sel:[0,1,0]
	v_pk_fma_f32 v[12:13], v[38:39], v[32:33], v[12:13] op_sel:[1,0,0] op_sel_hi:[0,0,1]
	v_mov_b32_e32 v39, v1
	s_waitcnt vmcnt(11)
	v_xor_b32_e32 v1, 0x80000000, v49
	v_pk_fma_f32 v[10:11], v[34:35], v[32:33], v[10:11] op_sel_hi:[1,0,1]
	v_pk_fma_f32 v[12:13], v[38:39], v[32:33], v[12:13] op_sel:[0,1,0]
	v_pk_fma_f32 v[8:9], v[48:49], v[32:33], v[8:9] op_sel:[1,0,0] op_sel_hi:[0,0,1]
	v_mov_b32_e32 v49, v1
	s_waitcnt vmcnt(9)
	v_xor_b32_e32 v1, 0x80000000, v41
	v_pk_fma_f32 v[10:11], v[34:35], v[32:33], v[10:11] op_sel:[1,1,0] op_sel_hi:[0,1,1] neg_lo:[1,0,0]
	v_pk_fma_f32 v[12:13], v[40:41], v[50:51], v[12:13] op_sel:[1,0,0] op_sel_hi:[0,0,1]
	v_pk_fma_f32 v[8:9], v[48:49], v[32:33], v[8:9] op_sel:[0,1,0]
	v_mov_b32_e32 v41, v1
	s_waitcnt vmcnt(7)
	v_xor_b32_e32 v1, 0x80000000, v57
	v_pk_fma_f32 v[10:11], v[46:47], v[50:51], v[10:11] op_sel_hi:[1,0,1]
	v_pk_fma_f32 v[12:13], v[40:41], v[50:51], v[12:13] op_sel:[0,1,0]
	v_pk_fma_f32 v[8:9], v[56:57], v[50:51], v[8:9] op_sel:[1,0,0] op_sel_hi:[0,0,1]
	v_mov_b32_e32 v57, v1
	s_waitcnt vmcnt(5)
	v_xor_b32_e32 v1, 0x80000000, v43
	v_pk_fma_f32 v[10:11], v[46:47], v[50:51], v[10:11] op_sel:[1,1,0] op_sel_hi:[0,1,1] neg_lo:[1,0,0]
	v_pk_fma_f32 v[12:13], v[42:43], v[58:59], v[12:13] op_sel:[1,0,0] op_sel_hi:[0,0,1]
	v_pk_fma_f32 v[8:9], v[56:57], v[50:51], v[8:9] op_sel:[0,1,0]
	v_mov_b32_e32 v43, v1
	s_waitcnt vmcnt(3)
	v_xor_b32_e32 v1, 0x80000000, v63
	v_pk_fma_f32 v[10:11], v[54:55], v[58:59], v[10:11] op_sel_hi:[1,0,1]
	v_pk_fma_f32 v[8:9], v[62:63], v[58:59], v[8:9] op_sel:[1,0,0] op_sel_hi:[0,0,1]
	v_mov_b32_e32 v63, v1
	v_pk_fma_f32 v[10:11], v[54:55], v[58:59], v[10:11] op_sel:[1,1,0] op_sel_hi:[0,1,1] neg_lo:[1,0,0]
	v_pk_fma_f32 v[12:13], v[42:43], v[58:59], v[12:13] op_sel:[0,1,0]
	s_waitcnt vmcnt(2)
	v_xor_b32_e32 v1, 0x80000000, v53
	v_pk_fma_f32 v[8:9], v[62:63], v[58:59], v[8:9] op_sel:[0,1,0]
	s_waitcnt vmcnt(1)
	v_xor_b32_e32 v15, 0x80000000, v65
	s_waitcnt vmcnt(0)
	v_pk_fma_f32 v[10:11], v[60:61], v[66:67], v[10:11] op_sel_hi:[1,0,1]
	v_pk_fma_f32 v[12:13], v[52:53], v[66:67], v[12:13] op_sel:[1,0,0] op_sel_hi:[0,0,1]
	v_mov_b32_e32 v53, v1
	v_pk_fma_f32 v[8:9], v[64:65], v[66:67], v[8:9] op_sel:[1,0,0] op_sel_hi:[0,0,1]
	v_mov_b32_e32 v65, v15
	v_pk_fma_f32 v[10:11], v[60:61], v[66:67], v[10:11] op_sel:[1,1,0] op_sel_hi:[0,1,1] neg_lo:[1,0,0]
	v_pk_fma_f32 v[12:13], v[52:53], v[66:67], v[12:13] op_sel:[0,1,0]
	v_pk_fma_f32 v[8:9], v[64:65], v[66:67], v[8:9] op_sel:[0,1,0]
	s_andn2_b64 exec, exec, s[14:15]
	s_cbranch_execnz .LBB90_13
; %bb.14:
	s_or_b64 exec, exec, s[14:15]
.LBB90_15:
	s_or_b64 exec, exec, s[4:5]
	s_cbranch_execz .LBB90_19
	s_branch .LBB90_24
.LBB90_16:
	v_mov_b64_e32 v[4:5], s[8:9]
	flat_load_dword v3, v[4:5] offset:4
	s_and_b64 vcc, exec, s[4:5]
	v_mov_b32_e32 v4, s6
	s_cbranch_vccnz .LBB90_4
.LBB90_17:
	v_mov_b64_e32 v[4:5], s[6:7]
	flat_load_dword v4, v[4:5]
	s_and_b64 vcc, exec, s[4:5]
	v_mov_b32_e32 v5, s7
	s_cbranch_vccz .LBB90_5
	s_branch .LBB90_6
.LBB90_18:
                                        ; implicit-def: $vgpr11
                                        ; implicit-def: $vgpr9
                                        ; implicit-def: $vgpr13
.LBB90_19:
	v_mov_b32_e32 v11, 0
	v_mov_b32_e32 v10, v11
	;; [unrolled: 1-line block ×6, first 2 shown]
	s_and_saveexec_b64 s[4:5], s[2:3]
	s_cbranch_execz .LBB90_23
; %bb.20:
	v_mad_u64_u32 v[14:15], s[2:3], v0, 15, 14
	v_mov_b32_e32 v17, 0
	s_mov_b64 s[2:3], 0
	v_mov_b32_e32 v12, v17
	v_mov_b32_e32 v13, v17
	;; [unrolled: 1-line block ×6, first 2 shown]
.LBB90_21:                              ; =>This Inner Loop Header: Depth=1
	v_ashrrev_i32_e32 v1, 31, v0
	v_lshl_add_u64 v[18:19], v[0:1], 2, s[6:7]
	global_load_dword v1, v[18:19], off
	v_add_u32_e32 v16, -14, v14
	v_add_u32_e32 v22, -4, v14
	v_mov_b32_e32 v23, v17
	v_lshl_add_u64 v[26:27], v[16:17], 3, s[8:9]
	v_add_u32_e32 v16, -13, v14
	v_add_u32_e32 v18, -9, v14
	v_mov_b32_e32 v19, v17
	v_lshl_add_u64 v[22:23], v[22:23], 3, s[8:9]
	v_lshl_add_u64 v[30:31], v[16:17], 3, s[8:9]
	;; [unrolled: 1-line block ×3, first 2 shown]
	global_load_dwordx2 v[32:33], v[26:27], off
	global_load_dwordx2 v[34:35], v[18:19], off
	;; [unrolled: 1-line block ×4, first 2 shown]
	v_mov_b32_e32 v25, v17
	v_mov_b32_e32 v15, v17
	v_lshl_add_u64 v[28:29], v[14:15], 3, s[8:9]
	v_add_u32_e32 v0, 8, v0
	v_cmp_ge_i32_e32 vcc, v0, v20
	s_or_b64 s[2:3], vcc, s[2:3]
	s_waitcnt vmcnt(4)
	v_subrev_u32_e32 v1, s12, v1
	v_lshl_add_u32 v24, v1, 2, v1
	v_add_u32_e32 v16, 1, v24
	v_lshl_add_u64 v[22:23], v[16:17], 3, s[10:11]
	v_add_u32_e32 v16, -8, v14
	v_lshl_add_u64 v[26:27], v[16:17], 3, s[8:9]
	v_add_u32_e32 v16, -3, v14
	;; [unrolled: 2-line block ×3, first 2 shown]
	v_lshl_add_u64 v[40:41], v[16:17], 3, s[8:9]
	v_add_u32_e32 v16, 2, v24
	v_lshl_add_u64 v[18:19], v[24:25], 3, s[10:11]
	v_lshl_add_u64 v[42:43], v[16:17], 3, s[10:11]
	v_add_u32_e32 v16, -7, v14
	global_load_dwordx2 v[18:19], v[18:19], off
	s_waitcnt vmcnt(3)
	v_xor_b32_e32 v1, 0x80000000, v35
	global_load_dwordx2 v[22:23], v[22:23], off
	s_waitcnt vmcnt(2)
	v_xor_b32_e32 v15, 0x80000000, v39
	global_load_dwordx2 v[26:27], v[26:27], off
	s_nop 0
	global_load_dwordx2 v[44:45], v[40:41], off
	global_load_dwordx2 v[46:47], v[30:31], off
	;; [unrolled: 1-line block ×3, first 2 shown]
	v_lshl_add_u64 v[30:31], v[16:17], 3, s[8:9]
	v_add_u32_e32 v16, -2, v14
	v_lshl_add_u64 v[40:41], v[16:17], 3, s[8:9]
	v_add_u32_e32 v16, -11, v14
	v_lshl_add_u64 v[42:43], v[16:17], 3, s[8:9]
	v_add_u32_e32 v16, 3, v24
	v_lshl_add_u64 v[50:51], v[16:17], 3, s[10:11]
	v_add_u32_e32 v16, -6, v14
	global_load_dwordx2 v[30:31], v[30:31], off
	s_nop 0
	global_load_dwordx2 v[52:53], v[42:43], off
	global_load_dwordx2 v[54:55], v[40:41], off
	;; [unrolled: 1-line block ×3, first 2 shown]
	v_lshl_add_u64 v[40:41], v[16:17], 3, s[8:9]
	v_add_u32_e32 v16, -1, v14
	v_lshl_add_u64 v[42:43], v[16:17], 3, s[8:9]
	v_add_u32_e32 v16, -10, v14
	global_load_dwordx2 v[40:41], v[40:41], off
	v_lshl_add_u64 v[50:51], v[16:17], 3, s[8:9]
	v_add_u32_e32 v16, 4, v24
	global_load_dwordx2 v[58:59], v[50:51], off
	global_load_dwordx2 v[60:61], v[42:43], off
	v_lshl_add_u64 v[24:25], v[16:17], 3, s[10:11]
	v_add_u32_e32 v16, -5, v14
	v_lshl_add_u64 v[42:43], v[16:17], 3, s[8:9]
	global_load_dwordx2 v[50:51], v[42:43], off
	global_load_dwordx2 v[62:63], v[28:29], off
	;; [unrolled: 1-line block ×3, first 2 shown]
	v_add_u32_e32 v14, 0x78, v14
	s_waitcnt vmcnt(15)
	v_pk_fma_f32 v[12:13], v[34:35], v[18:19], v[12:13] op_sel:[1,0,0] op_sel_hi:[0,0,1]
	v_mov_b32_e32 v35, v1
	v_pk_fma_f32 v[10:11], v[32:33], v[18:19], v[10:11] op_sel_hi:[1,0,1]
	v_pk_fma_f32 v[8:9], v[38:39], v[18:19], v[8:9] op_sel:[1,0,0] op_sel_hi:[0,0,1]
	v_mov_b32_e32 v39, v15
	v_pk_fma_f32 v[12:13], v[34:35], v[18:19], v[12:13] op_sel:[0,1,0]
	s_waitcnt vmcnt(13)
	v_xor_b32_e32 v1, 0x80000000, v27
	v_pk_fma_f32 v[10:11], v[32:33], v[18:19], v[10:11] op_sel:[1,1,0] op_sel_hi:[0,1,1] neg_lo:[1,0,0]
	v_pk_fma_f32 v[8:9], v[38:39], v[18:19], v[8:9] op_sel:[0,1,0]
	v_pk_fma_f32 v[12:13], v[26:27], v[22:23], v[12:13] op_sel:[1,0,0] op_sel_hi:[0,0,1]
	v_mov_b32_e32 v27, v1
	s_waitcnt vmcnt(11)
	v_xor_b32_e32 v1, 0x80000000, v47
	v_pk_fma_f32 v[10:11], v[36:37], v[22:23], v[10:11] op_sel_hi:[1,0,1]
	v_pk_fma_f32 v[12:13], v[26:27], v[22:23], v[12:13] op_sel:[0,1,0]
	v_pk_fma_f32 v[8:9], v[46:47], v[22:23], v[8:9] op_sel:[1,0,0] op_sel_hi:[0,0,1]
	v_mov_b32_e32 v47, v1
	s_waitcnt vmcnt(9)
	v_xor_b32_e32 v1, 0x80000000, v31
	v_pk_fma_f32 v[10:11], v[36:37], v[22:23], v[10:11] op_sel:[1,1,0] op_sel_hi:[0,1,1] neg_lo:[1,0,0]
	v_pk_fma_f32 v[12:13], v[30:31], v[48:49], v[12:13] op_sel:[1,0,0] op_sel_hi:[0,0,1]
	v_pk_fma_f32 v[8:9], v[46:47], v[22:23], v[8:9] op_sel:[0,1,0]
	v_mov_b32_e32 v31, v1
	s_waitcnt vmcnt(7)
	v_xor_b32_e32 v1, 0x80000000, v55
	v_pk_fma_f32 v[10:11], v[44:45], v[48:49], v[10:11] op_sel_hi:[1,0,1]
	v_pk_fma_f32 v[12:13], v[30:31], v[48:49], v[12:13] op_sel:[0,1,0]
	v_pk_fma_f32 v[8:9], v[54:55], v[48:49], v[8:9] op_sel:[1,0,0] op_sel_hi:[0,0,1]
	v_mov_b32_e32 v55, v1
	s_waitcnt vmcnt(5)
	v_xor_b32_e32 v1, 0x80000000, v41
	v_pk_fma_f32 v[10:11], v[44:45], v[48:49], v[10:11] op_sel:[1,1,0] op_sel_hi:[0,1,1] neg_lo:[1,0,0]
	v_pk_fma_f32 v[12:13], v[40:41], v[56:57], v[12:13] op_sel:[1,0,0] op_sel_hi:[0,0,1]
	v_pk_fma_f32 v[8:9], v[54:55], v[48:49], v[8:9] op_sel:[0,1,0]
	v_mov_b32_e32 v41, v1
	s_waitcnt vmcnt(3)
	v_xor_b32_e32 v1, 0x80000000, v61
	v_pk_fma_f32 v[10:11], v[52:53], v[56:57], v[10:11] op_sel_hi:[1,0,1]
	v_pk_fma_f32 v[8:9], v[60:61], v[56:57], v[8:9] op_sel:[1,0,0] op_sel_hi:[0,0,1]
	v_mov_b32_e32 v61, v1
	v_pk_fma_f32 v[10:11], v[52:53], v[56:57], v[10:11] op_sel:[1,1,0] op_sel_hi:[0,1,1] neg_lo:[1,0,0]
	v_pk_fma_f32 v[12:13], v[40:41], v[56:57], v[12:13] op_sel:[0,1,0]
	s_waitcnt vmcnt(2)
	v_xor_b32_e32 v1, 0x80000000, v51
	v_pk_fma_f32 v[8:9], v[60:61], v[56:57], v[8:9] op_sel:[0,1,0]
	s_waitcnt vmcnt(1)
	v_xor_b32_e32 v15, 0x80000000, v63
	s_waitcnt vmcnt(0)
	v_pk_fma_f32 v[10:11], v[58:59], v[64:65], v[10:11] op_sel_hi:[1,0,1]
	v_pk_fma_f32 v[12:13], v[50:51], v[64:65], v[12:13] op_sel:[1,0,0] op_sel_hi:[0,0,1]
	v_mov_b32_e32 v51, v1
	v_pk_fma_f32 v[8:9], v[62:63], v[64:65], v[8:9] op_sel:[1,0,0] op_sel_hi:[0,0,1]
	v_mov_b32_e32 v63, v15
	v_pk_fma_f32 v[10:11], v[58:59], v[64:65], v[10:11] op_sel:[1,1,0] op_sel_hi:[0,1,1] neg_lo:[1,0,0]
	v_pk_fma_f32 v[12:13], v[50:51], v[64:65], v[12:13] op_sel:[0,1,0]
	v_pk_fma_f32 v[8:9], v[62:63], v[64:65], v[8:9] op_sel:[0,1,0]
	s_andn2_b64 exec, exec, s[2:3]
	s_cbranch_execnz .LBB90_21
; %bb.22:
	s_or_b64 exec, exec, s[2:3]
.LBB90_23:
	s_or_b64 exec, exec, s[4:5]
.LBB90_24:
	v_mov_b32_dpp v15, v12 row_shr:1 row_mask:0xf bank_mask:0xf
	v_add_f32_e32 v12, v12, v15
	v_mov_b32_dpp v0, v10 row_shr:1 row_mask:0xf bank_mask:0xf
	v_add_f32_e32 v0, v10, v0
	;; [unrolled: 2-line block ×4, first 2 shown]
	v_mov_b32_dpp v10, v11 row_shr:1 row_mask:0xf bank_mask:0xf
	v_mov_b32_dpp v14, v13 row_shr:1 row_mask:0xf bank_mask:0xf
	;; [unrolled: 1-line block ×3, first 2 shown]
	v_add_f32_e32 v9, v9, v12
	v_add_f32_e32 v10, v11, v10
	v_mov_b32_dpp v12, v8 row_shr:1 row_mask:0xf bank_mask:0xf
	v_add_f32_e32 v13, v13, v14
	v_add_f32_e32 v8, v8, v12
	v_mov_b32_dpp v1, v0 row_shr:2 row_mask:0xf bank_mask:0xf
	v_mov_b32_dpp v11, v10 row_shr:2 row_mask:0xf bank_mask:0xf
	v_mov_b32_dpp v14, v13 row_shr:2 row_mask:0xf bank_mask:0xf
	v_mov_b32_dpp v12, v8 row_shr:2 row_mask:0xf bank_mask:0xf
	v_add_f32_e32 v0, v0, v1
	v_add_f32_e32 v10, v10, v11
	v_add_f32_e32 v13, v13, v14
	v_add_f32_e32 v8, v8, v12
	v_mov_b32_dpp v1, v0 row_shr:4 row_mask:0xf bank_mask:0xe
	v_mov_b32_dpp v11, v10 row_shr:4 row_mask:0xf bank_mask:0xe
	;; [unrolled: 1-line block ×6, first 2 shown]
	v_cmp_eq_u32_e32 vcc, 7, v7
	s_and_b64 exec, exec, vcc
	s_cbranch_execz .LBB90_29
; %bb.25:
	s_load_dwordx2 s[2:3], s[0:1], 0x38
	v_add_f32_e32 v12, v0, v1
	v_and_b32_e32 v1, 0x7fffffff, v4
	v_cmp_eq_u32_e32 vcc, 0, v1
	v_cmp_eq_f32_e64 s[0:1], 0, v5
	v_add_f32_e32 v16, v10, v11
	v_add_f32_e32 v10, v13, v14
	;; [unrolled: 1-line block ×5, first 2 shown]
	s_and_b64 s[0:1], vcc, s[0:1]
	s_and_saveexec_b64 s[4:5], s[0:1]
	s_xor_b64 s[0:1], exec, s[4:5]
	s_cbranch_execz .LBB90_27
; %bb.26:
	v_lshl_add_u32 v4, v6, 1, v6
	v_xor_b32_e32 v18, 0x80000000, v3
	v_ashrrev_i32_e32 v5, 31, v4
	v_mov_b32_e32 v19, v2
	s_waitcnt lgkmcnt(0)
	v_lshl_add_u64 v[20:21], v[4:5], 3, s[2:3]
	v_pk_mul_f32 v[4:5], v[16:17], v[18:19] op_sel_hi:[0,1]
	v_pk_mul_f32 v[6:7], v[14:15], v[18:19] op_sel_hi:[0,1]
	v_pk_fma_f32 v[4:5], v[2:3], v[12:13], v[4:5] op_sel_hi:[1,0,1]
	v_pk_fma_f32 v[6:7], v[2:3], v[10:11], v[6:7] op_sel_hi:[1,0,1]
	global_store_dwordx4 v[20:21], v[4:7], off
                                        ; implicit-def: $vgpr6
                                        ; implicit-def: $vgpr12
                                        ; implicit-def: $vgpr16
                                        ; implicit-def: $vgpr10
                                        ; implicit-def: $vgpr14
	s_nop 1
	v_pk_mul_f32 v[4:5], v[8:9], v[18:19] op_sel_hi:[0,1]
	v_pk_fma_f32 v[0:1], v[2:3], v[0:1], v[4:5] op_sel_hi:[1,0,1]
	global_store_dwordx2 v[20:21], v[0:1], off offset:16
                                        ; implicit-def: $vgpr3
                                        ; implicit-def: $vgpr4
                                        ; implicit-def: $vgpr0
                                        ; implicit-def: $vgpr8
.LBB90_27:
	s_andn2_saveexec_b64 s[0:1], s[0:1]
	s_cbranch_execz .LBB90_29
; %bb.28:
	v_lshl_add_u32 v6, v6, 1, v6
	v_ashrrev_i32_e32 v7, 31, v6
	s_waitcnt lgkmcnt(0)
	v_lshl_add_u64 v[6:7], v[6:7], 3, s[2:3]
	global_load_dwordx4 v[18:21], v[6:7], off
	global_load_dwordx2 v[22:23], v[6:7], off offset:16
	v_xor_b32_e32 v24, 0x80000000, v3
	v_mov_b32_e32 v25, v2
	v_pk_mul_f32 v[16:17], v[16:17], v[24:25] op_sel_hi:[0,1]
	v_pk_mul_f32 v[14:15], v[14:15], v[24:25] op_sel_hi:[0,1]
	;; [unrolled: 1-line block ×3, first 2 shown]
	v_pk_fma_f32 v[12:13], v[2:3], v[12:13], v[16:17] op_sel_hi:[1,0,1]
	v_pk_fma_f32 v[10:11], v[2:3], v[10:11], v[14:15] op_sel_hi:[1,0,1]
	v_xor_b32_e32 v26, 0x80000000, v5
	v_mov_b32_e32 v27, v4
	v_pk_fma_f32 v[0:1], v[2:3], v[0:1], v[8:9] op_sel_hi:[1,0,1]
	s_waitcnt vmcnt(1)
	v_pk_fma_f32 v[2:3], v[4:5], v[18:19], v[12:13] op_sel_hi:[1,0,1]
	v_pk_fma_f32 v[8:9], v[4:5], v[20:21], v[10:11] op_sel_hi:[1,0,1]
	v_mov_b32_e32 v10, v21
	s_waitcnt vmcnt(0)
	v_pk_fma_f32 v[4:5], v[4:5], v[22:23], v[0:1] op_sel_hi:[1,0,1]
	v_pk_fma_f32 v[0:1], v[26:27], v[18:19], v[2:3] op_sel:[0,1,0]
	v_pk_fma_f32 v[2:3], v[26:27], v[10:11], v[8:9] op_sel_hi:[1,0,1]
	v_pk_fma_f32 v[4:5], v[26:27], v[22:23], v[4:5] op_sel:[0,1,0]
	global_store_dwordx4 v[6:7], v[0:3], off
	global_store_dwordx2 v[6:7], v[4:5], off offset:16
.LBB90_29:
	s_endpgm
	.section	.rodata,"a",@progbits
	.p2align	6, 0x0
	.amdhsa_kernel _ZN9rocsparseL19gebsrmvn_3xn_kernelILj128ELj5ELj8E21rocsparse_complex_numIfEEEvi20rocsparse_direction_NS_24const_host_device_scalarIT2_EEPKiS8_PKS5_SA_S6_PS5_21rocsparse_index_base_b
		.amdhsa_group_segment_fixed_size 0
		.amdhsa_private_segment_fixed_size 0
		.amdhsa_kernarg_size 72
		.amdhsa_user_sgpr_count 2
		.amdhsa_user_sgpr_dispatch_ptr 0
		.amdhsa_user_sgpr_queue_ptr 0
		.amdhsa_user_sgpr_kernarg_segment_ptr 1
		.amdhsa_user_sgpr_dispatch_id 0
		.amdhsa_user_sgpr_kernarg_preload_length 0
		.amdhsa_user_sgpr_kernarg_preload_offset 0
		.amdhsa_user_sgpr_private_segment_size 0
		.amdhsa_uses_dynamic_stack 0
		.amdhsa_enable_private_segment 0
		.amdhsa_system_sgpr_workgroup_id_x 1
		.amdhsa_system_sgpr_workgroup_id_y 0
		.amdhsa_system_sgpr_workgroup_id_z 0
		.amdhsa_system_sgpr_workgroup_info 0
		.amdhsa_system_vgpr_workitem_id 0
		.amdhsa_next_free_vgpr 68
		.amdhsa_next_free_sgpr 16
		.amdhsa_accum_offset 68
		.amdhsa_reserve_vcc 1
		.amdhsa_float_round_mode_32 0
		.amdhsa_float_round_mode_16_64 0
		.amdhsa_float_denorm_mode_32 3
		.amdhsa_float_denorm_mode_16_64 3
		.amdhsa_dx10_clamp 1
		.amdhsa_ieee_mode 1
		.amdhsa_fp16_overflow 0
		.amdhsa_tg_split 0
		.amdhsa_exception_fp_ieee_invalid_op 0
		.amdhsa_exception_fp_denorm_src 0
		.amdhsa_exception_fp_ieee_div_zero 0
		.amdhsa_exception_fp_ieee_overflow 0
		.amdhsa_exception_fp_ieee_underflow 0
		.amdhsa_exception_fp_ieee_inexact 0
		.amdhsa_exception_int_div_zero 0
	.end_amdhsa_kernel
	.section	.text._ZN9rocsparseL19gebsrmvn_3xn_kernelILj128ELj5ELj8E21rocsparse_complex_numIfEEEvi20rocsparse_direction_NS_24const_host_device_scalarIT2_EEPKiS8_PKS5_SA_S6_PS5_21rocsparse_index_base_b,"axG",@progbits,_ZN9rocsparseL19gebsrmvn_3xn_kernelILj128ELj5ELj8E21rocsparse_complex_numIfEEEvi20rocsparse_direction_NS_24const_host_device_scalarIT2_EEPKiS8_PKS5_SA_S6_PS5_21rocsparse_index_base_b,comdat
.Lfunc_end90:
	.size	_ZN9rocsparseL19gebsrmvn_3xn_kernelILj128ELj5ELj8E21rocsparse_complex_numIfEEEvi20rocsparse_direction_NS_24const_host_device_scalarIT2_EEPKiS8_PKS5_SA_S6_PS5_21rocsparse_index_base_b, .Lfunc_end90-_ZN9rocsparseL19gebsrmvn_3xn_kernelILj128ELj5ELj8E21rocsparse_complex_numIfEEEvi20rocsparse_direction_NS_24const_host_device_scalarIT2_EEPKiS8_PKS5_SA_S6_PS5_21rocsparse_index_base_b
                                        ; -- End function
	.section	.AMDGPU.csdata,"",@progbits
; Kernel info:
; codeLenInByte = 2880
; NumSgprs: 22
; NumVgprs: 68
; NumAgprs: 0
; TotalNumVgprs: 68
; ScratchSize: 0
; MemoryBound: 0
; FloatMode: 240
; IeeeMode: 1
; LDSByteSize: 0 bytes/workgroup (compile time only)
; SGPRBlocks: 2
; VGPRBlocks: 8
; NumSGPRsForWavesPerEU: 22
; NumVGPRsForWavesPerEU: 68
; AccumOffset: 68
; Occupancy: 7
; WaveLimiterHint : 1
; COMPUTE_PGM_RSRC2:SCRATCH_EN: 0
; COMPUTE_PGM_RSRC2:USER_SGPR: 2
; COMPUTE_PGM_RSRC2:TRAP_HANDLER: 0
; COMPUTE_PGM_RSRC2:TGID_X_EN: 1
; COMPUTE_PGM_RSRC2:TGID_Y_EN: 0
; COMPUTE_PGM_RSRC2:TGID_Z_EN: 0
; COMPUTE_PGM_RSRC2:TIDIG_COMP_CNT: 0
; COMPUTE_PGM_RSRC3_GFX90A:ACCUM_OFFSET: 16
; COMPUTE_PGM_RSRC3_GFX90A:TG_SPLIT: 0
	.section	.text._ZN9rocsparseL19gebsrmvn_3xn_kernelILj128ELj5ELj16E21rocsparse_complex_numIfEEEvi20rocsparse_direction_NS_24const_host_device_scalarIT2_EEPKiS8_PKS5_SA_S6_PS5_21rocsparse_index_base_b,"axG",@progbits,_ZN9rocsparseL19gebsrmvn_3xn_kernelILj128ELj5ELj16E21rocsparse_complex_numIfEEEvi20rocsparse_direction_NS_24const_host_device_scalarIT2_EEPKiS8_PKS5_SA_S6_PS5_21rocsparse_index_base_b,comdat
	.globl	_ZN9rocsparseL19gebsrmvn_3xn_kernelILj128ELj5ELj16E21rocsparse_complex_numIfEEEvi20rocsparse_direction_NS_24const_host_device_scalarIT2_EEPKiS8_PKS5_SA_S6_PS5_21rocsparse_index_base_b ; -- Begin function _ZN9rocsparseL19gebsrmvn_3xn_kernelILj128ELj5ELj16E21rocsparse_complex_numIfEEEvi20rocsparse_direction_NS_24const_host_device_scalarIT2_EEPKiS8_PKS5_SA_S6_PS5_21rocsparse_index_base_b
	.p2align	8
	.type	_ZN9rocsparseL19gebsrmvn_3xn_kernelILj128ELj5ELj16E21rocsparse_complex_numIfEEEvi20rocsparse_direction_NS_24const_host_device_scalarIT2_EEPKiS8_PKS5_SA_S6_PS5_21rocsparse_index_base_b,@function
_ZN9rocsparseL19gebsrmvn_3xn_kernelILj128ELj5ELj16E21rocsparse_complex_numIfEEEvi20rocsparse_direction_NS_24const_host_device_scalarIT2_EEPKiS8_PKS5_SA_S6_PS5_21rocsparse_index_base_b: ; @_ZN9rocsparseL19gebsrmvn_3xn_kernelILj128ELj5ELj16E21rocsparse_complex_numIfEEEvi20rocsparse_direction_NS_24const_host_device_scalarIT2_EEPKiS8_PKS5_SA_S6_PS5_21rocsparse_index_base_b
; %bb.0:
	s_load_dwordx2 s[12:13], s[0:1], 0x40
	s_load_dwordx2 s[8:9], s[0:1], 0x8
	;; [unrolled: 1-line block ×3, first 2 shown]
	s_waitcnt lgkmcnt(0)
	s_bitcmp1_b32 s13, 0
	s_cselect_b64 s[4:5], -1, 0
	s_xor_b64 s[10:11], s[4:5], -1
	s_and_b64 vcc, exec, s[4:5]
	v_mov_b32_e32 v2, s8
	s_cbranch_vccnz .LBB91_2
; %bb.1:
	v_mov_b64_e32 v[2:3], s[8:9]
	flat_load_dword v2, v[2:3]
.LBB91_2:
	v_cndmask_b32_e64 v1, 0, 1, s[10:11]
	v_cmp_ne_u32_e64 s[4:5], 1, v1
	s_andn2_b64 vcc, exec, s[10:11]
	v_mov_b32_e32 v3, s9
	s_cbranch_vccz .LBB91_16
; %bb.3:
	s_and_b64 vcc, exec, s[4:5]
	v_mov_b32_e32 v4, s6
	s_cbranch_vccz .LBB91_17
.LBB91_4:
	s_and_b64 vcc, exec, s[4:5]
	v_mov_b32_e32 v5, s7
	s_cbranch_vccnz .LBB91_6
.LBB91_5:
	v_mov_b64_e32 v[6:7], s[6:7]
	flat_load_dword v5, v[6:7] offset:4
.LBB91_6:
	s_waitcnt vmcnt(0) lgkmcnt(0)
	v_and_b32_e32 v1, 0x7fffffff, v2
	v_cmp_eq_u32_e32 vcc, 0, v1
	v_cmp_eq_f32_e64 s[4:5], 0, v3
	s_and_b64 s[8:9], vcc, s[4:5]
	s_mov_b64 s[4:5], -1
	s_and_saveexec_b64 s[6:7], s[8:9]
; %bb.7:
	v_and_b32_e32 v1, 0x7fffffff, v5
	v_cmp_neq_f32_e32 vcc, 1.0, v4
	v_cmp_ne_u32_e64 s[4:5], 0, v1
	s_or_b64 s[4:5], vcc, s[4:5]
	s_orn2_b64 s[4:5], s[4:5], exec
; %bb.8:
	s_or_b64 exec, exec, s[6:7]
	s_and_saveexec_b64 s[6:7], s[4:5]
	s_cbranch_execz .LBB91_29
; %bb.9:
	s_load_dwordx2 s[14:15], s[0:1], 0x0
	v_lshrrev_b32_e32 v1, 4, v0
	v_lshl_or_b32 v6, s2, 3, v1
	s_waitcnt lgkmcnt(0)
	v_cmp_gt_i32_e32 vcc, s14, v6
	s_and_b64 exec, exec, vcc
	s_cbranch_execz .LBB91_29
; %bb.10:
	s_load_dwordx8 s[4:11], s[0:1], 0x10
	v_ashrrev_i32_e32 v7, 31, v6
	s_cmp_lg_u32 s15, 0
	s_waitcnt lgkmcnt(0)
	v_lshl_add_u64 v[8:9], v[6:7], 2, s[4:5]
	global_load_dwordx2 v[8:9], v[8:9], off
	v_and_b32_e32 v7, 15, v0
	s_waitcnt vmcnt(0)
	v_subrev_u32_e32 v0, s12, v8
	v_subrev_u32_e32 v20, s12, v9
	v_add_u32_e32 v0, v0, v7
	v_cmp_lt_i32_e64 s[2:3], v0, v20
	s_cbranch_scc0 .LBB91_18
; %bb.11:
	v_mov_b32_e32 v11, 0
	v_mov_b32_e32 v10, v11
	;; [unrolled: 1-line block ×6, first 2 shown]
	s_and_saveexec_b64 s[4:5], s[2:3]
	s_cbranch_execz .LBB91_15
; %bb.12:
	v_mad_u64_u32 v[14:15], s[14:15], v0, 15, 14
	v_mov_b32_e32 v17, 0
	s_mov_b64 s[14:15], 0
	v_mov_b32_e32 v18, v0
	v_mov_b32_e32 v12, v17
	;; [unrolled: 1-line block ×7, first 2 shown]
.LBB91_13:                              ; =>This Inner Loop Header: Depth=1
	v_ashrrev_i32_e32 v19, 31, v18
	v_lshl_add_u64 v[22:23], v[18:19], 2, s[6:7]
	global_load_dword v1, v[22:23], off
	v_add_u32_e32 v16, -14, v14
	v_lshl_add_u64 v[24:25], v[16:17], 3, s[8:9]
	v_add_u32_e32 v16, -13, v14
	v_lshl_add_u64 v[28:29], v[16:17], 3, s[8:9]
	;; [unrolled: 2-line block ×4, first 2 shown]
	global_load_dwordx2 v[24:25], v[24:25], off
	v_mov_b32_e32 v23, v17
	global_load_dwordx2 v[28:29], v[28:29], off
	s_nop 0
	global_load_dwordx2 v[34:35], v[32:33], off
	global_load_dwordx2 v[36:37], v[30:31], off
	v_mov_b32_e32 v15, v17
	v_lshl_add_u64 v[26:27], v[14:15], 3, s[8:9]
	v_add_u32_e32 v18, 16, v18
	v_cmp_ge_i32_e32 vcc, v18, v20
	s_or_b64 s[14:15], vcc, s[14:15]
	s_waitcnt vmcnt(4)
	v_subrev_u32_e32 v1, s12, v1
	v_lshl_add_u32 v22, v1, 2, v1
	v_add_u32_e32 v16, 1, v22
	v_lshl_add_u64 v[32:33], v[16:17], 3, s[10:11]
	v_add_u32_e32 v16, -10, v14
	v_lshl_add_u64 v[38:39], v[16:17], 3, s[8:9]
	v_add_u32_e32 v16, -9, v14
	;; [unrolled: 2-line block ×3, first 2 shown]
	v_lshl_add_u64 v[42:43], v[16:17], 3, s[8:9]
	v_add_u32_e32 v16, 2, v22
	v_lshl_add_u64 v[30:31], v[22:23], 3, s[10:11]
	v_lshl_add_u64 v[44:45], v[16:17], 3, s[10:11]
	v_add_u32_e32 v16, -7, v14
	global_load_dwordx2 v[30:31], v[30:31], off
	s_waitcnt vmcnt(3)
	v_xor_b32_e32 v1, 0x80000000, v29
	global_load_dwordx2 v[32:33], v[32:33], off
	s_waitcnt vmcnt(2)
	v_xor_b32_e32 v15, 0x80000000, v37
	global_load_dwordx2 v[38:39], v[38:39], off
	s_nop 0
	global_load_dwordx2 v[46:47], v[42:43], off
	global_load_dwordx2 v[48:49], v[40:41], off
	;; [unrolled: 1-line block ×3, first 2 shown]
	v_lshl_add_u64 v[40:41], v[16:17], 3, s[8:9]
	v_add_u32_e32 v16, -6, v14
	v_lshl_add_u64 v[42:43], v[16:17], 3, s[8:9]
	v_add_u32_e32 v16, -5, v14
	v_lshl_add_u64 v[44:45], v[16:17], 3, s[8:9]
	v_add_u32_e32 v16, 3, v22
	v_lshl_add_u64 v[52:53], v[16:17], 3, s[10:11]
	v_add_u32_e32 v16, -4, v14
	global_load_dwordx2 v[40:41], v[40:41], off
	s_nop 0
	global_load_dwordx2 v[54:55], v[44:45], off
	global_load_dwordx2 v[56:57], v[42:43], off
	global_load_dwordx2 v[58:59], v[52:53], off
	v_lshl_add_u64 v[42:43], v[16:17], 3, s[8:9]
	v_add_u32_e32 v16, -3, v14
	v_lshl_add_u64 v[44:45], v[16:17], 3, s[8:9]
	v_add_u32_e32 v16, -2, v14
	global_load_dwordx2 v[42:43], v[42:43], off
	v_lshl_add_u64 v[52:53], v[16:17], 3, s[8:9]
	v_add_u32_e32 v16, 4, v22
	global_load_dwordx2 v[60:61], v[52:53], off
	global_load_dwordx2 v[62:63], v[44:45], off
	v_lshl_add_u64 v[22:23], v[16:17], 3, s[10:11]
	v_add_u32_e32 v16, -1, v14
	v_lshl_add_u64 v[44:45], v[16:17], 3, s[8:9]
	global_load_dwordx2 v[52:53], v[44:45], off
	global_load_dwordx2 v[64:65], v[26:27], off
	;; [unrolled: 1-line block ×3, first 2 shown]
	v_add_u32_e32 v14, 0xf0, v14
	s_waitcnt vmcnt(15)
	v_pk_fma_f32 v[12:13], v[28:29], v[30:31], v[12:13] op_sel:[1,0,0] op_sel_hi:[0,0,1]
	v_mov_b32_e32 v29, v1
	v_pk_fma_f32 v[10:11], v[24:25], v[30:31], v[10:11] op_sel_hi:[1,0,1]
	v_pk_fma_f32 v[8:9], v[36:37], v[30:31], v[8:9] op_sel:[1,0,0] op_sel_hi:[0,0,1]
	v_mov_b32_e32 v37, v15
	v_pk_fma_f32 v[12:13], v[28:29], v[30:31], v[12:13] op_sel:[0,1,0]
	s_waitcnt vmcnt(13)
	v_xor_b32_e32 v1, 0x80000000, v39
	v_pk_fma_f32 v[10:11], v[24:25], v[30:31], v[10:11] op_sel:[1,1,0] op_sel_hi:[0,1,1] neg_lo:[1,0,0]
	v_pk_fma_f32 v[8:9], v[36:37], v[30:31], v[8:9] op_sel:[0,1,0]
	v_pk_fma_f32 v[12:13], v[38:39], v[32:33], v[12:13] op_sel:[1,0,0] op_sel_hi:[0,0,1]
	v_mov_b32_e32 v39, v1
	s_waitcnt vmcnt(11)
	v_xor_b32_e32 v1, 0x80000000, v49
	v_pk_fma_f32 v[10:11], v[34:35], v[32:33], v[10:11] op_sel_hi:[1,0,1]
	v_pk_fma_f32 v[12:13], v[38:39], v[32:33], v[12:13] op_sel:[0,1,0]
	v_pk_fma_f32 v[8:9], v[48:49], v[32:33], v[8:9] op_sel:[1,0,0] op_sel_hi:[0,0,1]
	v_mov_b32_e32 v49, v1
	s_waitcnt vmcnt(9)
	v_xor_b32_e32 v1, 0x80000000, v41
	v_pk_fma_f32 v[10:11], v[34:35], v[32:33], v[10:11] op_sel:[1,1,0] op_sel_hi:[0,1,1] neg_lo:[1,0,0]
	v_pk_fma_f32 v[12:13], v[40:41], v[50:51], v[12:13] op_sel:[1,0,0] op_sel_hi:[0,0,1]
	v_pk_fma_f32 v[8:9], v[48:49], v[32:33], v[8:9] op_sel:[0,1,0]
	v_mov_b32_e32 v41, v1
	s_waitcnt vmcnt(7)
	v_xor_b32_e32 v1, 0x80000000, v57
	v_pk_fma_f32 v[10:11], v[46:47], v[50:51], v[10:11] op_sel_hi:[1,0,1]
	v_pk_fma_f32 v[12:13], v[40:41], v[50:51], v[12:13] op_sel:[0,1,0]
	v_pk_fma_f32 v[8:9], v[56:57], v[50:51], v[8:9] op_sel:[1,0,0] op_sel_hi:[0,0,1]
	v_mov_b32_e32 v57, v1
	s_waitcnt vmcnt(5)
	v_xor_b32_e32 v1, 0x80000000, v43
	v_pk_fma_f32 v[10:11], v[46:47], v[50:51], v[10:11] op_sel:[1,1,0] op_sel_hi:[0,1,1] neg_lo:[1,0,0]
	v_pk_fma_f32 v[12:13], v[42:43], v[58:59], v[12:13] op_sel:[1,0,0] op_sel_hi:[0,0,1]
	v_pk_fma_f32 v[8:9], v[56:57], v[50:51], v[8:9] op_sel:[0,1,0]
	v_mov_b32_e32 v43, v1
	s_waitcnt vmcnt(3)
	v_xor_b32_e32 v1, 0x80000000, v63
	v_pk_fma_f32 v[10:11], v[54:55], v[58:59], v[10:11] op_sel_hi:[1,0,1]
	v_pk_fma_f32 v[8:9], v[62:63], v[58:59], v[8:9] op_sel:[1,0,0] op_sel_hi:[0,0,1]
	v_mov_b32_e32 v63, v1
	v_pk_fma_f32 v[10:11], v[54:55], v[58:59], v[10:11] op_sel:[1,1,0] op_sel_hi:[0,1,1] neg_lo:[1,0,0]
	v_pk_fma_f32 v[12:13], v[42:43], v[58:59], v[12:13] op_sel:[0,1,0]
	s_waitcnt vmcnt(2)
	v_xor_b32_e32 v1, 0x80000000, v53
	v_pk_fma_f32 v[8:9], v[62:63], v[58:59], v[8:9] op_sel:[0,1,0]
	s_waitcnt vmcnt(1)
	v_xor_b32_e32 v15, 0x80000000, v65
	s_waitcnt vmcnt(0)
	v_pk_fma_f32 v[10:11], v[60:61], v[66:67], v[10:11] op_sel_hi:[1,0,1]
	v_pk_fma_f32 v[12:13], v[52:53], v[66:67], v[12:13] op_sel:[1,0,0] op_sel_hi:[0,0,1]
	v_mov_b32_e32 v53, v1
	v_pk_fma_f32 v[8:9], v[64:65], v[66:67], v[8:9] op_sel:[1,0,0] op_sel_hi:[0,0,1]
	v_mov_b32_e32 v65, v15
	v_pk_fma_f32 v[10:11], v[60:61], v[66:67], v[10:11] op_sel:[1,1,0] op_sel_hi:[0,1,1] neg_lo:[1,0,0]
	v_pk_fma_f32 v[12:13], v[52:53], v[66:67], v[12:13] op_sel:[0,1,0]
	v_pk_fma_f32 v[8:9], v[64:65], v[66:67], v[8:9] op_sel:[0,1,0]
	s_andn2_b64 exec, exec, s[14:15]
	s_cbranch_execnz .LBB91_13
; %bb.14:
	s_or_b64 exec, exec, s[14:15]
.LBB91_15:
	s_or_b64 exec, exec, s[4:5]
	s_cbranch_execz .LBB91_19
	s_branch .LBB91_24
.LBB91_16:
	v_mov_b64_e32 v[4:5], s[8:9]
	flat_load_dword v3, v[4:5] offset:4
	s_and_b64 vcc, exec, s[4:5]
	v_mov_b32_e32 v4, s6
	s_cbranch_vccnz .LBB91_4
.LBB91_17:
	v_mov_b64_e32 v[4:5], s[6:7]
	flat_load_dword v4, v[4:5]
	s_and_b64 vcc, exec, s[4:5]
	v_mov_b32_e32 v5, s7
	s_cbranch_vccz .LBB91_5
	s_branch .LBB91_6
.LBB91_18:
                                        ; implicit-def: $vgpr11
                                        ; implicit-def: $vgpr9
                                        ; implicit-def: $vgpr13
.LBB91_19:
	v_mov_b32_e32 v11, 0
	v_mov_b32_e32 v10, v11
	;; [unrolled: 1-line block ×6, first 2 shown]
	s_and_saveexec_b64 s[4:5], s[2:3]
	s_cbranch_execz .LBB91_23
; %bb.20:
	v_mad_u64_u32 v[14:15], s[2:3], v0, 15, 14
	v_mov_b32_e32 v17, 0
	s_mov_b64 s[2:3], 0
	v_mov_b32_e32 v12, v17
	v_mov_b32_e32 v13, v17
	v_mov_b32_e32 v8, v17
	v_mov_b32_e32 v9, v17
	v_mov_b32_e32 v10, v17
	v_mov_b32_e32 v11, v17
.LBB91_21:                              ; =>This Inner Loop Header: Depth=1
	v_ashrrev_i32_e32 v1, 31, v0
	v_lshl_add_u64 v[18:19], v[0:1], 2, s[6:7]
	global_load_dword v1, v[18:19], off
	v_add_u32_e32 v16, -14, v14
	v_add_u32_e32 v22, -4, v14
	v_mov_b32_e32 v23, v17
	v_lshl_add_u64 v[26:27], v[16:17], 3, s[8:9]
	v_add_u32_e32 v16, -13, v14
	v_add_u32_e32 v18, -9, v14
	v_mov_b32_e32 v19, v17
	v_lshl_add_u64 v[22:23], v[22:23], 3, s[8:9]
	v_lshl_add_u64 v[30:31], v[16:17], 3, s[8:9]
	;; [unrolled: 1-line block ×3, first 2 shown]
	global_load_dwordx2 v[32:33], v[26:27], off
	global_load_dwordx2 v[34:35], v[18:19], off
	;; [unrolled: 1-line block ×4, first 2 shown]
	v_mov_b32_e32 v25, v17
	v_mov_b32_e32 v15, v17
	v_lshl_add_u64 v[28:29], v[14:15], 3, s[8:9]
	v_add_u32_e32 v0, 16, v0
	v_cmp_ge_i32_e32 vcc, v0, v20
	s_or_b64 s[2:3], vcc, s[2:3]
	s_waitcnt vmcnt(4)
	v_subrev_u32_e32 v1, s12, v1
	v_lshl_add_u32 v24, v1, 2, v1
	v_add_u32_e32 v16, 1, v24
	v_lshl_add_u64 v[22:23], v[16:17], 3, s[10:11]
	v_add_u32_e32 v16, -8, v14
	v_lshl_add_u64 v[26:27], v[16:17], 3, s[8:9]
	v_add_u32_e32 v16, -3, v14
	;; [unrolled: 2-line block ×3, first 2 shown]
	v_lshl_add_u64 v[40:41], v[16:17], 3, s[8:9]
	v_add_u32_e32 v16, 2, v24
	v_lshl_add_u64 v[18:19], v[24:25], 3, s[10:11]
	v_lshl_add_u64 v[42:43], v[16:17], 3, s[10:11]
	v_add_u32_e32 v16, -7, v14
	global_load_dwordx2 v[18:19], v[18:19], off
	s_waitcnt vmcnt(3)
	v_xor_b32_e32 v1, 0x80000000, v35
	global_load_dwordx2 v[22:23], v[22:23], off
	s_waitcnt vmcnt(2)
	v_xor_b32_e32 v15, 0x80000000, v39
	global_load_dwordx2 v[26:27], v[26:27], off
	s_nop 0
	global_load_dwordx2 v[44:45], v[40:41], off
	global_load_dwordx2 v[46:47], v[30:31], off
	;; [unrolled: 1-line block ×3, first 2 shown]
	v_lshl_add_u64 v[30:31], v[16:17], 3, s[8:9]
	v_add_u32_e32 v16, -2, v14
	v_lshl_add_u64 v[40:41], v[16:17], 3, s[8:9]
	v_add_u32_e32 v16, -11, v14
	v_lshl_add_u64 v[42:43], v[16:17], 3, s[8:9]
	v_add_u32_e32 v16, 3, v24
	v_lshl_add_u64 v[50:51], v[16:17], 3, s[10:11]
	v_add_u32_e32 v16, -6, v14
	global_load_dwordx2 v[30:31], v[30:31], off
	s_nop 0
	global_load_dwordx2 v[52:53], v[42:43], off
	global_load_dwordx2 v[54:55], v[40:41], off
	global_load_dwordx2 v[56:57], v[50:51], off
	v_lshl_add_u64 v[40:41], v[16:17], 3, s[8:9]
	v_add_u32_e32 v16, -1, v14
	v_lshl_add_u64 v[42:43], v[16:17], 3, s[8:9]
	v_add_u32_e32 v16, -10, v14
	global_load_dwordx2 v[40:41], v[40:41], off
	v_lshl_add_u64 v[50:51], v[16:17], 3, s[8:9]
	v_add_u32_e32 v16, 4, v24
	global_load_dwordx2 v[58:59], v[50:51], off
	global_load_dwordx2 v[60:61], v[42:43], off
	v_lshl_add_u64 v[24:25], v[16:17], 3, s[10:11]
	v_add_u32_e32 v16, -5, v14
	v_lshl_add_u64 v[42:43], v[16:17], 3, s[8:9]
	global_load_dwordx2 v[50:51], v[42:43], off
	global_load_dwordx2 v[62:63], v[28:29], off
	;; [unrolled: 1-line block ×3, first 2 shown]
	v_add_u32_e32 v14, 0xf0, v14
	s_waitcnt vmcnt(15)
	v_pk_fma_f32 v[12:13], v[34:35], v[18:19], v[12:13] op_sel:[1,0,0] op_sel_hi:[0,0,1]
	v_mov_b32_e32 v35, v1
	v_pk_fma_f32 v[10:11], v[32:33], v[18:19], v[10:11] op_sel_hi:[1,0,1]
	v_pk_fma_f32 v[8:9], v[38:39], v[18:19], v[8:9] op_sel:[1,0,0] op_sel_hi:[0,0,1]
	v_mov_b32_e32 v39, v15
	v_pk_fma_f32 v[12:13], v[34:35], v[18:19], v[12:13] op_sel:[0,1,0]
	s_waitcnt vmcnt(13)
	v_xor_b32_e32 v1, 0x80000000, v27
	v_pk_fma_f32 v[10:11], v[32:33], v[18:19], v[10:11] op_sel:[1,1,0] op_sel_hi:[0,1,1] neg_lo:[1,0,0]
	v_pk_fma_f32 v[8:9], v[38:39], v[18:19], v[8:9] op_sel:[0,1,0]
	v_pk_fma_f32 v[12:13], v[26:27], v[22:23], v[12:13] op_sel:[1,0,0] op_sel_hi:[0,0,1]
	v_mov_b32_e32 v27, v1
	s_waitcnt vmcnt(11)
	v_xor_b32_e32 v1, 0x80000000, v47
	v_pk_fma_f32 v[10:11], v[36:37], v[22:23], v[10:11] op_sel_hi:[1,0,1]
	v_pk_fma_f32 v[12:13], v[26:27], v[22:23], v[12:13] op_sel:[0,1,0]
	v_pk_fma_f32 v[8:9], v[46:47], v[22:23], v[8:9] op_sel:[1,0,0] op_sel_hi:[0,0,1]
	v_mov_b32_e32 v47, v1
	s_waitcnt vmcnt(9)
	v_xor_b32_e32 v1, 0x80000000, v31
	v_pk_fma_f32 v[10:11], v[36:37], v[22:23], v[10:11] op_sel:[1,1,0] op_sel_hi:[0,1,1] neg_lo:[1,0,0]
	v_pk_fma_f32 v[12:13], v[30:31], v[48:49], v[12:13] op_sel:[1,0,0] op_sel_hi:[0,0,1]
	v_pk_fma_f32 v[8:9], v[46:47], v[22:23], v[8:9] op_sel:[0,1,0]
	v_mov_b32_e32 v31, v1
	s_waitcnt vmcnt(7)
	v_xor_b32_e32 v1, 0x80000000, v55
	v_pk_fma_f32 v[10:11], v[44:45], v[48:49], v[10:11] op_sel_hi:[1,0,1]
	v_pk_fma_f32 v[12:13], v[30:31], v[48:49], v[12:13] op_sel:[0,1,0]
	v_pk_fma_f32 v[8:9], v[54:55], v[48:49], v[8:9] op_sel:[1,0,0] op_sel_hi:[0,0,1]
	v_mov_b32_e32 v55, v1
	s_waitcnt vmcnt(5)
	v_xor_b32_e32 v1, 0x80000000, v41
	v_pk_fma_f32 v[10:11], v[44:45], v[48:49], v[10:11] op_sel:[1,1,0] op_sel_hi:[0,1,1] neg_lo:[1,0,0]
	v_pk_fma_f32 v[12:13], v[40:41], v[56:57], v[12:13] op_sel:[1,0,0] op_sel_hi:[0,0,1]
	v_pk_fma_f32 v[8:9], v[54:55], v[48:49], v[8:9] op_sel:[0,1,0]
	v_mov_b32_e32 v41, v1
	s_waitcnt vmcnt(3)
	v_xor_b32_e32 v1, 0x80000000, v61
	v_pk_fma_f32 v[10:11], v[52:53], v[56:57], v[10:11] op_sel_hi:[1,0,1]
	v_pk_fma_f32 v[8:9], v[60:61], v[56:57], v[8:9] op_sel:[1,0,0] op_sel_hi:[0,0,1]
	v_mov_b32_e32 v61, v1
	v_pk_fma_f32 v[10:11], v[52:53], v[56:57], v[10:11] op_sel:[1,1,0] op_sel_hi:[0,1,1] neg_lo:[1,0,0]
	v_pk_fma_f32 v[12:13], v[40:41], v[56:57], v[12:13] op_sel:[0,1,0]
	s_waitcnt vmcnt(2)
	v_xor_b32_e32 v1, 0x80000000, v51
	v_pk_fma_f32 v[8:9], v[60:61], v[56:57], v[8:9] op_sel:[0,1,0]
	s_waitcnt vmcnt(1)
	v_xor_b32_e32 v15, 0x80000000, v63
	s_waitcnt vmcnt(0)
	v_pk_fma_f32 v[10:11], v[58:59], v[64:65], v[10:11] op_sel_hi:[1,0,1]
	v_pk_fma_f32 v[12:13], v[50:51], v[64:65], v[12:13] op_sel:[1,0,0] op_sel_hi:[0,0,1]
	v_mov_b32_e32 v51, v1
	v_pk_fma_f32 v[8:9], v[62:63], v[64:65], v[8:9] op_sel:[1,0,0] op_sel_hi:[0,0,1]
	v_mov_b32_e32 v63, v15
	v_pk_fma_f32 v[10:11], v[58:59], v[64:65], v[10:11] op_sel:[1,1,0] op_sel_hi:[0,1,1] neg_lo:[1,0,0]
	v_pk_fma_f32 v[12:13], v[50:51], v[64:65], v[12:13] op_sel:[0,1,0]
	v_pk_fma_f32 v[8:9], v[62:63], v[64:65], v[8:9] op_sel:[0,1,0]
	s_andn2_b64 exec, exec, s[2:3]
	s_cbranch_execnz .LBB91_21
; %bb.22:
	s_or_b64 exec, exec, s[2:3]
.LBB91_23:
	s_or_b64 exec, exec, s[4:5]
.LBB91_24:
	v_mov_b32_dpp v15, v12 row_shr:1 row_mask:0xf bank_mask:0xf
	v_add_f32_e32 v12, v12, v15
	v_mov_b32_dpp v0, v10 row_shr:1 row_mask:0xf bank_mask:0xf
	v_add_f32_e32 v0, v10, v0
	v_mov_b32_dpp v15, v12 row_shr:2 row_mask:0xf bank_mask:0xf
	v_add_f32_e32 v12, v12, v15
	v_mov_b32_dpp v10, v11 row_shr:1 row_mask:0xf bank_mask:0xf
	v_mov_b32_dpp v14, v13 row_shr:1 row_mask:0xf bank_mask:0xf
	;; [unrolled: 1-line block ×3, first 2 shown]
	v_add_f32_e32 v15, v12, v15
	v_mov_b32_dpp v12, v9 row_shr:1 row_mask:0xf bank_mask:0xf
	v_add_f32_e32 v9, v9, v12
	v_add_f32_e32 v10, v11, v10
	;; [unrolled: 1-line block ×3, first 2 shown]
	v_mov_b32_dpp v12, v9 row_shr:2 row_mask:0xf bank_mask:0xf
	v_add_f32_e32 v9, v9, v12
	v_mov_b32_dpp v1, v0 row_shr:2 row_mask:0xf bank_mask:0xf
	v_mov_b32_dpp v11, v10 row_shr:2 row_mask:0xf bank_mask:0xf
	;; [unrolled: 1-line block ×3, first 2 shown]
	v_add_f32_e32 v9, v9, v12
	v_mov_b32_dpp v14, v13 row_shr:2 row_mask:0xf bank_mask:0xf
	v_mov_b32_dpp v12, v8 row_shr:1 row_mask:0xf bank_mask:0xf
	v_add_f32_e32 v8, v8, v12
	v_add_f32_e32 v0, v0, v1
	;; [unrolled: 1-line block ×3, first 2 shown]
	v_mov_b32_dpp v12, v8 row_shr:2 row_mask:0xf bank_mask:0xf
	v_add_f32_e32 v13, v13, v14
	v_add_f32_e32 v8, v8, v12
	v_mov_b32_dpp v1, v0 row_shr:4 row_mask:0xf bank_mask:0xe
	v_mov_b32_dpp v11, v10 row_shr:4 row_mask:0xf bank_mask:0xe
	;; [unrolled: 1-line block ×4, first 2 shown]
	v_add_f32_e32 v0, v0, v1
	v_add_f32_e32 v10, v10, v11
	;; [unrolled: 1-line block ×4, first 2 shown]
	v_mov_b32_dpp v1, v0 row_shr:8 row_mask:0xf bank_mask:0xc
	v_mov_b32_dpp v11, v10 row_shr:8 row_mask:0xf bank_mask:0xc
	;; [unrolled: 1-line block ×6, first 2 shown]
	v_cmp_eq_u32_e32 vcc, 15, v7
	s_and_b64 exec, exec, vcc
	s_cbranch_execz .LBB91_29
; %bb.25:
	s_load_dwordx2 s[2:3], s[0:1], 0x38
	v_add_f32_e32 v12, v0, v1
	v_and_b32_e32 v1, 0x7fffffff, v4
	v_cmp_eq_u32_e32 vcc, 0, v1
	v_cmp_eq_f32_e64 s[0:1], 0, v5
	v_add_f32_e32 v16, v10, v11
	v_add_f32_e32 v10, v13, v14
	;; [unrolled: 1-line block ×5, first 2 shown]
	s_and_b64 s[0:1], vcc, s[0:1]
	s_and_saveexec_b64 s[4:5], s[0:1]
	s_xor_b64 s[0:1], exec, s[4:5]
	s_cbranch_execz .LBB91_27
; %bb.26:
	v_lshl_add_u32 v4, v6, 1, v6
	v_xor_b32_e32 v18, 0x80000000, v3
	v_ashrrev_i32_e32 v5, 31, v4
	v_mov_b32_e32 v19, v2
	s_waitcnt lgkmcnt(0)
	v_lshl_add_u64 v[20:21], v[4:5], 3, s[2:3]
	v_pk_mul_f32 v[4:5], v[16:17], v[18:19] op_sel_hi:[0,1]
	v_pk_mul_f32 v[6:7], v[14:15], v[18:19] op_sel_hi:[0,1]
	v_pk_fma_f32 v[4:5], v[2:3], v[12:13], v[4:5] op_sel_hi:[1,0,1]
	v_pk_fma_f32 v[6:7], v[2:3], v[10:11], v[6:7] op_sel_hi:[1,0,1]
	global_store_dwordx4 v[20:21], v[4:7], off
                                        ; implicit-def: $vgpr6
                                        ; implicit-def: $vgpr12
                                        ; implicit-def: $vgpr16
                                        ; implicit-def: $vgpr10
                                        ; implicit-def: $vgpr14
	s_nop 1
	v_pk_mul_f32 v[4:5], v[8:9], v[18:19] op_sel_hi:[0,1]
	v_pk_fma_f32 v[0:1], v[2:3], v[0:1], v[4:5] op_sel_hi:[1,0,1]
	global_store_dwordx2 v[20:21], v[0:1], off offset:16
                                        ; implicit-def: $vgpr3
                                        ; implicit-def: $vgpr4
                                        ; implicit-def: $vgpr0
                                        ; implicit-def: $vgpr8
.LBB91_27:
	s_andn2_saveexec_b64 s[0:1], s[0:1]
	s_cbranch_execz .LBB91_29
; %bb.28:
	v_lshl_add_u32 v6, v6, 1, v6
	v_ashrrev_i32_e32 v7, 31, v6
	s_waitcnt lgkmcnt(0)
	v_lshl_add_u64 v[6:7], v[6:7], 3, s[2:3]
	global_load_dwordx4 v[18:21], v[6:7], off
	global_load_dwordx2 v[22:23], v[6:7], off offset:16
	v_xor_b32_e32 v24, 0x80000000, v3
	v_mov_b32_e32 v25, v2
	v_pk_mul_f32 v[16:17], v[16:17], v[24:25] op_sel_hi:[0,1]
	v_pk_mul_f32 v[14:15], v[14:15], v[24:25] op_sel_hi:[0,1]
	;; [unrolled: 1-line block ×3, first 2 shown]
	v_pk_fma_f32 v[12:13], v[2:3], v[12:13], v[16:17] op_sel_hi:[1,0,1]
	v_pk_fma_f32 v[10:11], v[2:3], v[10:11], v[14:15] op_sel_hi:[1,0,1]
	v_xor_b32_e32 v26, 0x80000000, v5
	v_mov_b32_e32 v27, v4
	v_pk_fma_f32 v[0:1], v[2:3], v[0:1], v[8:9] op_sel_hi:[1,0,1]
	s_waitcnt vmcnt(1)
	v_pk_fma_f32 v[2:3], v[4:5], v[18:19], v[12:13] op_sel_hi:[1,0,1]
	v_pk_fma_f32 v[8:9], v[4:5], v[20:21], v[10:11] op_sel_hi:[1,0,1]
	v_mov_b32_e32 v10, v21
	s_waitcnt vmcnt(0)
	v_pk_fma_f32 v[4:5], v[4:5], v[22:23], v[0:1] op_sel_hi:[1,0,1]
	v_pk_fma_f32 v[0:1], v[26:27], v[18:19], v[2:3] op_sel:[0,1,0]
	v_pk_fma_f32 v[2:3], v[26:27], v[10:11], v[8:9] op_sel_hi:[1,0,1]
	v_pk_fma_f32 v[4:5], v[26:27], v[22:23], v[4:5] op_sel:[0,1,0]
	global_store_dwordx4 v[6:7], v[0:3], off
	global_store_dwordx2 v[6:7], v[4:5], off offset:16
.LBB91_29:
	s_endpgm
	.section	.rodata,"a",@progbits
	.p2align	6, 0x0
	.amdhsa_kernel _ZN9rocsparseL19gebsrmvn_3xn_kernelILj128ELj5ELj16E21rocsparse_complex_numIfEEEvi20rocsparse_direction_NS_24const_host_device_scalarIT2_EEPKiS8_PKS5_SA_S6_PS5_21rocsparse_index_base_b
		.amdhsa_group_segment_fixed_size 0
		.amdhsa_private_segment_fixed_size 0
		.amdhsa_kernarg_size 72
		.amdhsa_user_sgpr_count 2
		.amdhsa_user_sgpr_dispatch_ptr 0
		.amdhsa_user_sgpr_queue_ptr 0
		.amdhsa_user_sgpr_kernarg_segment_ptr 1
		.amdhsa_user_sgpr_dispatch_id 0
		.amdhsa_user_sgpr_kernarg_preload_length 0
		.amdhsa_user_sgpr_kernarg_preload_offset 0
		.amdhsa_user_sgpr_private_segment_size 0
		.amdhsa_uses_dynamic_stack 0
		.amdhsa_enable_private_segment 0
		.amdhsa_system_sgpr_workgroup_id_x 1
		.amdhsa_system_sgpr_workgroup_id_y 0
		.amdhsa_system_sgpr_workgroup_id_z 0
		.amdhsa_system_sgpr_workgroup_info 0
		.amdhsa_system_vgpr_workitem_id 0
		.amdhsa_next_free_vgpr 68
		.amdhsa_next_free_sgpr 16
		.amdhsa_accum_offset 68
		.amdhsa_reserve_vcc 1
		.amdhsa_float_round_mode_32 0
		.amdhsa_float_round_mode_16_64 0
		.amdhsa_float_denorm_mode_32 3
		.amdhsa_float_denorm_mode_16_64 3
		.amdhsa_dx10_clamp 1
		.amdhsa_ieee_mode 1
		.amdhsa_fp16_overflow 0
		.amdhsa_tg_split 0
		.amdhsa_exception_fp_ieee_invalid_op 0
		.amdhsa_exception_fp_denorm_src 0
		.amdhsa_exception_fp_ieee_div_zero 0
		.amdhsa_exception_fp_ieee_overflow 0
		.amdhsa_exception_fp_ieee_underflow 0
		.amdhsa_exception_fp_ieee_inexact 0
		.amdhsa_exception_int_div_zero 0
	.end_amdhsa_kernel
	.section	.text._ZN9rocsparseL19gebsrmvn_3xn_kernelILj128ELj5ELj16E21rocsparse_complex_numIfEEEvi20rocsparse_direction_NS_24const_host_device_scalarIT2_EEPKiS8_PKS5_SA_S6_PS5_21rocsparse_index_base_b,"axG",@progbits,_ZN9rocsparseL19gebsrmvn_3xn_kernelILj128ELj5ELj16E21rocsparse_complex_numIfEEEvi20rocsparse_direction_NS_24const_host_device_scalarIT2_EEPKiS8_PKS5_SA_S6_PS5_21rocsparse_index_base_b,comdat
.Lfunc_end91:
	.size	_ZN9rocsparseL19gebsrmvn_3xn_kernelILj128ELj5ELj16E21rocsparse_complex_numIfEEEvi20rocsparse_direction_NS_24const_host_device_scalarIT2_EEPKiS8_PKS5_SA_S6_PS5_21rocsparse_index_base_b, .Lfunc_end91-_ZN9rocsparseL19gebsrmvn_3xn_kernelILj128ELj5ELj16E21rocsparse_complex_numIfEEEvi20rocsparse_direction_NS_24const_host_device_scalarIT2_EEPKiS8_PKS5_SA_S6_PS5_21rocsparse_index_base_b
                                        ; -- End function
	.section	.AMDGPU.csdata,"",@progbits
; Kernel info:
; codeLenInByte = 2952
; NumSgprs: 22
; NumVgprs: 68
; NumAgprs: 0
; TotalNumVgprs: 68
; ScratchSize: 0
; MemoryBound: 0
; FloatMode: 240
; IeeeMode: 1
; LDSByteSize: 0 bytes/workgroup (compile time only)
; SGPRBlocks: 2
; VGPRBlocks: 8
; NumSGPRsForWavesPerEU: 22
; NumVGPRsForWavesPerEU: 68
; AccumOffset: 68
; Occupancy: 7
; WaveLimiterHint : 1
; COMPUTE_PGM_RSRC2:SCRATCH_EN: 0
; COMPUTE_PGM_RSRC2:USER_SGPR: 2
; COMPUTE_PGM_RSRC2:TRAP_HANDLER: 0
; COMPUTE_PGM_RSRC2:TGID_X_EN: 1
; COMPUTE_PGM_RSRC2:TGID_Y_EN: 0
; COMPUTE_PGM_RSRC2:TGID_Z_EN: 0
; COMPUTE_PGM_RSRC2:TIDIG_COMP_CNT: 0
; COMPUTE_PGM_RSRC3_GFX90A:ACCUM_OFFSET: 16
; COMPUTE_PGM_RSRC3_GFX90A:TG_SPLIT: 0
	.section	.text._ZN9rocsparseL19gebsrmvn_3xn_kernelILj128ELj5ELj32E21rocsparse_complex_numIfEEEvi20rocsparse_direction_NS_24const_host_device_scalarIT2_EEPKiS8_PKS5_SA_S6_PS5_21rocsparse_index_base_b,"axG",@progbits,_ZN9rocsparseL19gebsrmvn_3xn_kernelILj128ELj5ELj32E21rocsparse_complex_numIfEEEvi20rocsparse_direction_NS_24const_host_device_scalarIT2_EEPKiS8_PKS5_SA_S6_PS5_21rocsparse_index_base_b,comdat
	.globl	_ZN9rocsparseL19gebsrmvn_3xn_kernelILj128ELj5ELj32E21rocsparse_complex_numIfEEEvi20rocsparse_direction_NS_24const_host_device_scalarIT2_EEPKiS8_PKS5_SA_S6_PS5_21rocsparse_index_base_b ; -- Begin function _ZN9rocsparseL19gebsrmvn_3xn_kernelILj128ELj5ELj32E21rocsparse_complex_numIfEEEvi20rocsparse_direction_NS_24const_host_device_scalarIT2_EEPKiS8_PKS5_SA_S6_PS5_21rocsparse_index_base_b
	.p2align	8
	.type	_ZN9rocsparseL19gebsrmvn_3xn_kernelILj128ELj5ELj32E21rocsparse_complex_numIfEEEvi20rocsparse_direction_NS_24const_host_device_scalarIT2_EEPKiS8_PKS5_SA_S6_PS5_21rocsparse_index_base_b,@function
_ZN9rocsparseL19gebsrmvn_3xn_kernelILj128ELj5ELj32E21rocsparse_complex_numIfEEEvi20rocsparse_direction_NS_24const_host_device_scalarIT2_EEPKiS8_PKS5_SA_S6_PS5_21rocsparse_index_base_b: ; @_ZN9rocsparseL19gebsrmvn_3xn_kernelILj128ELj5ELj32E21rocsparse_complex_numIfEEEvi20rocsparse_direction_NS_24const_host_device_scalarIT2_EEPKiS8_PKS5_SA_S6_PS5_21rocsparse_index_base_b
; %bb.0:
	s_load_dwordx2 s[12:13], s[0:1], 0x40
	s_load_dwordx2 s[8:9], s[0:1], 0x8
	;; [unrolled: 1-line block ×3, first 2 shown]
	s_waitcnt lgkmcnt(0)
	s_bitcmp1_b32 s13, 0
	s_cselect_b64 s[4:5], -1, 0
	s_xor_b64 s[10:11], s[4:5], -1
	s_and_b64 vcc, exec, s[4:5]
	v_mov_b32_e32 v2, s8
	s_cbranch_vccnz .LBB92_2
; %bb.1:
	v_mov_b64_e32 v[2:3], s[8:9]
	flat_load_dword v2, v[2:3]
.LBB92_2:
	v_cndmask_b32_e64 v1, 0, 1, s[10:11]
	v_cmp_ne_u32_e64 s[4:5], 1, v1
	s_andn2_b64 vcc, exec, s[10:11]
	v_mov_b32_e32 v3, s9
	s_cbranch_vccz .LBB92_16
; %bb.3:
	s_and_b64 vcc, exec, s[4:5]
	v_mov_b32_e32 v4, s6
	s_cbranch_vccz .LBB92_17
.LBB92_4:
	s_and_b64 vcc, exec, s[4:5]
	v_mov_b32_e32 v5, s7
	s_cbranch_vccnz .LBB92_6
.LBB92_5:
	v_mov_b64_e32 v[6:7], s[6:7]
	flat_load_dword v5, v[6:7] offset:4
.LBB92_6:
	s_waitcnt vmcnt(0) lgkmcnt(0)
	v_and_b32_e32 v1, 0x7fffffff, v2
	v_cmp_eq_u32_e32 vcc, 0, v1
	v_cmp_eq_f32_e64 s[4:5], 0, v3
	s_and_b64 s[8:9], vcc, s[4:5]
	s_mov_b64 s[4:5], -1
	s_and_saveexec_b64 s[6:7], s[8:9]
; %bb.7:
	v_and_b32_e32 v1, 0x7fffffff, v5
	v_cmp_neq_f32_e32 vcc, 1.0, v4
	v_cmp_ne_u32_e64 s[4:5], 0, v1
	s_or_b64 s[4:5], vcc, s[4:5]
	s_orn2_b64 s[4:5], s[4:5], exec
; %bb.8:
	s_or_b64 exec, exec, s[6:7]
	s_and_saveexec_b64 s[6:7], s[4:5]
	s_cbranch_execz .LBB92_29
; %bb.9:
	s_load_dwordx2 s[14:15], s[0:1], 0x0
	v_lshrrev_b32_e32 v1, 5, v0
	v_lshl_or_b32 v6, s2, 2, v1
	s_waitcnt lgkmcnt(0)
	v_cmp_gt_i32_e32 vcc, s14, v6
	s_and_b64 exec, exec, vcc
	s_cbranch_execz .LBB92_29
; %bb.10:
	s_load_dwordx8 s[4:11], s[0:1], 0x10
	v_ashrrev_i32_e32 v7, 31, v6
	s_cmp_lg_u32 s15, 0
	s_waitcnt lgkmcnt(0)
	v_lshl_add_u64 v[8:9], v[6:7], 2, s[4:5]
	global_load_dwordx2 v[8:9], v[8:9], off
	v_and_b32_e32 v7, 31, v0
	s_waitcnt vmcnt(0)
	v_subrev_u32_e32 v0, s12, v8
	v_subrev_u32_e32 v20, s12, v9
	v_add_u32_e32 v0, v0, v7
	v_cmp_lt_i32_e64 s[2:3], v0, v20
	s_cbranch_scc0 .LBB92_18
; %bb.11:
	v_mov_b32_e32 v11, 0
	v_mov_b32_e32 v10, v11
	;; [unrolled: 1-line block ×6, first 2 shown]
	s_and_saveexec_b64 s[4:5], s[2:3]
	s_cbranch_execz .LBB92_15
; %bb.12:
	v_mad_u64_u32 v[14:15], s[14:15], v0, 15, 14
	v_mov_b32_e32 v17, 0
	s_mov_b64 s[14:15], 0
	v_mov_b32_e32 v18, v0
	v_mov_b32_e32 v12, v17
	;; [unrolled: 1-line block ×7, first 2 shown]
.LBB92_13:                              ; =>This Inner Loop Header: Depth=1
	v_ashrrev_i32_e32 v19, 31, v18
	v_lshl_add_u64 v[22:23], v[18:19], 2, s[6:7]
	global_load_dword v1, v[22:23], off
	v_add_u32_e32 v16, -14, v14
	v_lshl_add_u64 v[24:25], v[16:17], 3, s[8:9]
	v_add_u32_e32 v16, -13, v14
	v_lshl_add_u64 v[28:29], v[16:17], 3, s[8:9]
	;; [unrolled: 2-line block ×4, first 2 shown]
	global_load_dwordx2 v[24:25], v[24:25], off
	v_mov_b32_e32 v23, v17
	global_load_dwordx2 v[28:29], v[28:29], off
	s_nop 0
	global_load_dwordx2 v[34:35], v[32:33], off
	global_load_dwordx2 v[36:37], v[30:31], off
	v_mov_b32_e32 v15, v17
	v_lshl_add_u64 v[26:27], v[14:15], 3, s[8:9]
	v_add_u32_e32 v18, 32, v18
	v_cmp_ge_i32_e32 vcc, v18, v20
	s_or_b64 s[14:15], vcc, s[14:15]
	s_waitcnt vmcnt(4)
	v_subrev_u32_e32 v1, s12, v1
	v_lshl_add_u32 v22, v1, 2, v1
	v_add_u32_e32 v16, 1, v22
	v_lshl_add_u64 v[32:33], v[16:17], 3, s[10:11]
	v_add_u32_e32 v16, -10, v14
	v_lshl_add_u64 v[38:39], v[16:17], 3, s[8:9]
	v_add_u32_e32 v16, -9, v14
	;; [unrolled: 2-line block ×3, first 2 shown]
	v_lshl_add_u64 v[42:43], v[16:17], 3, s[8:9]
	v_add_u32_e32 v16, 2, v22
	v_lshl_add_u64 v[30:31], v[22:23], 3, s[10:11]
	v_lshl_add_u64 v[44:45], v[16:17], 3, s[10:11]
	v_add_u32_e32 v16, -7, v14
	global_load_dwordx2 v[30:31], v[30:31], off
	s_waitcnt vmcnt(3)
	v_xor_b32_e32 v1, 0x80000000, v29
	global_load_dwordx2 v[32:33], v[32:33], off
	s_waitcnt vmcnt(2)
	v_xor_b32_e32 v15, 0x80000000, v37
	global_load_dwordx2 v[38:39], v[38:39], off
	s_nop 0
	global_load_dwordx2 v[46:47], v[42:43], off
	global_load_dwordx2 v[48:49], v[40:41], off
	;; [unrolled: 1-line block ×3, first 2 shown]
	v_lshl_add_u64 v[40:41], v[16:17], 3, s[8:9]
	v_add_u32_e32 v16, -6, v14
	v_lshl_add_u64 v[42:43], v[16:17], 3, s[8:9]
	v_add_u32_e32 v16, -5, v14
	v_lshl_add_u64 v[44:45], v[16:17], 3, s[8:9]
	v_add_u32_e32 v16, 3, v22
	v_lshl_add_u64 v[52:53], v[16:17], 3, s[10:11]
	v_add_u32_e32 v16, -4, v14
	global_load_dwordx2 v[40:41], v[40:41], off
	s_nop 0
	global_load_dwordx2 v[54:55], v[44:45], off
	global_load_dwordx2 v[56:57], v[42:43], off
	;; [unrolled: 1-line block ×3, first 2 shown]
	v_lshl_add_u64 v[42:43], v[16:17], 3, s[8:9]
	v_add_u32_e32 v16, -3, v14
	v_lshl_add_u64 v[44:45], v[16:17], 3, s[8:9]
	v_add_u32_e32 v16, -2, v14
	global_load_dwordx2 v[42:43], v[42:43], off
	v_lshl_add_u64 v[52:53], v[16:17], 3, s[8:9]
	v_add_u32_e32 v16, 4, v22
	global_load_dwordx2 v[60:61], v[52:53], off
	global_load_dwordx2 v[62:63], v[44:45], off
	v_lshl_add_u64 v[22:23], v[16:17], 3, s[10:11]
	v_add_u32_e32 v16, -1, v14
	v_lshl_add_u64 v[44:45], v[16:17], 3, s[8:9]
	global_load_dwordx2 v[52:53], v[44:45], off
	global_load_dwordx2 v[64:65], v[26:27], off
	;; [unrolled: 1-line block ×3, first 2 shown]
	v_add_u32_e32 v14, 0x1e0, v14
	s_waitcnt vmcnt(15)
	v_pk_fma_f32 v[12:13], v[28:29], v[30:31], v[12:13] op_sel:[1,0,0] op_sel_hi:[0,0,1]
	v_mov_b32_e32 v29, v1
	v_pk_fma_f32 v[10:11], v[24:25], v[30:31], v[10:11] op_sel_hi:[1,0,1]
	v_pk_fma_f32 v[8:9], v[36:37], v[30:31], v[8:9] op_sel:[1,0,0] op_sel_hi:[0,0,1]
	v_mov_b32_e32 v37, v15
	v_pk_fma_f32 v[12:13], v[28:29], v[30:31], v[12:13] op_sel:[0,1,0]
	s_waitcnt vmcnt(13)
	v_xor_b32_e32 v1, 0x80000000, v39
	v_pk_fma_f32 v[10:11], v[24:25], v[30:31], v[10:11] op_sel:[1,1,0] op_sel_hi:[0,1,1] neg_lo:[1,0,0]
	v_pk_fma_f32 v[8:9], v[36:37], v[30:31], v[8:9] op_sel:[0,1,0]
	v_pk_fma_f32 v[12:13], v[38:39], v[32:33], v[12:13] op_sel:[1,0,0] op_sel_hi:[0,0,1]
	v_mov_b32_e32 v39, v1
	s_waitcnt vmcnt(11)
	v_xor_b32_e32 v1, 0x80000000, v49
	v_pk_fma_f32 v[10:11], v[34:35], v[32:33], v[10:11] op_sel_hi:[1,0,1]
	v_pk_fma_f32 v[12:13], v[38:39], v[32:33], v[12:13] op_sel:[0,1,0]
	v_pk_fma_f32 v[8:9], v[48:49], v[32:33], v[8:9] op_sel:[1,0,0] op_sel_hi:[0,0,1]
	v_mov_b32_e32 v49, v1
	s_waitcnt vmcnt(9)
	v_xor_b32_e32 v1, 0x80000000, v41
	v_pk_fma_f32 v[10:11], v[34:35], v[32:33], v[10:11] op_sel:[1,1,0] op_sel_hi:[0,1,1] neg_lo:[1,0,0]
	v_pk_fma_f32 v[12:13], v[40:41], v[50:51], v[12:13] op_sel:[1,0,0] op_sel_hi:[0,0,1]
	v_pk_fma_f32 v[8:9], v[48:49], v[32:33], v[8:9] op_sel:[0,1,0]
	v_mov_b32_e32 v41, v1
	s_waitcnt vmcnt(7)
	v_xor_b32_e32 v1, 0x80000000, v57
	v_pk_fma_f32 v[10:11], v[46:47], v[50:51], v[10:11] op_sel_hi:[1,0,1]
	v_pk_fma_f32 v[12:13], v[40:41], v[50:51], v[12:13] op_sel:[0,1,0]
	v_pk_fma_f32 v[8:9], v[56:57], v[50:51], v[8:9] op_sel:[1,0,0] op_sel_hi:[0,0,1]
	v_mov_b32_e32 v57, v1
	s_waitcnt vmcnt(5)
	v_xor_b32_e32 v1, 0x80000000, v43
	v_pk_fma_f32 v[10:11], v[46:47], v[50:51], v[10:11] op_sel:[1,1,0] op_sel_hi:[0,1,1] neg_lo:[1,0,0]
	v_pk_fma_f32 v[12:13], v[42:43], v[58:59], v[12:13] op_sel:[1,0,0] op_sel_hi:[0,0,1]
	v_pk_fma_f32 v[8:9], v[56:57], v[50:51], v[8:9] op_sel:[0,1,0]
	v_mov_b32_e32 v43, v1
	s_waitcnt vmcnt(3)
	v_xor_b32_e32 v1, 0x80000000, v63
	v_pk_fma_f32 v[10:11], v[54:55], v[58:59], v[10:11] op_sel_hi:[1,0,1]
	v_pk_fma_f32 v[8:9], v[62:63], v[58:59], v[8:9] op_sel:[1,0,0] op_sel_hi:[0,0,1]
	v_mov_b32_e32 v63, v1
	v_pk_fma_f32 v[10:11], v[54:55], v[58:59], v[10:11] op_sel:[1,1,0] op_sel_hi:[0,1,1] neg_lo:[1,0,0]
	v_pk_fma_f32 v[12:13], v[42:43], v[58:59], v[12:13] op_sel:[0,1,0]
	s_waitcnt vmcnt(2)
	v_xor_b32_e32 v1, 0x80000000, v53
	v_pk_fma_f32 v[8:9], v[62:63], v[58:59], v[8:9] op_sel:[0,1,0]
	s_waitcnt vmcnt(1)
	v_xor_b32_e32 v15, 0x80000000, v65
	s_waitcnt vmcnt(0)
	v_pk_fma_f32 v[10:11], v[60:61], v[66:67], v[10:11] op_sel_hi:[1,0,1]
	v_pk_fma_f32 v[12:13], v[52:53], v[66:67], v[12:13] op_sel:[1,0,0] op_sel_hi:[0,0,1]
	v_mov_b32_e32 v53, v1
	v_pk_fma_f32 v[8:9], v[64:65], v[66:67], v[8:9] op_sel:[1,0,0] op_sel_hi:[0,0,1]
	v_mov_b32_e32 v65, v15
	v_pk_fma_f32 v[10:11], v[60:61], v[66:67], v[10:11] op_sel:[1,1,0] op_sel_hi:[0,1,1] neg_lo:[1,0,0]
	v_pk_fma_f32 v[12:13], v[52:53], v[66:67], v[12:13] op_sel:[0,1,0]
	v_pk_fma_f32 v[8:9], v[64:65], v[66:67], v[8:9] op_sel:[0,1,0]
	s_andn2_b64 exec, exec, s[14:15]
	s_cbranch_execnz .LBB92_13
; %bb.14:
	s_or_b64 exec, exec, s[14:15]
.LBB92_15:
	s_or_b64 exec, exec, s[4:5]
	s_cbranch_execz .LBB92_19
	s_branch .LBB92_24
.LBB92_16:
	v_mov_b64_e32 v[4:5], s[8:9]
	flat_load_dword v3, v[4:5] offset:4
	s_and_b64 vcc, exec, s[4:5]
	v_mov_b32_e32 v4, s6
	s_cbranch_vccnz .LBB92_4
.LBB92_17:
	v_mov_b64_e32 v[4:5], s[6:7]
	flat_load_dword v4, v[4:5]
	s_and_b64 vcc, exec, s[4:5]
	v_mov_b32_e32 v5, s7
	s_cbranch_vccz .LBB92_5
	s_branch .LBB92_6
.LBB92_18:
                                        ; implicit-def: $vgpr11
                                        ; implicit-def: $vgpr9
                                        ; implicit-def: $vgpr13
.LBB92_19:
	v_mov_b32_e32 v11, 0
	v_mov_b32_e32 v10, v11
	;; [unrolled: 1-line block ×6, first 2 shown]
	s_and_saveexec_b64 s[4:5], s[2:3]
	s_cbranch_execz .LBB92_23
; %bb.20:
	v_mad_u64_u32 v[14:15], s[2:3], v0, 15, 14
	v_mov_b32_e32 v17, 0
	s_mov_b64 s[2:3], 0
	v_mov_b32_e32 v12, v17
	v_mov_b32_e32 v13, v17
	;; [unrolled: 1-line block ×6, first 2 shown]
.LBB92_21:                              ; =>This Inner Loop Header: Depth=1
	v_ashrrev_i32_e32 v1, 31, v0
	v_lshl_add_u64 v[18:19], v[0:1], 2, s[6:7]
	global_load_dword v1, v[18:19], off
	v_add_u32_e32 v16, -14, v14
	v_add_u32_e32 v22, -4, v14
	v_mov_b32_e32 v23, v17
	v_lshl_add_u64 v[26:27], v[16:17], 3, s[8:9]
	v_add_u32_e32 v16, -13, v14
	v_add_u32_e32 v18, -9, v14
	v_mov_b32_e32 v19, v17
	v_lshl_add_u64 v[22:23], v[22:23], 3, s[8:9]
	v_lshl_add_u64 v[30:31], v[16:17], 3, s[8:9]
	;; [unrolled: 1-line block ×3, first 2 shown]
	global_load_dwordx2 v[32:33], v[26:27], off
	global_load_dwordx2 v[34:35], v[18:19], off
	global_load_dwordx2 v[36:37], v[30:31], off
	global_load_dwordx2 v[38:39], v[22:23], off
	v_mov_b32_e32 v25, v17
	v_mov_b32_e32 v15, v17
	v_lshl_add_u64 v[28:29], v[14:15], 3, s[8:9]
	v_add_u32_e32 v0, 32, v0
	v_cmp_ge_i32_e32 vcc, v0, v20
	s_or_b64 s[2:3], vcc, s[2:3]
	s_waitcnt vmcnt(4)
	v_subrev_u32_e32 v1, s12, v1
	v_lshl_add_u32 v24, v1, 2, v1
	v_add_u32_e32 v16, 1, v24
	v_lshl_add_u64 v[22:23], v[16:17], 3, s[10:11]
	v_add_u32_e32 v16, -8, v14
	v_lshl_add_u64 v[26:27], v[16:17], 3, s[8:9]
	v_add_u32_e32 v16, -3, v14
	;; [unrolled: 2-line block ×3, first 2 shown]
	v_lshl_add_u64 v[40:41], v[16:17], 3, s[8:9]
	v_add_u32_e32 v16, 2, v24
	v_lshl_add_u64 v[18:19], v[24:25], 3, s[10:11]
	v_lshl_add_u64 v[42:43], v[16:17], 3, s[10:11]
	v_add_u32_e32 v16, -7, v14
	global_load_dwordx2 v[18:19], v[18:19], off
	s_waitcnt vmcnt(3)
	v_xor_b32_e32 v1, 0x80000000, v35
	global_load_dwordx2 v[22:23], v[22:23], off
	s_waitcnt vmcnt(2)
	v_xor_b32_e32 v15, 0x80000000, v39
	global_load_dwordx2 v[26:27], v[26:27], off
	s_nop 0
	global_load_dwordx2 v[44:45], v[40:41], off
	global_load_dwordx2 v[46:47], v[30:31], off
	global_load_dwordx2 v[48:49], v[42:43], off
	v_lshl_add_u64 v[30:31], v[16:17], 3, s[8:9]
	v_add_u32_e32 v16, -2, v14
	v_lshl_add_u64 v[40:41], v[16:17], 3, s[8:9]
	v_add_u32_e32 v16, -11, v14
	v_lshl_add_u64 v[42:43], v[16:17], 3, s[8:9]
	v_add_u32_e32 v16, 3, v24
	v_lshl_add_u64 v[50:51], v[16:17], 3, s[10:11]
	v_add_u32_e32 v16, -6, v14
	global_load_dwordx2 v[30:31], v[30:31], off
	s_nop 0
	global_load_dwordx2 v[52:53], v[42:43], off
	global_load_dwordx2 v[54:55], v[40:41], off
	;; [unrolled: 1-line block ×3, first 2 shown]
	v_lshl_add_u64 v[40:41], v[16:17], 3, s[8:9]
	v_add_u32_e32 v16, -1, v14
	v_lshl_add_u64 v[42:43], v[16:17], 3, s[8:9]
	v_add_u32_e32 v16, -10, v14
	global_load_dwordx2 v[40:41], v[40:41], off
	v_lshl_add_u64 v[50:51], v[16:17], 3, s[8:9]
	v_add_u32_e32 v16, 4, v24
	global_load_dwordx2 v[58:59], v[50:51], off
	global_load_dwordx2 v[60:61], v[42:43], off
	v_lshl_add_u64 v[24:25], v[16:17], 3, s[10:11]
	v_add_u32_e32 v16, -5, v14
	v_lshl_add_u64 v[42:43], v[16:17], 3, s[8:9]
	global_load_dwordx2 v[50:51], v[42:43], off
	global_load_dwordx2 v[62:63], v[28:29], off
	;; [unrolled: 1-line block ×3, first 2 shown]
	v_add_u32_e32 v14, 0x1e0, v14
	s_waitcnt vmcnt(15)
	v_pk_fma_f32 v[12:13], v[34:35], v[18:19], v[12:13] op_sel:[1,0,0] op_sel_hi:[0,0,1]
	v_mov_b32_e32 v35, v1
	v_pk_fma_f32 v[10:11], v[32:33], v[18:19], v[10:11] op_sel_hi:[1,0,1]
	v_pk_fma_f32 v[8:9], v[38:39], v[18:19], v[8:9] op_sel:[1,0,0] op_sel_hi:[0,0,1]
	v_mov_b32_e32 v39, v15
	v_pk_fma_f32 v[12:13], v[34:35], v[18:19], v[12:13] op_sel:[0,1,0]
	s_waitcnt vmcnt(13)
	v_xor_b32_e32 v1, 0x80000000, v27
	v_pk_fma_f32 v[10:11], v[32:33], v[18:19], v[10:11] op_sel:[1,1,0] op_sel_hi:[0,1,1] neg_lo:[1,0,0]
	v_pk_fma_f32 v[8:9], v[38:39], v[18:19], v[8:9] op_sel:[0,1,0]
	v_pk_fma_f32 v[12:13], v[26:27], v[22:23], v[12:13] op_sel:[1,0,0] op_sel_hi:[0,0,1]
	v_mov_b32_e32 v27, v1
	s_waitcnt vmcnt(11)
	v_xor_b32_e32 v1, 0x80000000, v47
	v_pk_fma_f32 v[10:11], v[36:37], v[22:23], v[10:11] op_sel_hi:[1,0,1]
	v_pk_fma_f32 v[12:13], v[26:27], v[22:23], v[12:13] op_sel:[0,1,0]
	v_pk_fma_f32 v[8:9], v[46:47], v[22:23], v[8:9] op_sel:[1,0,0] op_sel_hi:[0,0,1]
	v_mov_b32_e32 v47, v1
	s_waitcnt vmcnt(9)
	v_xor_b32_e32 v1, 0x80000000, v31
	v_pk_fma_f32 v[10:11], v[36:37], v[22:23], v[10:11] op_sel:[1,1,0] op_sel_hi:[0,1,1] neg_lo:[1,0,0]
	v_pk_fma_f32 v[12:13], v[30:31], v[48:49], v[12:13] op_sel:[1,0,0] op_sel_hi:[0,0,1]
	v_pk_fma_f32 v[8:9], v[46:47], v[22:23], v[8:9] op_sel:[0,1,0]
	v_mov_b32_e32 v31, v1
	s_waitcnt vmcnt(7)
	v_xor_b32_e32 v1, 0x80000000, v55
	v_pk_fma_f32 v[10:11], v[44:45], v[48:49], v[10:11] op_sel_hi:[1,0,1]
	v_pk_fma_f32 v[12:13], v[30:31], v[48:49], v[12:13] op_sel:[0,1,0]
	v_pk_fma_f32 v[8:9], v[54:55], v[48:49], v[8:9] op_sel:[1,0,0] op_sel_hi:[0,0,1]
	v_mov_b32_e32 v55, v1
	s_waitcnt vmcnt(5)
	v_xor_b32_e32 v1, 0x80000000, v41
	v_pk_fma_f32 v[10:11], v[44:45], v[48:49], v[10:11] op_sel:[1,1,0] op_sel_hi:[0,1,1] neg_lo:[1,0,0]
	v_pk_fma_f32 v[12:13], v[40:41], v[56:57], v[12:13] op_sel:[1,0,0] op_sel_hi:[0,0,1]
	v_pk_fma_f32 v[8:9], v[54:55], v[48:49], v[8:9] op_sel:[0,1,0]
	v_mov_b32_e32 v41, v1
	s_waitcnt vmcnt(3)
	v_xor_b32_e32 v1, 0x80000000, v61
	v_pk_fma_f32 v[10:11], v[52:53], v[56:57], v[10:11] op_sel_hi:[1,0,1]
	v_pk_fma_f32 v[8:9], v[60:61], v[56:57], v[8:9] op_sel:[1,0,0] op_sel_hi:[0,0,1]
	v_mov_b32_e32 v61, v1
	v_pk_fma_f32 v[10:11], v[52:53], v[56:57], v[10:11] op_sel:[1,1,0] op_sel_hi:[0,1,1] neg_lo:[1,0,0]
	v_pk_fma_f32 v[12:13], v[40:41], v[56:57], v[12:13] op_sel:[0,1,0]
	s_waitcnt vmcnt(2)
	v_xor_b32_e32 v1, 0x80000000, v51
	v_pk_fma_f32 v[8:9], v[60:61], v[56:57], v[8:9] op_sel:[0,1,0]
	s_waitcnt vmcnt(1)
	v_xor_b32_e32 v15, 0x80000000, v63
	s_waitcnt vmcnt(0)
	v_pk_fma_f32 v[10:11], v[58:59], v[64:65], v[10:11] op_sel_hi:[1,0,1]
	v_pk_fma_f32 v[12:13], v[50:51], v[64:65], v[12:13] op_sel:[1,0,0] op_sel_hi:[0,0,1]
	v_mov_b32_e32 v51, v1
	v_pk_fma_f32 v[8:9], v[62:63], v[64:65], v[8:9] op_sel:[1,0,0] op_sel_hi:[0,0,1]
	v_mov_b32_e32 v63, v15
	v_pk_fma_f32 v[10:11], v[58:59], v[64:65], v[10:11] op_sel:[1,1,0] op_sel_hi:[0,1,1] neg_lo:[1,0,0]
	v_pk_fma_f32 v[12:13], v[50:51], v[64:65], v[12:13] op_sel:[0,1,0]
	v_pk_fma_f32 v[8:9], v[62:63], v[64:65], v[8:9] op_sel:[0,1,0]
	s_andn2_b64 exec, exec, s[2:3]
	s_cbranch_execnz .LBB92_21
; %bb.22:
	s_or_b64 exec, exec, s[2:3]
.LBB92_23:
	s_or_b64 exec, exec, s[4:5]
.LBB92_24:
	v_mov_b32_dpp v15, v12 row_shr:1 row_mask:0xf bank_mask:0xf
	v_add_f32_e32 v12, v12, v15
	v_mov_b32_dpp v0, v10 row_shr:1 row_mask:0xf bank_mask:0xf
	v_add_f32_e32 v0, v10, v0
	;; [unrolled: 2-line block ×3, first 2 shown]
	v_mov_b32_dpp v10, v11 row_shr:1 row_mask:0xf bank_mask:0xf
	v_mov_b32_dpp v14, v13 row_shr:1 row_mask:0xf bank_mask:0xf
	;; [unrolled: 1-line block ×3, first 2 shown]
	v_add_f32_e32 v12, v12, v15
	v_add_f32_e32 v10, v11, v10
	;; [unrolled: 1-line block ×3, first 2 shown]
	v_mov_b32_dpp v15, v12 row_shr:8 row_mask:0xf bank_mask:0xc
	v_add_f32_e32 v15, v12, v15
	v_mov_b32_dpp v12, v9 row_shr:1 row_mask:0xf bank_mask:0xf
	v_add_f32_e32 v9, v9, v12
	v_mov_b32_dpp v1, v0 row_shr:2 row_mask:0xf bank_mask:0xf
	v_mov_b32_dpp v11, v10 row_shr:2 row_mask:0xf bank_mask:0xf
	;; [unrolled: 1-line block ×3, first 2 shown]
	v_add_f32_e32 v9, v9, v12
	v_mov_b32_dpp v14, v13 row_shr:2 row_mask:0xf bank_mask:0xf
	v_add_f32_e32 v0, v0, v1
	v_mov_b32_dpp v12, v9 row_shr:4 row_mask:0xf bank_mask:0xe
	v_add_f32_e32 v9, v9, v12
	v_add_f32_e32 v10, v10, v11
	;; [unrolled: 1-line block ×3, first 2 shown]
	v_mov_b32_dpp v12, v9 row_shr:8 row_mask:0xf bank_mask:0xc
	v_add_f32_e32 v9, v9, v12
	v_mov_b32_dpp v1, v0 row_shr:4 row_mask:0xf bank_mask:0xe
	v_mov_b32_dpp v12, v8 row_shr:1 row_mask:0xf bank_mask:0xf
	v_add_f32_e32 v8, v8, v12
	v_mov_b32_dpp v11, v10 row_shr:4 row_mask:0xf bank_mask:0xe
	v_mov_b32_dpp v14, v13 row_shr:4 row_mask:0xf bank_mask:0xe
	;; [unrolled: 1-line block ×3, first 2 shown]
	v_add_f32_e32 v8, v8, v12
	v_add_f32_e32 v0, v0, v1
	;; [unrolled: 1-line block ×3, first 2 shown]
	v_mov_b32_dpp v12, v8 row_shr:4 row_mask:0xf bank_mask:0xe
	v_add_f32_e32 v13, v13, v14
	v_add_f32_e32 v8, v8, v12
	v_mov_b32_dpp v1, v0 row_shr:8 row_mask:0xf bank_mask:0xc
	v_mov_b32_dpp v11, v10 row_shr:8 row_mask:0xf bank_mask:0xc
	;; [unrolled: 1-line block ×4, first 2 shown]
	v_add_f32_e32 v0, v0, v1
	v_add_f32_e32 v10, v10, v11
	;; [unrolled: 1-line block ×4, first 2 shown]
	v_mov_b32_dpp v1, v0 row_bcast:15 row_mask:0xa bank_mask:0xf
	v_mov_b32_dpp v11, v10 row_bcast:15 row_mask:0xa bank_mask:0xf
	;; [unrolled: 1-line block ×6, first 2 shown]
	v_cmp_eq_u32_e32 vcc, 31, v7
	s_and_b64 exec, exec, vcc
	s_cbranch_execz .LBB92_29
; %bb.25:
	s_load_dwordx2 s[2:3], s[0:1], 0x38
	v_add_f32_e32 v12, v0, v1
	v_and_b32_e32 v1, 0x7fffffff, v4
	v_cmp_eq_u32_e32 vcc, 0, v1
	v_cmp_eq_f32_e64 s[0:1], 0, v5
	v_add_f32_e32 v16, v10, v11
	v_add_f32_e32 v10, v13, v14
	;; [unrolled: 1-line block ×5, first 2 shown]
	s_and_b64 s[0:1], vcc, s[0:1]
	s_and_saveexec_b64 s[4:5], s[0:1]
	s_xor_b64 s[0:1], exec, s[4:5]
	s_cbranch_execz .LBB92_27
; %bb.26:
	v_lshl_add_u32 v4, v6, 1, v6
	v_xor_b32_e32 v18, 0x80000000, v3
	v_ashrrev_i32_e32 v5, 31, v4
	v_mov_b32_e32 v19, v2
	s_waitcnt lgkmcnt(0)
	v_lshl_add_u64 v[20:21], v[4:5], 3, s[2:3]
	v_pk_mul_f32 v[4:5], v[16:17], v[18:19] op_sel_hi:[0,1]
	v_pk_mul_f32 v[6:7], v[14:15], v[18:19] op_sel_hi:[0,1]
	v_pk_fma_f32 v[4:5], v[2:3], v[12:13], v[4:5] op_sel_hi:[1,0,1]
	v_pk_fma_f32 v[6:7], v[2:3], v[10:11], v[6:7] op_sel_hi:[1,0,1]
	global_store_dwordx4 v[20:21], v[4:7], off
                                        ; implicit-def: $vgpr6
                                        ; implicit-def: $vgpr12
                                        ; implicit-def: $vgpr16
                                        ; implicit-def: $vgpr10
                                        ; implicit-def: $vgpr14
	s_nop 1
	v_pk_mul_f32 v[4:5], v[8:9], v[18:19] op_sel_hi:[0,1]
	v_pk_fma_f32 v[0:1], v[2:3], v[0:1], v[4:5] op_sel_hi:[1,0,1]
	global_store_dwordx2 v[20:21], v[0:1], off offset:16
                                        ; implicit-def: $vgpr3
                                        ; implicit-def: $vgpr4
                                        ; implicit-def: $vgpr0
                                        ; implicit-def: $vgpr8
.LBB92_27:
	s_andn2_saveexec_b64 s[0:1], s[0:1]
	s_cbranch_execz .LBB92_29
; %bb.28:
	v_lshl_add_u32 v6, v6, 1, v6
	v_ashrrev_i32_e32 v7, 31, v6
	s_waitcnt lgkmcnt(0)
	v_lshl_add_u64 v[6:7], v[6:7], 3, s[2:3]
	global_load_dwordx4 v[18:21], v[6:7], off
	global_load_dwordx2 v[22:23], v[6:7], off offset:16
	v_xor_b32_e32 v24, 0x80000000, v3
	v_mov_b32_e32 v25, v2
	v_pk_mul_f32 v[16:17], v[16:17], v[24:25] op_sel_hi:[0,1]
	v_pk_mul_f32 v[14:15], v[14:15], v[24:25] op_sel_hi:[0,1]
	;; [unrolled: 1-line block ×3, first 2 shown]
	v_pk_fma_f32 v[12:13], v[2:3], v[12:13], v[16:17] op_sel_hi:[1,0,1]
	v_pk_fma_f32 v[10:11], v[2:3], v[10:11], v[14:15] op_sel_hi:[1,0,1]
	v_xor_b32_e32 v26, 0x80000000, v5
	v_mov_b32_e32 v27, v4
	v_pk_fma_f32 v[0:1], v[2:3], v[0:1], v[8:9] op_sel_hi:[1,0,1]
	s_waitcnt vmcnt(1)
	v_pk_fma_f32 v[2:3], v[4:5], v[18:19], v[12:13] op_sel_hi:[1,0,1]
	v_pk_fma_f32 v[8:9], v[4:5], v[20:21], v[10:11] op_sel_hi:[1,0,1]
	v_mov_b32_e32 v10, v21
	s_waitcnt vmcnt(0)
	v_pk_fma_f32 v[4:5], v[4:5], v[22:23], v[0:1] op_sel_hi:[1,0,1]
	v_pk_fma_f32 v[0:1], v[26:27], v[18:19], v[2:3] op_sel:[0,1,0]
	v_pk_fma_f32 v[2:3], v[26:27], v[10:11], v[8:9] op_sel_hi:[1,0,1]
	v_pk_fma_f32 v[4:5], v[26:27], v[22:23], v[4:5] op_sel:[0,1,0]
	global_store_dwordx4 v[6:7], v[0:3], off
	global_store_dwordx2 v[6:7], v[4:5], off offset:16
.LBB92_29:
	s_endpgm
	.section	.rodata,"a",@progbits
	.p2align	6, 0x0
	.amdhsa_kernel _ZN9rocsparseL19gebsrmvn_3xn_kernelILj128ELj5ELj32E21rocsparse_complex_numIfEEEvi20rocsparse_direction_NS_24const_host_device_scalarIT2_EEPKiS8_PKS5_SA_S6_PS5_21rocsparse_index_base_b
		.amdhsa_group_segment_fixed_size 0
		.amdhsa_private_segment_fixed_size 0
		.amdhsa_kernarg_size 72
		.amdhsa_user_sgpr_count 2
		.amdhsa_user_sgpr_dispatch_ptr 0
		.amdhsa_user_sgpr_queue_ptr 0
		.amdhsa_user_sgpr_kernarg_segment_ptr 1
		.amdhsa_user_sgpr_dispatch_id 0
		.amdhsa_user_sgpr_kernarg_preload_length 0
		.amdhsa_user_sgpr_kernarg_preload_offset 0
		.amdhsa_user_sgpr_private_segment_size 0
		.amdhsa_uses_dynamic_stack 0
		.amdhsa_enable_private_segment 0
		.amdhsa_system_sgpr_workgroup_id_x 1
		.amdhsa_system_sgpr_workgroup_id_y 0
		.amdhsa_system_sgpr_workgroup_id_z 0
		.amdhsa_system_sgpr_workgroup_info 0
		.amdhsa_system_vgpr_workitem_id 0
		.amdhsa_next_free_vgpr 68
		.amdhsa_next_free_sgpr 16
		.amdhsa_accum_offset 68
		.amdhsa_reserve_vcc 1
		.amdhsa_float_round_mode_32 0
		.amdhsa_float_round_mode_16_64 0
		.amdhsa_float_denorm_mode_32 3
		.amdhsa_float_denorm_mode_16_64 3
		.amdhsa_dx10_clamp 1
		.amdhsa_ieee_mode 1
		.amdhsa_fp16_overflow 0
		.amdhsa_tg_split 0
		.amdhsa_exception_fp_ieee_invalid_op 0
		.amdhsa_exception_fp_denorm_src 0
		.amdhsa_exception_fp_ieee_div_zero 0
		.amdhsa_exception_fp_ieee_overflow 0
		.amdhsa_exception_fp_ieee_underflow 0
		.amdhsa_exception_fp_ieee_inexact 0
		.amdhsa_exception_int_div_zero 0
	.end_amdhsa_kernel
	.section	.text._ZN9rocsparseL19gebsrmvn_3xn_kernelILj128ELj5ELj32E21rocsparse_complex_numIfEEEvi20rocsparse_direction_NS_24const_host_device_scalarIT2_EEPKiS8_PKS5_SA_S6_PS5_21rocsparse_index_base_b,"axG",@progbits,_ZN9rocsparseL19gebsrmvn_3xn_kernelILj128ELj5ELj32E21rocsparse_complex_numIfEEEvi20rocsparse_direction_NS_24const_host_device_scalarIT2_EEPKiS8_PKS5_SA_S6_PS5_21rocsparse_index_base_b,comdat
.Lfunc_end92:
	.size	_ZN9rocsparseL19gebsrmvn_3xn_kernelILj128ELj5ELj32E21rocsparse_complex_numIfEEEvi20rocsparse_direction_NS_24const_host_device_scalarIT2_EEPKiS8_PKS5_SA_S6_PS5_21rocsparse_index_base_b, .Lfunc_end92-_ZN9rocsparseL19gebsrmvn_3xn_kernelILj128ELj5ELj32E21rocsparse_complex_numIfEEEvi20rocsparse_direction_NS_24const_host_device_scalarIT2_EEPKiS8_PKS5_SA_S6_PS5_21rocsparse_index_base_b
                                        ; -- End function
	.section	.AMDGPU.csdata,"",@progbits
; Kernel info:
; codeLenInByte = 3024
; NumSgprs: 22
; NumVgprs: 68
; NumAgprs: 0
; TotalNumVgprs: 68
; ScratchSize: 0
; MemoryBound: 0
; FloatMode: 240
; IeeeMode: 1
; LDSByteSize: 0 bytes/workgroup (compile time only)
; SGPRBlocks: 2
; VGPRBlocks: 8
; NumSGPRsForWavesPerEU: 22
; NumVGPRsForWavesPerEU: 68
; AccumOffset: 68
; Occupancy: 7
; WaveLimiterHint : 1
; COMPUTE_PGM_RSRC2:SCRATCH_EN: 0
; COMPUTE_PGM_RSRC2:USER_SGPR: 2
; COMPUTE_PGM_RSRC2:TRAP_HANDLER: 0
; COMPUTE_PGM_RSRC2:TGID_X_EN: 1
; COMPUTE_PGM_RSRC2:TGID_Y_EN: 0
; COMPUTE_PGM_RSRC2:TGID_Z_EN: 0
; COMPUTE_PGM_RSRC2:TIDIG_COMP_CNT: 0
; COMPUTE_PGM_RSRC3_GFX90A:ACCUM_OFFSET: 16
; COMPUTE_PGM_RSRC3_GFX90A:TG_SPLIT: 0
	.section	.text._ZN9rocsparseL19gebsrmvn_3xn_kernelILj128ELj5ELj64E21rocsparse_complex_numIfEEEvi20rocsparse_direction_NS_24const_host_device_scalarIT2_EEPKiS8_PKS5_SA_S6_PS5_21rocsparse_index_base_b,"axG",@progbits,_ZN9rocsparseL19gebsrmvn_3xn_kernelILj128ELj5ELj64E21rocsparse_complex_numIfEEEvi20rocsparse_direction_NS_24const_host_device_scalarIT2_EEPKiS8_PKS5_SA_S6_PS5_21rocsparse_index_base_b,comdat
	.globl	_ZN9rocsparseL19gebsrmvn_3xn_kernelILj128ELj5ELj64E21rocsparse_complex_numIfEEEvi20rocsparse_direction_NS_24const_host_device_scalarIT2_EEPKiS8_PKS5_SA_S6_PS5_21rocsparse_index_base_b ; -- Begin function _ZN9rocsparseL19gebsrmvn_3xn_kernelILj128ELj5ELj64E21rocsparse_complex_numIfEEEvi20rocsparse_direction_NS_24const_host_device_scalarIT2_EEPKiS8_PKS5_SA_S6_PS5_21rocsparse_index_base_b
	.p2align	8
	.type	_ZN9rocsparseL19gebsrmvn_3xn_kernelILj128ELj5ELj64E21rocsparse_complex_numIfEEEvi20rocsparse_direction_NS_24const_host_device_scalarIT2_EEPKiS8_PKS5_SA_S6_PS5_21rocsparse_index_base_b,@function
_ZN9rocsparseL19gebsrmvn_3xn_kernelILj128ELj5ELj64E21rocsparse_complex_numIfEEEvi20rocsparse_direction_NS_24const_host_device_scalarIT2_EEPKiS8_PKS5_SA_S6_PS5_21rocsparse_index_base_b: ; @_ZN9rocsparseL19gebsrmvn_3xn_kernelILj128ELj5ELj64E21rocsparse_complex_numIfEEEvi20rocsparse_direction_NS_24const_host_device_scalarIT2_EEPKiS8_PKS5_SA_S6_PS5_21rocsparse_index_base_b
; %bb.0:
	s_load_dwordx2 s[12:13], s[0:1], 0x40
	s_load_dwordx2 s[8:9], s[0:1], 0x8
	;; [unrolled: 1-line block ×3, first 2 shown]
	s_waitcnt lgkmcnt(0)
	s_bitcmp1_b32 s13, 0
	s_cselect_b64 s[4:5], -1, 0
	s_xor_b64 s[10:11], s[4:5], -1
	s_and_b64 vcc, exec, s[4:5]
	v_mov_b32_e32 v2, s8
	s_cbranch_vccnz .LBB93_2
; %bb.1:
	v_mov_b64_e32 v[2:3], s[8:9]
	flat_load_dword v2, v[2:3]
.LBB93_2:
	v_cndmask_b32_e64 v1, 0, 1, s[10:11]
	v_cmp_ne_u32_e64 s[4:5], 1, v1
	s_andn2_b64 vcc, exec, s[10:11]
	v_mov_b32_e32 v3, s9
	s_cbranch_vccz .LBB93_16
; %bb.3:
	s_and_b64 vcc, exec, s[4:5]
	v_mov_b32_e32 v4, s6
	s_cbranch_vccz .LBB93_17
.LBB93_4:
	s_and_b64 vcc, exec, s[4:5]
	v_mov_b32_e32 v5, s7
	s_cbranch_vccnz .LBB93_6
.LBB93_5:
	v_mov_b64_e32 v[6:7], s[6:7]
	flat_load_dword v5, v[6:7] offset:4
.LBB93_6:
	s_waitcnt vmcnt(0) lgkmcnt(0)
	v_and_b32_e32 v1, 0x7fffffff, v2
	v_cmp_eq_u32_e32 vcc, 0, v1
	v_cmp_eq_f32_e64 s[4:5], 0, v3
	s_and_b64 s[8:9], vcc, s[4:5]
	s_mov_b64 s[4:5], -1
	s_and_saveexec_b64 s[6:7], s[8:9]
; %bb.7:
	v_and_b32_e32 v1, 0x7fffffff, v5
	v_cmp_neq_f32_e32 vcc, 1.0, v4
	v_cmp_ne_u32_e64 s[4:5], 0, v1
	s_or_b64 s[4:5], vcc, s[4:5]
	s_orn2_b64 s[4:5], s[4:5], exec
; %bb.8:
	s_or_b64 exec, exec, s[6:7]
	s_and_saveexec_b64 s[6:7], s[4:5]
	s_cbranch_execz .LBB93_29
; %bb.9:
	s_load_dwordx2 s[14:15], s[0:1], 0x0
	v_lshrrev_b32_e32 v1, 6, v0
	v_lshl_or_b32 v6, s2, 1, v1
	s_waitcnt lgkmcnt(0)
	v_cmp_gt_i32_e32 vcc, s14, v6
	s_and_b64 exec, exec, vcc
	s_cbranch_execz .LBB93_29
; %bb.10:
	s_load_dwordx8 s[4:11], s[0:1], 0x10
	v_ashrrev_i32_e32 v7, 31, v6
	s_cmp_lg_u32 s15, 0
	s_waitcnt lgkmcnt(0)
	v_lshl_add_u64 v[8:9], v[6:7], 2, s[4:5]
	global_load_dwordx2 v[8:9], v[8:9], off
	v_and_b32_e32 v7, 63, v0
	s_waitcnt vmcnt(0)
	v_subrev_u32_e32 v0, s12, v8
	v_subrev_u32_e32 v20, s12, v9
	v_add_u32_e32 v0, v0, v7
	v_cmp_lt_i32_e64 s[2:3], v0, v20
	s_cbranch_scc0 .LBB93_18
; %bb.11:
	v_mov_b32_e32 v13, 0
	v_mov_b32_e32 v12, v13
	v_mov_b32_e32 v9, v13
	v_mov_b32_e32 v8, v13
	v_mov_b32_e32 v11, v13
	v_mov_b32_e32 v10, v13
	s_and_saveexec_b64 s[4:5], s[2:3]
	s_cbranch_execz .LBB93_15
; %bb.12:
	v_mad_u64_u32 v[14:15], s[14:15], v0, 15, 14
	v_mov_b32_e32 v17, 0
	s_mov_b64 s[14:15], 0
	v_mov_b32_e32 v18, v0
	v_mov_b32_e32 v10, v17
	;; [unrolled: 1-line block ×7, first 2 shown]
.LBB93_13:                              ; =>This Inner Loop Header: Depth=1
	v_ashrrev_i32_e32 v19, 31, v18
	v_lshl_add_u64 v[22:23], v[18:19], 2, s[6:7]
	global_load_dword v1, v[22:23], off
	v_add_u32_e32 v16, -14, v14
	v_lshl_add_u64 v[24:25], v[16:17], 3, s[8:9]
	v_add_u32_e32 v16, -13, v14
	v_lshl_add_u64 v[28:29], v[16:17], 3, s[8:9]
	;; [unrolled: 2-line block ×4, first 2 shown]
	global_load_dwordx2 v[24:25], v[24:25], off
	v_mov_b32_e32 v23, v17
	global_load_dwordx2 v[28:29], v[28:29], off
	s_nop 0
	global_load_dwordx2 v[34:35], v[32:33], off
	global_load_dwordx2 v[36:37], v[30:31], off
	v_mov_b32_e32 v15, v17
	v_lshl_add_u64 v[26:27], v[14:15], 3, s[8:9]
	v_add_u32_e32 v18, 64, v18
	v_cmp_ge_i32_e32 vcc, v18, v20
	s_or_b64 s[14:15], vcc, s[14:15]
	s_waitcnt vmcnt(4)
	v_subrev_u32_e32 v1, s12, v1
	v_lshl_add_u32 v22, v1, 2, v1
	v_add_u32_e32 v16, 1, v22
	v_lshl_add_u64 v[32:33], v[16:17], 3, s[10:11]
	v_add_u32_e32 v16, -10, v14
	v_lshl_add_u64 v[38:39], v[16:17], 3, s[8:9]
	v_add_u32_e32 v16, -9, v14
	;; [unrolled: 2-line block ×3, first 2 shown]
	v_lshl_add_u64 v[42:43], v[16:17], 3, s[8:9]
	v_add_u32_e32 v16, 2, v22
	v_lshl_add_u64 v[30:31], v[22:23], 3, s[10:11]
	v_lshl_add_u64 v[44:45], v[16:17], 3, s[10:11]
	v_add_u32_e32 v16, -7, v14
	global_load_dwordx2 v[30:31], v[30:31], off
	s_waitcnt vmcnt(3)
	v_xor_b32_e32 v1, 0x80000000, v29
	global_load_dwordx2 v[32:33], v[32:33], off
	s_waitcnt vmcnt(2)
	v_xor_b32_e32 v15, 0x80000000, v37
	global_load_dwordx2 v[38:39], v[38:39], off
	s_nop 0
	global_load_dwordx2 v[46:47], v[42:43], off
	global_load_dwordx2 v[48:49], v[40:41], off
	;; [unrolled: 1-line block ×3, first 2 shown]
	v_lshl_add_u64 v[40:41], v[16:17], 3, s[8:9]
	v_add_u32_e32 v16, -6, v14
	v_lshl_add_u64 v[42:43], v[16:17], 3, s[8:9]
	v_add_u32_e32 v16, -5, v14
	v_lshl_add_u64 v[44:45], v[16:17], 3, s[8:9]
	v_add_u32_e32 v16, 3, v22
	v_lshl_add_u64 v[52:53], v[16:17], 3, s[10:11]
	v_add_u32_e32 v16, -4, v14
	global_load_dwordx2 v[40:41], v[40:41], off
	s_nop 0
	global_load_dwordx2 v[54:55], v[44:45], off
	global_load_dwordx2 v[56:57], v[42:43], off
	;; [unrolled: 1-line block ×3, first 2 shown]
	v_lshl_add_u64 v[42:43], v[16:17], 3, s[8:9]
	v_add_u32_e32 v16, -3, v14
	v_lshl_add_u64 v[44:45], v[16:17], 3, s[8:9]
	v_add_u32_e32 v16, -2, v14
	global_load_dwordx2 v[42:43], v[42:43], off
	v_lshl_add_u64 v[52:53], v[16:17], 3, s[8:9]
	v_add_u32_e32 v16, 4, v22
	global_load_dwordx2 v[60:61], v[52:53], off
	global_load_dwordx2 v[62:63], v[44:45], off
	v_lshl_add_u64 v[22:23], v[16:17], 3, s[10:11]
	v_add_u32_e32 v16, -1, v14
	v_lshl_add_u64 v[44:45], v[16:17], 3, s[8:9]
	global_load_dwordx2 v[52:53], v[44:45], off
	global_load_dwordx2 v[64:65], v[26:27], off
	;; [unrolled: 1-line block ×3, first 2 shown]
	v_add_u32_e32 v14, 0x3c0, v14
	s_waitcnt vmcnt(15)
	v_pk_fma_f32 v[10:11], v[28:29], v[30:31], v[10:11] op_sel:[1,0,0] op_sel_hi:[0,0,1]
	v_mov_b32_e32 v29, v1
	v_pk_fma_f32 v[12:13], v[24:25], v[30:31], v[12:13] op_sel_hi:[1,0,1]
	v_pk_fma_f32 v[8:9], v[36:37], v[30:31], v[8:9] op_sel:[1,0,0] op_sel_hi:[0,0,1]
	v_mov_b32_e32 v37, v15
	v_pk_fma_f32 v[10:11], v[28:29], v[30:31], v[10:11] op_sel:[0,1,0]
	s_waitcnt vmcnt(13)
	v_xor_b32_e32 v1, 0x80000000, v39
	v_pk_fma_f32 v[12:13], v[24:25], v[30:31], v[12:13] op_sel:[1,1,0] op_sel_hi:[0,1,1] neg_lo:[1,0,0]
	v_pk_fma_f32 v[8:9], v[36:37], v[30:31], v[8:9] op_sel:[0,1,0]
	v_pk_fma_f32 v[10:11], v[38:39], v[32:33], v[10:11] op_sel:[1,0,0] op_sel_hi:[0,0,1]
	v_mov_b32_e32 v39, v1
	s_waitcnt vmcnt(11)
	v_xor_b32_e32 v1, 0x80000000, v49
	v_pk_fma_f32 v[12:13], v[34:35], v[32:33], v[12:13] op_sel_hi:[1,0,1]
	v_pk_fma_f32 v[10:11], v[38:39], v[32:33], v[10:11] op_sel:[0,1,0]
	v_pk_fma_f32 v[8:9], v[48:49], v[32:33], v[8:9] op_sel:[1,0,0] op_sel_hi:[0,0,1]
	v_mov_b32_e32 v49, v1
	s_waitcnt vmcnt(9)
	v_xor_b32_e32 v1, 0x80000000, v41
	v_pk_fma_f32 v[12:13], v[34:35], v[32:33], v[12:13] op_sel:[1,1,0] op_sel_hi:[0,1,1] neg_lo:[1,0,0]
	v_pk_fma_f32 v[10:11], v[40:41], v[50:51], v[10:11] op_sel:[1,0,0] op_sel_hi:[0,0,1]
	v_pk_fma_f32 v[8:9], v[48:49], v[32:33], v[8:9] op_sel:[0,1,0]
	v_mov_b32_e32 v41, v1
	s_waitcnt vmcnt(7)
	v_xor_b32_e32 v1, 0x80000000, v57
	v_pk_fma_f32 v[12:13], v[46:47], v[50:51], v[12:13] op_sel_hi:[1,0,1]
	v_pk_fma_f32 v[10:11], v[40:41], v[50:51], v[10:11] op_sel:[0,1,0]
	v_pk_fma_f32 v[8:9], v[56:57], v[50:51], v[8:9] op_sel:[1,0,0] op_sel_hi:[0,0,1]
	v_mov_b32_e32 v57, v1
	s_waitcnt vmcnt(5)
	v_xor_b32_e32 v1, 0x80000000, v43
	v_pk_fma_f32 v[12:13], v[46:47], v[50:51], v[12:13] op_sel:[1,1,0] op_sel_hi:[0,1,1] neg_lo:[1,0,0]
	v_pk_fma_f32 v[10:11], v[42:43], v[58:59], v[10:11] op_sel:[1,0,0] op_sel_hi:[0,0,1]
	v_pk_fma_f32 v[8:9], v[56:57], v[50:51], v[8:9] op_sel:[0,1,0]
	v_mov_b32_e32 v43, v1
	s_waitcnt vmcnt(3)
	v_xor_b32_e32 v1, 0x80000000, v63
	v_pk_fma_f32 v[12:13], v[54:55], v[58:59], v[12:13] op_sel_hi:[1,0,1]
	v_pk_fma_f32 v[8:9], v[62:63], v[58:59], v[8:9] op_sel:[1,0,0] op_sel_hi:[0,0,1]
	v_mov_b32_e32 v63, v1
	v_pk_fma_f32 v[12:13], v[54:55], v[58:59], v[12:13] op_sel:[1,1,0] op_sel_hi:[0,1,1] neg_lo:[1,0,0]
	v_pk_fma_f32 v[10:11], v[42:43], v[58:59], v[10:11] op_sel:[0,1,0]
	s_waitcnt vmcnt(2)
	v_xor_b32_e32 v1, 0x80000000, v53
	v_pk_fma_f32 v[8:9], v[62:63], v[58:59], v[8:9] op_sel:[0,1,0]
	s_waitcnt vmcnt(1)
	v_xor_b32_e32 v15, 0x80000000, v65
	s_waitcnt vmcnt(0)
	v_pk_fma_f32 v[12:13], v[60:61], v[66:67], v[12:13] op_sel_hi:[1,0,1]
	v_pk_fma_f32 v[10:11], v[52:53], v[66:67], v[10:11] op_sel:[1,0,0] op_sel_hi:[0,0,1]
	v_mov_b32_e32 v53, v1
	v_pk_fma_f32 v[8:9], v[64:65], v[66:67], v[8:9] op_sel:[1,0,0] op_sel_hi:[0,0,1]
	v_mov_b32_e32 v65, v15
	v_pk_fma_f32 v[12:13], v[60:61], v[66:67], v[12:13] op_sel:[1,1,0] op_sel_hi:[0,1,1] neg_lo:[1,0,0]
	v_pk_fma_f32 v[10:11], v[52:53], v[66:67], v[10:11] op_sel:[0,1,0]
	v_pk_fma_f32 v[8:9], v[64:65], v[66:67], v[8:9] op_sel:[0,1,0]
	s_andn2_b64 exec, exec, s[14:15]
	s_cbranch_execnz .LBB93_13
; %bb.14:
	s_or_b64 exec, exec, s[14:15]
.LBB93_15:
	s_or_b64 exec, exec, s[4:5]
	s_cbranch_execz .LBB93_19
	s_branch .LBB93_24
.LBB93_16:
	v_mov_b64_e32 v[4:5], s[8:9]
	flat_load_dword v3, v[4:5] offset:4
	s_and_b64 vcc, exec, s[4:5]
	v_mov_b32_e32 v4, s6
	s_cbranch_vccnz .LBB93_4
.LBB93_17:
	v_mov_b64_e32 v[4:5], s[6:7]
	flat_load_dword v4, v[4:5]
	s_and_b64 vcc, exec, s[4:5]
	v_mov_b32_e32 v5, s7
	s_cbranch_vccz .LBB93_5
	s_branch .LBB93_6
.LBB93_18:
                                        ; implicit-def: $vgpr13
                                        ; implicit-def: $vgpr9
                                        ; implicit-def: $vgpr11
.LBB93_19:
	v_mov_b32_e32 v13, 0
	v_mov_b32_e32 v12, v13
	;; [unrolled: 1-line block ×6, first 2 shown]
	s_and_saveexec_b64 s[4:5], s[2:3]
	s_cbranch_execz .LBB93_23
; %bb.20:
	v_mad_u64_u32 v[14:15], s[2:3], v0, 15, 14
	v_mov_b32_e32 v17, 0
	s_mov_b64 s[2:3], 0
	v_mov_b32_e32 v10, v17
	v_mov_b32_e32 v11, v17
	;; [unrolled: 1-line block ×6, first 2 shown]
.LBB93_21:                              ; =>This Inner Loop Header: Depth=1
	v_ashrrev_i32_e32 v1, 31, v0
	v_lshl_add_u64 v[18:19], v[0:1], 2, s[6:7]
	global_load_dword v1, v[18:19], off
	v_add_u32_e32 v16, -14, v14
	v_add_u32_e32 v22, -4, v14
	v_mov_b32_e32 v23, v17
	v_lshl_add_u64 v[26:27], v[16:17], 3, s[8:9]
	v_add_u32_e32 v16, -13, v14
	v_add_u32_e32 v18, -9, v14
	v_mov_b32_e32 v19, v17
	v_lshl_add_u64 v[22:23], v[22:23], 3, s[8:9]
	v_lshl_add_u64 v[30:31], v[16:17], 3, s[8:9]
	;; [unrolled: 1-line block ×3, first 2 shown]
	global_load_dwordx2 v[32:33], v[26:27], off
	global_load_dwordx2 v[34:35], v[18:19], off
	global_load_dwordx2 v[36:37], v[30:31], off
	global_load_dwordx2 v[38:39], v[22:23], off
	v_mov_b32_e32 v25, v17
	v_mov_b32_e32 v15, v17
	v_lshl_add_u64 v[28:29], v[14:15], 3, s[8:9]
	v_add_u32_e32 v0, 64, v0
	v_cmp_ge_i32_e32 vcc, v0, v20
	s_or_b64 s[2:3], vcc, s[2:3]
	s_waitcnt vmcnt(4)
	v_subrev_u32_e32 v1, s12, v1
	v_lshl_add_u32 v24, v1, 2, v1
	v_add_u32_e32 v16, 1, v24
	v_lshl_add_u64 v[22:23], v[16:17], 3, s[10:11]
	v_add_u32_e32 v16, -8, v14
	v_lshl_add_u64 v[26:27], v[16:17], 3, s[8:9]
	v_add_u32_e32 v16, -3, v14
	;; [unrolled: 2-line block ×3, first 2 shown]
	v_lshl_add_u64 v[40:41], v[16:17], 3, s[8:9]
	v_add_u32_e32 v16, 2, v24
	v_lshl_add_u64 v[18:19], v[24:25], 3, s[10:11]
	v_lshl_add_u64 v[42:43], v[16:17], 3, s[10:11]
	v_add_u32_e32 v16, -7, v14
	global_load_dwordx2 v[18:19], v[18:19], off
	s_waitcnt vmcnt(3)
	v_xor_b32_e32 v1, 0x80000000, v35
	global_load_dwordx2 v[22:23], v[22:23], off
	s_waitcnt vmcnt(2)
	v_xor_b32_e32 v15, 0x80000000, v39
	global_load_dwordx2 v[26:27], v[26:27], off
	s_nop 0
	global_load_dwordx2 v[44:45], v[40:41], off
	global_load_dwordx2 v[46:47], v[30:31], off
	;; [unrolled: 1-line block ×3, first 2 shown]
	v_lshl_add_u64 v[30:31], v[16:17], 3, s[8:9]
	v_add_u32_e32 v16, -2, v14
	v_lshl_add_u64 v[40:41], v[16:17], 3, s[8:9]
	v_add_u32_e32 v16, -11, v14
	v_lshl_add_u64 v[42:43], v[16:17], 3, s[8:9]
	v_add_u32_e32 v16, 3, v24
	v_lshl_add_u64 v[50:51], v[16:17], 3, s[10:11]
	v_add_u32_e32 v16, -6, v14
	global_load_dwordx2 v[30:31], v[30:31], off
	s_nop 0
	global_load_dwordx2 v[52:53], v[42:43], off
	global_load_dwordx2 v[54:55], v[40:41], off
	global_load_dwordx2 v[56:57], v[50:51], off
	v_lshl_add_u64 v[40:41], v[16:17], 3, s[8:9]
	v_add_u32_e32 v16, -1, v14
	v_lshl_add_u64 v[42:43], v[16:17], 3, s[8:9]
	v_add_u32_e32 v16, -10, v14
	global_load_dwordx2 v[40:41], v[40:41], off
	v_lshl_add_u64 v[50:51], v[16:17], 3, s[8:9]
	v_add_u32_e32 v16, 4, v24
	global_load_dwordx2 v[58:59], v[50:51], off
	global_load_dwordx2 v[60:61], v[42:43], off
	v_lshl_add_u64 v[24:25], v[16:17], 3, s[10:11]
	v_add_u32_e32 v16, -5, v14
	v_lshl_add_u64 v[42:43], v[16:17], 3, s[8:9]
	global_load_dwordx2 v[50:51], v[42:43], off
	global_load_dwordx2 v[62:63], v[28:29], off
	;; [unrolled: 1-line block ×3, first 2 shown]
	v_add_u32_e32 v14, 0x3c0, v14
	s_waitcnt vmcnt(15)
	v_pk_fma_f32 v[10:11], v[34:35], v[18:19], v[10:11] op_sel:[1,0,0] op_sel_hi:[0,0,1]
	v_mov_b32_e32 v35, v1
	v_pk_fma_f32 v[12:13], v[32:33], v[18:19], v[12:13] op_sel_hi:[1,0,1]
	v_pk_fma_f32 v[8:9], v[38:39], v[18:19], v[8:9] op_sel:[1,0,0] op_sel_hi:[0,0,1]
	v_mov_b32_e32 v39, v15
	v_pk_fma_f32 v[10:11], v[34:35], v[18:19], v[10:11] op_sel:[0,1,0]
	s_waitcnt vmcnt(13)
	v_xor_b32_e32 v1, 0x80000000, v27
	v_pk_fma_f32 v[12:13], v[32:33], v[18:19], v[12:13] op_sel:[1,1,0] op_sel_hi:[0,1,1] neg_lo:[1,0,0]
	v_pk_fma_f32 v[8:9], v[38:39], v[18:19], v[8:9] op_sel:[0,1,0]
	v_pk_fma_f32 v[10:11], v[26:27], v[22:23], v[10:11] op_sel:[1,0,0] op_sel_hi:[0,0,1]
	v_mov_b32_e32 v27, v1
	s_waitcnt vmcnt(11)
	v_xor_b32_e32 v1, 0x80000000, v47
	v_pk_fma_f32 v[12:13], v[36:37], v[22:23], v[12:13] op_sel_hi:[1,0,1]
	v_pk_fma_f32 v[10:11], v[26:27], v[22:23], v[10:11] op_sel:[0,1,0]
	v_pk_fma_f32 v[8:9], v[46:47], v[22:23], v[8:9] op_sel:[1,0,0] op_sel_hi:[0,0,1]
	v_mov_b32_e32 v47, v1
	s_waitcnt vmcnt(9)
	v_xor_b32_e32 v1, 0x80000000, v31
	v_pk_fma_f32 v[12:13], v[36:37], v[22:23], v[12:13] op_sel:[1,1,0] op_sel_hi:[0,1,1] neg_lo:[1,0,0]
	v_pk_fma_f32 v[10:11], v[30:31], v[48:49], v[10:11] op_sel:[1,0,0] op_sel_hi:[0,0,1]
	v_pk_fma_f32 v[8:9], v[46:47], v[22:23], v[8:9] op_sel:[0,1,0]
	v_mov_b32_e32 v31, v1
	s_waitcnt vmcnt(7)
	v_xor_b32_e32 v1, 0x80000000, v55
	v_pk_fma_f32 v[12:13], v[44:45], v[48:49], v[12:13] op_sel_hi:[1,0,1]
	v_pk_fma_f32 v[10:11], v[30:31], v[48:49], v[10:11] op_sel:[0,1,0]
	v_pk_fma_f32 v[8:9], v[54:55], v[48:49], v[8:9] op_sel:[1,0,0] op_sel_hi:[0,0,1]
	v_mov_b32_e32 v55, v1
	s_waitcnt vmcnt(5)
	v_xor_b32_e32 v1, 0x80000000, v41
	v_pk_fma_f32 v[12:13], v[44:45], v[48:49], v[12:13] op_sel:[1,1,0] op_sel_hi:[0,1,1] neg_lo:[1,0,0]
	v_pk_fma_f32 v[10:11], v[40:41], v[56:57], v[10:11] op_sel:[1,0,0] op_sel_hi:[0,0,1]
	v_pk_fma_f32 v[8:9], v[54:55], v[48:49], v[8:9] op_sel:[0,1,0]
	v_mov_b32_e32 v41, v1
	s_waitcnt vmcnt(3)
	v_xor_b32_e32 v1, 0x80000000, v61
	v_pk_fma_f32 v[12:13], v[52:53], v[56:57], v[12:13] op_sel_hi:[1,0,1]
	v_pk_fma_f32 v[8:9], v[60:61], v[56:57], v[8:9] op_sel:[1,0,0] op_sel_hi:[0,0,1]
	v_mov_b32_e32 v61, v1
	v_pk_fma_f32 v[12:13], v[52:53], v[56:57], v[12:13] op_sel:[1,1,0] op_sel_hi:[0,1,1] neg_lo:[1,0,0]
	v_pk_fma_f32 v[10:11], v[40:41], v[56:57], v[10:11] op_sel:[0,1,0]
	s_waitcnt vmcnt(2)
	v_xor_b32_e32 v1, 0x80000000, v51
	v_pk_fma_f32 v[8:9], v[60:61], v[56:57], v[8:9] op_sel:[0,1,0]
	s_waitcnt vmcnt(1)
	v_xor_b32_e32 v15, 0x80000000, v63
	s_waitcnt vmcnt(0)
	v_pk_fma_f32 v[12:13], v[58:59], v[64:65], v[12:13] op_sel_hi:[1,0,1]
	v_pk_fma_f32 v[10:11], v[50:51], v[64:65], v[10:11] op_sel:[1,0,0] op_sel_hi:[0,0,1]
	v_mov_b32_e32 v51, v1
	v_pk_fma_f32 v[8:9], v[62:63], v[64:65], v[8:9] op_sel:[1,0,0] op_sel_hi:[0,0,1]
	v_mov_b32_e32 v63, v15
	v_pk_fma_f32 v[12:13], v[58:59], v[64:65], v[12:13] op_sel:[1,1,0] op_sel_hi:[0,1,1] neg_lo:[1,0,0]
	v_pk_fma_f32 v[10:11], v[50:51], v[64:65], v[10:11] op_sel:[0,1,0]
	v_pk_fma_f32 v[8:9], v[62:63], v[64:65], v[8:9] op_sel:[0,1,0]
	s_andn2_b64 exec, exec, s[2:3]
	s_cbranch_execnz .LBB93_21
; %bb.22:
	s_or_b64 exec, exec, s[2:3]
.LBB93_23:
	s_or_b64 exec, exec, s[4:5]
.LBB93_24:
	v_mov_b32_dpp v0, v12 row_shr:1 row_mask:0xf bank_mask:0xf
	v_add_f32_e32 v0, v12, v0
	v_mov_b32_dpp v12, v13 row_shr:1 row_mask:0xf bank_mask:0xf
	v_add_f32_e32 v12, v13, v12
	;; [unrolled: 2-line block ×8, first 2 shown]
	v_mov_b32_dpp v1, v0 row_bcast:15 row_mask:0xa bank_mask:0xf
	v_add_f32_e32 v0, v0, v1
	v_mov_b32_dpp v13, v12 row_bcast:15 row_mask:0xa bank_mask:0xf
	v_add_f32_e32 v13, v12, v13
	v_mov_b32_dpp v12, v11 row_shr:1 row_mask:0xf bank_mask:0xf
	v_add_f32_e32 v11, v11, v12
	v_mov_b32_dpp v1, v0 row_bcast:31 row_mask:0xc bank_mask:0xf
	v_mov_b32_dpp v14, v13 row_bcast:31 row_mask:0xc bank_mask:0xf
	v_mov_b32_dpp v12, v11 row_shr:2 row_mask:0xf bank_mask:0xf
	v_add_f32_e32 v11, v11, v12
	v_cmp_eq_u32_e32 vcc, 63, v7
	s_nop 0
	v_mov_b32_dpp v12, v11 row_shr:4 row_mask:0xf bank_mask:0xe
	v_add_f32_e32 v11, v11, v12
	s_nop 1
	v_mov_b32_dpp v12, v11 row_shr:8 row_mask:0xf bank_mask:0xc
	v_add_f32_e32 v11, v11, v12
	s_nop 1
	v_mov_b32_dpp v12, v11 row_bcast:15 row_mask:0xa bank_mask:0xf
	v_add_f32_e32 v11, v11, v12
	s_nop 0
	v_mov_b32_dpp v12, v10 row_shr:1 row_mask:0xf bank_mask:0xf
	v_add_f32_e32 v10, v10, v12
	v_mov_b32_dpp v15, v11 row_bcast:31 row_mask:0xc bank_mask:0xf
	s_nop 0
	v_mov_b32_dpp v12, v10 row_shr:2 row_mask:0xf bank_mask:0xf
	v_add_f32_e32 v10, v10, v12
	s_nop 1
	v_mov_b32_dpp v12, v10 row_shr:4 row_mask:0xf bank_mask:0xe
	v_add_f32_e32 v10, v10, v12
	s_nop 1
	v_mov_b32_dpp v12, v10 row_shr:8 row_mask:0xf bank_mask:0xc
	v_add_f32_e32 v10, v10, v12
	s_nop 1
	v_mov_b32_dpp v12, v10 row_bcast:15 row_mask:0xa bank_mask:0xf
	v_add_f32_e32 v17, v10, v12
	v_mov_b32_dpp v10, v9 row_shr:1 row_mask:0xf bank_mask:0xf
	v_add_f32_e32 v9, v9, v10
	v_mov_b32_dpp v18, v17 row_bcast:31 row_mask:0xc bank_mask:0xf
	s_nop 0
	v_mov_b32_dpp v10, v9 row_shr:2 row_mask:0xf bank_mask:0xf
	v_add_f32_e32 v9, v9, v10
	s_nop 1
	v_mov_b32_dpp v10, v9 row_shr:4 row_mask:0xf bank_mask:0xe
	v_add_f32_e32 v9, v9, v10
	;; [unrolled: 3-line block ×3, first 2 shown]
	s_nop 1
	v_mov_b32_dpp v10, v9 row_bcast:15 row_mask:0xa bank_mask:0xf
	v_add_f32_e32 v9, v9, v10
	s_nop 0
	v_mov_b32_dpp v10, v8 row_shr:1 row_mask:0xf bank_mask:0xf
	v_add_f32_e32 v8, v8, v10
	v_mov_b32_dpp v19, v9 row_bcast:31 row_mask:0xc bank_mask:0xf
	s_nop 0
	v_mov_b32_dpp v10, v8 row_shr:2 row_mask:0xf bank_mask:0xf
	v_add_f32_e32 v8, v8, v10
	s_nop 1
	v_mov_b32_dpp v10, v8 row_shr:4 row_mask:0xf bank_mask:0xe
	v_add_f32_e32 v8, v8, v10
	;; [unrolled: 3-line block ×3, first 2 shown]
	s_nop 1
	v_mov_b32_dpp v10, v8 row_bcast:15 row_mask:0xa bank_mask:0xf
	v_add_f32_e32 v8, v8, v10
	s_nop 1
	v_mov_b32_dpp v20, v8 row_bcast:31 row_mask:0xc bank_mask:0xf
	s_and_b64 exec, exec, vcc
	s_cbranch_execz .LBB93_29
; %bb.25:
	s_load_dwordx2 s[2:3], s[0:1], 0x38
	v_add_f32_e32 v12, v0, v1
	v_and_b32_e32 v1, 0x7fffffff, v4
	v_cmp_eq_u32_e32 vcc, 0, v1
	v_cmp_eq_f32_e64 s[0:1], 0, v5
	v_add_f32_e32 v16, v13, v14
	v_add_f32_e32 v10, v11, v15
	v_add_f32_e32 v14, v17, v18
	v_add_f32_e32 v0, v9, v19
	v_add_f32_e32 v8, v8, v20
	s_and_b64 s[0:1], vcc, s[0:1]
	s_and_saveexec_b64 s[4:5], s[0:1]
	s_xor_b64 s[0:1], exec, s[4:5]
	s_cbranch_execz .LBB93_27
; %bb.26:
	v_lshl_add_u32 v4, v6, 1, v6
	v_xor_b32_e32 v18, 0x80000000, v3
	v_ashrrev_i32_e32 v5, 31, v4
	v_mov_b32_e32 v19, v2
	s_waitcnt lgkmcnt(0)
	v_lshl_add_u64 v[20:21], v[4:5], 3, s[2:3]
	v_pk_mul_f32 v[4:5], v[16:17], v[18:19] op_sel_hi:[0,1]
	v_pk_mul_f32 v[6:7], v[14:15], v[18:19] op_sel_hi:[0,1]
	v_pk_fma_f32 v[4:5], v[2:3], v[12:13], v[4:5] op_sel_hi:[1,0,1]
	v_pk_fma_f32 v[6:7], v[2:3], v[10:11], v[6:7] op_sel_hi:[1,0,1]
	global_store_dwordx4 v[20:21], v[4:7], off
                                        ; implicit-def: $vgpr6
                                        ; implicit-def: $vgpr12
                                        ; implicit-def: $vgpr16
                                        ; implicit-def: $vgpr10
                                        ; implicit-def: $vgpr14
	s_nop 1
	v_pk_mul_f32 v[4:5], v[8:9], v[18:19] op_sel_hi:[0,1]
	v_pk_fma_f32 v[0:1], v[2:3], v[0:1], v[4:5] op_sel_hi:[1,0,1]
	global_store_dwordx2 v[20:21], v[0:1], off offset:16
                                        ; implicit-def: $vgpr3
                                        ; implicit-def: $vgpr4
                                        ; implicit-def: $vgpr0
                                        ; implicit-def: $vgpr8
.LBB93_27:
	s_andn2_saveexec_b64 s[0:1], s[0:1]
	s_cbranch_execz .LBB93_29
; %bb.28:
	v_lshl_add_u32 v6, v6, 1, v6
	v_ashrrev_i32_e32 v7, 31, v6
	s_waitcnt lgkmcnt(0)
	v_lshl_add_u64 v[6:7], v[6:7], 3, s[2:3]
	global_load_dwordx4 v[18:21], v[6:7], off
	global_load_dwordx2 v[22:23], v[6:7], off offset:16
	v_xor_b32_e32 v24, 0x80000000, v3
	v_mov_b32_e32 v25, v2
	v_pk_mul_f32 v[16:17], v[16:17], v[24:25] op_sel_hi:[0,1]
	v_pk_mul_f32 v[14:15], v[14:15], v[24:25] op_sel_hi:[0,1]
	;; [unrolled: 1-line block ×3, first 2 shown]
	v_pk_fma_f32 v[12:13], v[2:3], v[12:13], v[16:17] op_sel_hi:[1,0,1]
	v_pk_fma_f32 v[10:11], v[2:3], v[10:11], v[14:15] op_sel_hi:[1,0,1]
	v_xor_b32_e32 v26, 0x80000000, v5
	v_mov_b32_e32 v27, v4
	v_pk_fma_f32 v[0:1], v[2:3], v[0:1], v[8:9] op_sel_hi:[1,0,1]
	s_waitcnt vmcnt(1)
	v_pk_fma_f32 v[2:3], v[4:5], v[18:19], v[12:13] op_sel_hi:[1,0,1]
	v_pk_fma_f32 v[8:9], v[4:5], v[20:21], v[10:11] op_sel_hi:[1,0,1]
	v_mov_b32_e32 v10, v21
	s_waitcnt vmcnt(0)
	v_pk_fma_f32 v[4:5], v[4:5], v[22:23], v[0:1] op_sel_hi:[1,0,1]
	v_pk_fma_f32 v[0:1], v[26:27], v[18:19], v[2:3] op_sel:[0,1,0]
	v_pk_fma_f32 v[2:3], v[26:27], v[10:11], v[8:9] op_sel_hi:[1,0,1]
	v_pk_fma_f32 v[4:5], v[26:27], v[22:23], v[4:5] op_sel:[0,1,0]
	global_store_dwordx4 v[6:7], v[0:3], off
	global_store_dwordx2 v[6:7], v[4:5], off offset:16
.LBB93_29:
	s_endpgm
	.section	.rodata,"a",@progbits
	.p2align	6, 0x0
	.amdhsa_kernel _ZN9rocsparseL19gebsrmvn_3xn_kernelILj128ELj5ELj64E21rocsparse_complex_numIfEEEvi20rocsparse_direction_NS_24const_host_device_scalarIT2_EEPKiS8_PKS5_SA_S6_PS5_21rocsparse_index_base_b
		.amdhsa_group_segment_fixed_size 0
		.amdhsa_private_segment_fixed_size 0
		.amdhsa_kernarg_size 72
		.amdhsa_user_sgpr_count 2
		.amdhsa_user_sgpr_dispatch_ptr 0
		.amdhsa_user_sgpr_queue_ptr 0
		.amdhsa_user_sgpr_kernarg_segment_ptr 1
		.amdhsa_user_sgpr_dispatch_id 0
		.amdhsa_user_sgpr_kernarg_preload_length 0
		.amdhsa_user_sgpr_kernarg_preload_offset 0
		.amdhsa_user_sgpr_private_segment_size 0
		.amdhsa_uses_dynamic_stack 0
		.amdhsa_enable_private_segment 0
		.amdhsa_system_sgpr_workgroup_id_x 1
		.amdhsa_system_sgpr_workgroup_id_y 0
		.amdhsa_system_sgpr_workgroup_id_z 0
		.amdhsa_system_sgpr_workgroup_info 0
		.amdhsa_system_vgpr_workitem_id 0
		.amdhsa_next_free_vgpr 68
		.amdhsa_next_free_sgpr 16
		.amdhsa_accum_offset 68
		.amdhsa_reserve_vcc 1
		.amdhsa_float_round_mode_32 0
		.amdhsa_float_round_mode_16_64 0
		.amdhsa_float_denorm_mode_32 3
		.amdhsa_float_denorm_mode_16_64 3
		.amdhsa_dx10_clamp 1
		.amdhsa_ieee_mode 1
		.amdhsa_fp16_overflow 0
		.amdhsa_tg_split 0
		.amdhsa_exception_fp_ieee_invalid_op 0
		.amdhsa_exception_fp_denorm_src 0
		.amdhsa_exception_fp_ieee_div_zero 0
		.amdhsa_exception_fp_ieee_overflow 0
		.amdhsa_exception_fp_ieee_underflow 0
		.amdhsa_exception_fp_ieee_inexact 0
		.amdhsa_exception_int_div_zero 0
	.end_amdhsa_kernel
	.section	.text._ZN9rocsparseL19gebsrmvn_3xn_kernelILj128ELj5ELj64E21rocsparse_complex_numIfEEEvi20rocsparse_direction_NS_24const_host_device_scalarIT2_EEPKiS8_PKS5_SA_S6_PS5_21rocsparse_index_base_b,"axG",@progbits,_ZN9rocsparseL19gebsrmvn_3xn_kernelILj128ELj5ELj64E21rocsparse_complex_numIfEEEvi20rocsparse_direction_NS_24const_host_device_scalarIT2_EEPKiS8_PKS5_SA_S6_PS5_21rocsparse_index_base_b,comdat
.Lfunc_end93:
	.size	_ZN9rocsparseL19gebsrmvn_3xn_kernelILj128ELj5ELj64E21rocsparse_complex_numIfEEEvi20rocsparse_direction_NS_24const_host_device_scalarIT2_EEPKiS8_PKS5_SA_S6_PS5_21rocsparse_index_base_b, .Lfunc_end93-_ZN9rocsparseL19gebsrmvn_3xn_kernelILj128ELj5ELj64E21rocsparse_complex_numIfEEEvi20rocsparse_direction_NS_24const_host_device_scalarIT2_EEPKiS8_PKS5_SA_S6_PS5_21rocsparse_index_base_b
                                        ; -- End function
	.section	.AMDGPU.csdata,"",@progbits
; Kernel info:
; codeLenInByte = 3168
; NumSgprs: 22
; NumVgprs: 68
; NumAgprs: 0
; TotalNumVgprs: 68
; ScratchSize: 0
; MemoryBound: 0
; FloatMode: 240
; IeeeMode: 1
; LDSByteSize: 0 bytes/workgroup (compile time only)
; SGPRBlocks: 2
; VGPRBlocks: 8
; NumSGPRsForWavesPerEU: 22
; NumVGPRsForWavesPerEU: 68
; AccumOffset: 68
; Occupancy: 7
; WaveLimiterHint : 1
; COMPUTE_PGM_RSRC2:SCRATCH_EN: 0
; COMPUTE_PGM_RSRC2:USER_SGPR: 2
; COMPUTE_PGM_RSRC2:TRAP_HANDLER: 0
; COMPUTE_PGM_RSRC2:TGID_X_EN: 1
; COMPUTE_PGM_RSRC2:TGID_Y_EN: 0
; COMPUTE_PGM_RSRC2:TGID_Z_EN: 0
; COMPUTE_PGM_RSRC2:TIDIG_COMP_CNT: 0
; COMPUTE_PGM_RSRC3_GFX90A:ACCUM_OFFSET: 16
; COMPUTE_PGM_RSRC3_GFX90A:TG_SPLIT: 0
	.section	.text._ZN9rocsparseL19gebsrmvn_3xn_kernelILj128ELj6ELj4E21rocsparse_complex_numIfEEEvi20rocsparse_direction_NS_24const_host_device_scalarIT2_EEPKiS8_PKS5_SA_S6_PS5_21rocsparse_index_base_b,"axG",@progbits,_ZN9rocsparseL19gebsrmvn_3xn_kernelILj128ELj6ELj4E21rocsparse_complex_numIfEEEvi20rocsparse_direction_NS_24const_host_device_scalarIT2_EEPKiS8_PKS5_SA_S6_PS5_21rocsparse_index_base_b,comdat
	.globl	_ZN9rocsparseL19gebsrmvn_3xn_kernelILj128ELj6ELj4E21rocsparse_complex_numIfEEEvi20rocsparse_direction_NS_24const_host_device_scalarIT2_EEPKiS8_PKS5_SA_S6_PS5_21rocsparse_index_base_b ; -- Begin function _ZN9rocsparseL19gebsrmvn_3xn_kernelILj128ELj6ELj4E21rocsparse_complex_numIfEEEvi20rocsparse_direction_NS_24const_host_device_scalarIT2_EEPKiS8_PKS5_SA_S6_PS5_21rocsparse_index_base_b
	.p2align	8
	.type	_ZN9rocsparseL19gebsrmvn_3xn_kernelILj128ELj6ELj4E21rocsparse_complex_numIfEEEvi20rocsparse_direction_NS_24const_host_device_scalarIT2_EEPKiS8_PKS5_SA_S6_PS5_21rocsparse_index_base_b,@function
_ZN9rocsparseL19gebsrmvn_3xn_kernelILj128ELj6ELj4E21rocsparse_complex_numIfEEEvi20rocsparse_direction_NS_24const_host_device_scalarIT2_EEPKiS8_PKS5_SA_S6_PS5_21rocsparse_index_base_b: ; @_ZN9rocsparseL19gebsrmvn_3xn_kernelILj128ELj6ELj4E21rocsparse_complex_numIfEEEvi20rocsparse_direction_NS_24const_host_device_scalarIT2_EEPKiS8_PKS5_SA_S6_PS5_21rocsparse_index_base_b
; %bb.0:
	s_load_dwordx2 s[12:13], s[0:1], 0x40
	s_load_dwordx2 s[8:9], s[0:1], 0x8
	;; [unrolled: 1-line block ×3, first 2 shown]
	s_waitcnt lgkmcnt(0)
	s_bitcmp1_b32 s13, 0
	s_cselect_b64 s[4:5], -1, 0
	s_xor_b64 s[10:11], s[4:5], -1
	s_and_b64 vcc, exec, s[4:5]
	v_mov_b32_e32 v2, s8
	s_cbranch_vccnz .LBB94_2
; %bb.1:
	v_mov_b64_e32 v[2:3], s[8:9]
	flat_load_dword v2, v[2:3]
.LBB94_2:
	v_cndmask_b32_e64 v1, 0, 1, s[10:11]
	v_cmp_ne_u32_e64 s[4:5], 1, v1
	s_andn2_b64 vcc, exec, s[10:11]
	v_mov_b32_e32 v3, s9
	s_cbranch_vccz .LBB94_16
; %bb.3:
	s_and_b64 vcc, exec, s[4:5]
	v_mov_b32_e32 v4, s6
	s_cbranch_vccz .LBB94_17
.LBB94_4:
	s_and_b64 vcc, exec, s[4:5]
	v_mov_b32_e32 v5, s7
	s_cbranch_vccnz .LBB94_6
.LBB94_5:
	v_mov_b64_e32 v[6:7], s[6:7]
	flat_load_dword v5, v[6:7] offset:4
.LBB94_6:
	s_waitcnt vmcnt(0) lgkmcnt(0)
	v_and_b32_e32 v1, 0x7fffffff, v2
	v_cmp_eq_u32_e32 vcc, 0, v1
	v_cmp_eq_f32_e64 s[4:5], 0, v3
	s_and_b64 s[8:9], vcc, s[4:5]
	s_mov_b64 s[4:5], -1
	s_and_saveexec_b64 s[6:7], s[8:9]
; %bb.7:
	v_and_b32_e32 v1, 0x7fffffff, v5
	v_cmp_neq_f32_e32 vcc, 1.0, v4
	v_cmp_ne_u32_e64 s[4:5], 0, v1
	s_or_b64 s[4:5], vcc, s[4:5]
	s_orn2_b64 s[4:5], s[4:5], exec
; %bb.8:
	s_or_b64 exec, exec, s[6:7]
	s_and_saveexec_b64 s[6:7], s[4:5]
	s_cbranch_execz .LBB94_29
; %bb.9:
	s_load_dwordx2 s[14:15], s[0:1], 0x0
	v_lshrrev_b32_e32 v1, 2, v0
	v_lshl_or_b32 v6, s2, 5, v1
	s_waitcnt lgkmcnt(0)
	v_cmp_gt_i32_e32 vcc, s14, v6
	s_and_b64 exec, exec, vcc
	s_cbranch_execz .LBB94_29
; %bb.10:
	s_load_dwordx8 s[4:11], s[0:1], 0x10
	v_ashrrev_i32_e32 v7, 31, v6
	s_cmp_lg_u32 s15, 0
	s_waitcnt lgkmcnt(0)
	v_lshl_add_u64 v[8:9], v[6:7], 2, s[4:5]
	global_load_dwordx2 v[8:9], v[8:9], off
	v_and_b32_e32 v7, 3, v0
	s_waitcnt vmcnt(0)
	v_subrev_u32_e32 v0, s12, v8
	v_subrev_u32_e32 v22, s12, v9
	v_add_u32_e32 v0, v0, v7
	v_cmp_lt_i32_e64 s[2:3], v0, v22
	s_cbranch_scc0 .LBB94_18
; %bb.11:
	v_mov_b32_e32 v13, 0
	v_mov_b32_e32 v12, v13
	;; [unrolled: 1-line block ×6, first 2 shown]
	s_and_saveexec_b64 s[4:5], s[2:3]
	s_cbranch_execz .LBB94_15
; %bb.12:
	v_mad_u64_u32 v[14:15], s[14:15], v0, 18, 17
	v_mov_b32_e32 v17, 0
	s_mov_b64 s[14:15], 0
	v_mov_b32_e32 v18, v0
	v_mov_b32_e32 v8, v17
	;; [unrolled: 1-line block ×7, first 2 shown]
.LBB94_13:                              ; =>This Inner Loop Header: Depth=1
	v_ashrrev_i32_e32 v19, 31, v18
	v_subrev_u32_e32 v16, 17, v14
	v_lshl_add_u64 v[28:29], v[18:19], 2, s[6:7]
	v_lshl_add_u64 v[30:31], v[16:17], 3, s[8:9]
	global_load_dword v1, v[28:29], off
	global_load_dwordx4 v[24:27], v[30:31], off
	v_add_u32_e32 v16, -15, v14
	v_lshl_add_u64 v[28:29], v[16:17], 3, s[8:9]
	v_add_u32_e32 v16, -14, v14
	v_lshl_add_u64 v[30:31], v[16:17], 3, s[8:9]
	v_add_u32_e32 v16, -13, v14
	v_mov_b32_e32 v15, v17
	global_load_dwordx2 v[38:39], v[28:29], off
	global_load_dwordx2 v[40:41], v[30:31], off
	v_lshl_add_u64 v[28:29], v[16:17], 3, s[8:9]
	v_add_u32_e32 v16, -12, v14
	v_lshl_add_u64 v[32:33], v[14:15], 3, s[8:9]
	v_lshl_add_u64 v[30:31], v[16:17], 3, s[8:9]
	v_add_u32_e32 v16, -11, v14
	v_mov_b32_e32 v21, v17
	global_load_dwordx2 v[36:37], v[32:33], off
	global_load_dwordx2 v[42:43], v[28:29], off
	v_lshl_add_u64 v[28:29], v[16:17], 3, s[8:9]
	global_load_dwordx2 v[44:45], v[30:31], off
	global_load_dwordx2 v[46:47], v[28:29], off
	v_add_u32_e32 v18, 4, v18
	v_cmp_ge_i32_e32 vcc, v18, v22
	s_or_b64 s[14:15], vcc, s[14:15]
	s_waitcnt vmcnt(7)
	v_subrev_u32_e32 v1, s12, v1
	v_mul_lo_u32 v20, v1, 6
	v_lshl_add_u64 v[28:29], v[20:21], 3, s[10:11]
	global_load_dwordx4 v[28:31], v[28:29], off
	v_add_u32_e32 v16, 2, v20
	v_lshl_add_u64 v[32:33], v[16:17], 3, s[10:11]
	global_load_dwordx4 v[32:35], v[32:33], off
	v_add_u32_e32 v16, -10, v14
	v_lshl_add_u64 v[50:51], v[16:17], 3, s[8:9]
	v_add_u32_e32 v16, -9, v14
	v_lshl_add_u64 v[52:53], v[16:17], 3, s[8:9]
	;; [unrolled: 2-line block ×5, first 2 shown]
	v_add_u32_e32 v16, -5, v14
	global_load_dwordx2 v[50:51], v[50:51], off
	v_lshl_add_u64 v[60:61], v[16:17], 3, s[8:9]
	global_load_dwordx2 v[52:53], v[52:53], off
	v_add_u32_e32 v16, 4, v20
	global_load_dwordx2 v[54:55], v[54:55], off
	s_waitcnt vmcnt(11)
	v_xor_b32_e32 v48, 0x80000000, v27
	global_load_dwordx2 v[56:57], v[56:57], off
	v_mov_b32_e32 v49, v26
	global_load_dwordx2 v[20:21], v[58:59], off
	s_waitcnt vmcnt(6)
	v_pk_fma_f32 v[12:13], v[24:25], v[28:29], v[12:13] op_sel_hi:[1,0,1]
	global_load_dwordx2 v[60:61], v[60:61], off
	v_lshl_add_u64 v[58:59], v[16:17], 3, s[10:11]
	v_add_u32_e32 v16, -4, v14
	v_pk_fma_f32 v[10:11], v[26:27], v[28:29], v[10:11] op_sel_hi:[1,0,1]
	v_pk_fma_f32 v[12:13], v[24:25], v[28:29], v[12:13] op_sel:[1,1,0] op_sel_hi:[0,1,1] neg_lo:[1,0,0]
	global_load_dwordx4 v[24:27], v[58:59], off
	v_lshl_add_u64 v[58:59], v[16:17], 3, s[8:9]
	v_add_u32_e32 v16, -3, v14
	v_pk_fma_f32 v[10:11], v[48:49], v[28:29], v[10:11] op_sel:[0,1,0]
	v_lshl_add_u64 v[48:49], v[16:17], 3, s[8:9]
	v_add_u32_e32 v16, -2, v14
	v_pk_fma_f32 v[8:9], v[38:39], v[28:29], v[8:9] op_sel_hi:[1,0,1]
	global_load_dwordx2 v[58:59], v[58:59], off
	v_pk_fma_f32 v[8:9], v[38:39], v[28:29], v[8:9] op_sel:[1,1,0] op_sel_hi:[0,1,1] neg_lo:[1,0,0]
	v_lshl_add_u64 v[28:29], v[16:17], 3, s[8:9]
	v_add_u32_e32 v16, -1, v14
	global_load_dwordx2 v[38:39], v[48:49], off
	global_load_dwordx2 v[62:63], v[28:29], off
	v_pk_fma_f32 v[12:13], v[40:41], v[30:31], v[12:13] op_sel_hi:[1,0,1]
	v_pk_fma_f32 v[10:11], v[42:43], v[30:31], v[10:11] op_sel_hi:[1,0,1]
	;; [unrolled: 1-line block ×3, first 2 shown]
	v_mov_b32_e32 v28, v31
	v_lshl_add_u64 v[30:31], v[16:17], 3, s[8:9]
	global_load_dwordx2 v[30:31], v[30:31], off
	v_pk_fma_f32 v[12:13], v[40:41], v[28:29], v[12:13] op_sel:[1,0,0] op_sel_hi:[0,0,1] neg_lo:[1,0,0]
	v_pk_fma_f32 v[10:11], v[42:43], v[28:29], v[10:11] op_sel:[1,0,0] op_sel_hi:[0,0,1] neg_lo:[1,0,0]
	v_pk_fma_f32 v[8:9], v[44:45], v[28:29], v[8:9] op_sel:[1,0,0] op_sel_hi:[0,0,1] neg_lo:[1,0,0]
	s_waitcnt vmcnt(11)
	v_pk_fma_f32 v[12:13], v[46:47], v[32:33], v[12:13] op_sel_hi:[1,0,1]
	s_waitcnt vmcnt(10)
	v_pk_fma_f32 v[10:11], v[50:51], v[32:33], v[10:11] op_sel_hi:[1,0,1]
	;; [unrolled: 2-line block ×3, first 2 shown]
	v_pk_fma_f32 v[12:13], v[46:47], v[32:33], v[12:13] op_sel:[1,1,0] op_sel_hi:[0,1,1] neg_lo:[1,0,0]
	v_pk_fma_f32 v[10:11], v[50:51], v[32:33], v[10:11] op_sel:[1,1,0] op_sel_hi:[0,1,1] neg_lo:[1,0,0]
	;; [unrolled: 1-line block ×3, first 2 shown]
	v_mov_b32_e32 v16, v35
	s_waitcnt vmcnt(8)
	v_pk_fma_f32 v[12:13], v[54:55], v[34:35], v[12:13] op_sel_hi:[1,0,1]
	s_waitcnt vmcnt(7)
	v_pk_fma_f32 v[10:11], v[56:57], v[34:35], v[10:11] op_sel_hi:[1,0,1]
	;; [unrolled: 2-line block ×3, first 2 shown]
	v_pk_fma_f32 v[12:13], v[54:55], v[16:17], v[12:13] op_sel:[1,0,0] op_sel_hi:[0,0,1] neg_lo:[1,0,0]
	v_pk_fma_f32 v[10:11], v[56:57], v[16:17], v[10:11] op_sel:[1,0,0] op_sel_hi:[0,0,1] neg_lo:[1,0,0]
	;; [unrolled: 1-line block ×3, first 2 shown]
	v_add_u32_e32 v14, 0x48, v14
	s_waitcnt vmcnt(4)
	v_pk_fma_f32 v[12:13], v[60:61], v[24:25], v[12:13] op_sel_hi:[1,0,1]
	s_nop 0
	v_pk_fma_f32 v[12:13], v[60:61], v[24:25], v[12:13] op_sel:[1,1,0] op_sel_hi:[0,1,1] neg_lo:[1,0,0]
	v_mov_b32_e32 v16, v27
	s_waitcnt vmcnt(3)
	v_pk_fma_f32 v[10:11], v[58:59], v[24:25], v[10:11] op_sel_hi:[1,0,1]
	s_nop 0
	v_pk_fma_f32 v[10:11], v[58:59], v[24:25], v[10:11] op_sel:[1,1,0] op_sel_hi:[0,1,1] neg_lo:[1,0,0]
	s_waitcnt vmcnt(2)
	v_pk_fma_f32 v[8:9], v[38:39], v[24:25], v[8:9] op_sel_hi:[1,0,1]
	s_nop 0
	v_pk_fma_f32 v[8:9], v[38:39], v[24:25], v[8:9] op_sel:[1,1,0] op_sel_hi:[0,1,1] neg_lo:[1,0,0]
	s_waitcnt vmcnt(1)
	v_pk_fma_f32 v[12:13], v[62:63], v[26:27], v[12:13] op_sel_hi:[1,0,1]
	v_pk_fma_f32 v[8:9], v[36:37], v[26:27], v[8:9] op_sel_hi:[1,0,1]
	v_pk_fma_f32 v[12:13], v[62:63], v[16:17], v[12:13] op_sel:[1,0,0] op_sel_hi:[0,0,1] neg_lo:[1,0,0]
	v_pk_fma_f32 v[8:9], v[36:37], v[16:17], v[8:9] op_sel:[1,0,0] op_sel_hi:[0,0,1] neg_lo:[1,0,0]
	s_waitcnt vmcnt(0)
	v_pk_fma_f32 v[10:11], v[30:31], v[26:27], v[10:11] op_sel_hi:[1,0,1]
	s_nop 0
	v_pk_fma_f32 v[10:11], v[30:31], v[16:17], v[10:11] op_sel:[1,0,0] op_sel_hi:[0,0,1] neg_lo:[1,0,0]
	s_andn2_b64 exec, exec, s[14:15]
	s_cbranch_execnz .LBB94_13
; %bb.14:
	s_or_b64 exec, exec, s[14:15]
.LBB94_15:
	s_or_b64 exec, exec, s[4:5]
	s_cbranch_execz .LBB94_19
	s_branch .LBB94_24
.LBB94_16:
	v_mov_b64_e32 v[4:5], s[8:9]
	flat_load_dword v3, v[4:5] offset:4
	s_and_b64 vcc, exec, s[4:5]
	v_mov_b32_e32 v4, s6
	s_cbranch_vccnz .LBB94_4
.LBB94_17:
	v_mov_b64_e32 v[4:5], s[6:7]
	flat_load_dword v4, v[4:5]
	s_and_b64 vcc, exec, s[4:5]
	v_mov_b32_e32 v5, s7
	s_cbranch_vccz .LBB94_5
	s_branch .LBB94_6
.LBB94_18:
                                        ; implicit-def: $vgpr13
                                        ; implicit-def: $vgpr9
                                        ; implicit-def: $vgpr11
.LBB94_19:
	v_mov_b32_e32 v13, 0
	v_mov_b32_e32 v12, v13
	;; [unrolled: 1-line block ×6, first 2 shown]
	s_and_saveexec_b64 s[4:5], s[2:3]
	s_cbranch_execz .LBB94_23
; %bb.20:
	v_mad_u64_u32 v[14:15], s[2:3], v0, 18, 17
	v_mov_b32_e32 v17, 0
	s_mov_b64 s[2:3], 0
	v_mov_b32_e32 v8, v17
	v_mov_b32_e32 v9, v17
	;; [unrolled: 1-line block ×6, first 2 shown]
.LBB94_21:                              ; =>This Inner Loop Header: Depth=1
	v_ashrrev_i32_e32 v1, 31, v0
	v_subrev_u32_e32 v16, 17, v14
	v_add_u32_e32 v18, -11, v14
	v_add_u32_e32 v20, -5, v14
	v_mov_b32_e32 v19, v17
	v_mov_b32_e32 v21, v17
	v_lshl_add_u64 v[24:25], v[0:1], 2, s[6:7]
	v_lshl_add_u64 v[26:27], v[16:17], 3, s[8:9]
	;; [unrolled: 1-line block ×4, first 2 shown]
	global_load_dword v1, v[24:25], off
	global_load_dwordx4 v[18:21], v[26:27], off
	v_add_u32_e32 v16, -10, v14
	v_mov_b32_e32 v15, v17
	v_lshl_add_u64 v[24:25], v[16:17], 3, s[8:9]
	v_add_u32_e32 v16, -4, v14
	v_lshl_add_u64 v[34:35], v[14:15], 3, s[8:9]
	v_lshl_add_u64 v[26:27], v[16:17], 3, s[8:9]
	v_add_u32_e32 v16, -15, v14
	v_mov_b32_e32 v33, v17
	global_load_dwordx2 v[36:37], v[28:29], off
	global_load_dwordx2 v[38:39], v[30:31], off
	;; [unrolled: 1-line block ×3, first 2 shown]
	v_add_u32_e32 v0, 4, v0
	global_load_dwordx2 v[34:35], v[24:25], off
	v_lshl_add_u64 v[24:25], v[16:17], 3, s[8:9]
	global_load_dwordx2 v[42:43], v[26:27], off
	global_load_dwordx2 v[44:45], v[24:25], off
	v_cmp_ge_i32_e32 vcc, v0, v22
	s_or_b64 s[2:3], vcc, s[2:3]
	s_waitcnt vmcnt(7)
	v_subrev_u32_e32 v1, s12, v1
	v_mul_lo_u32 v32, v1, 6
	v_lshl_add_u64 v[24:25], v[32:33], 3, s[10:11]
	global_load_dwordx4 v[24:27], v[24:25], off
	v_add_u32_e32 v16, 2, v32
	v_lshl_add_u64 v[28:29], v[16:17], 3, s[10:11]
	global_load_dwordx4 v[28:31], v[28:29], off
	v_add_u32_e32 v16, -9, v14
	v_lshl_add_u64 v[48:49], v[16:17], 3, s[8:9]
	v_add_u32_e32 v16, -3, v14
	v_lshl_add_u64 v[50:51], v[16:17], 3, s[8:9]
	v_add_u32_e32 v16, -14, v14
	v_lshl_add_u64 v[52:53], v[16:17], 3, s[8:9]
	v_add_u32_e32 v16, -8, v14
	v_lshl_add_u64 v[54:55], v[16:17], 3, s[8:9]
	v_add_u32_e32 v16, -2, v14
	v_lshl_add_u64 v[56:57], v[16:17], 3, s[8:9]
	v_add_u32_e32 v16, -13, v14
	global_load_dwordx2 v[48:49], v[48:49], off
	v_lshl_add_u64 v[58:59], v[16:17], 3, s[8:9]
	global_load_dwordx2 v[50:51], v[50:51], off
	v_add_u32_e32 v16, 4, v32
	global_load_dwordx2 v[52:53], v[52:53], off
	s_waitcnt vmcnt(11)
	v_xor_b32_e32 v46, 0x80000000, v21
	global_load_dwordx2 v[54:55], v[54:55], off
	v_mov_b32_e32 v47, v20
	global_load_dwordx2 v[32:33], v[56:57], off
	s_waitcnt vmcnt(6)
	v_pk_fma_f32 v[12:13], v[18:19], v[24:25], v[12:13] op_sel_hi:[1,0,1]
	global_load_dwordx2 v[58:59], v[58:59], off
	v_lshl_add_u64 v[56:57], v[16:17], 3, s[10:11]
	v_add_u32_e32 v16, -7, v14
	v_pk_fma_f32 v[12:13], v[18:19], v[24:25], v[12:13] op_sel:[1,1,0] op_sel_hi:[0,1,1] neg_lo:[1,0,0]
	v_pk_fma_f32 v[12:13], v[20:21], v[26:27], v[12:13] op_sel_hi:[1,0,1]
	global_load_dwordx4 v[18:21], v[56:57], off
	v_lshl_add_u64 v[56:57], v[16:17], 3, s[8:9]
	v_add_u32_e32 v16, -1, v14
	v_pk_fma_f32 v[10:11], v[36:37], v[24:25], v[10:11] op_sel_hi:[1,0,1]
	v_pk_fma_f32 v[8:9], v[38:39], v[24:25], v[8:9] op_sel_hi:[1,0,1]
	v_pk_fma_f32 v[10:11], v[36:37], v[24:25], v[10:11] op_sel:[1,1,0] op_sel_hi:[0,1,1] neg_lo:[1,0,0]
	v_lshl_add_u64 v[36:37], v[16:17], 3, s[8:9]
	v_add_u32_e32 v16, -12, v14
	global_load_dwordx2 v[56:57], v[56:57], off
	v_pk_fma_f32 v[8:9], v[38:39], v[24:25], v[8:9] op_sel:[1,1,0] op_sel_hi:[0,1,1] neg_lo:[1,0,0]
	v_lshl_add_u64 v[24:25], v[16:17], 3, s[8:9]
	v_add_u32_e32 v16, -6, v14
	global_load_dwordx2 v[38:39], v[36:37], off
	global_load_dwordx2 v[60:61], v[24:25], off
	v_pk_fma_f32 v[10:11], v[34:35], v[26:27], v[10:11] op_sel_hi:[1,0,1]
	v_pk_fma_f32 v[8:9], v[42:43], v[26:27], v[8:9] op_sel_hi:[1,0,1]
	v_mov_b32_e32 v24, v27
	v_lshl_add_u64 v[26:27], v[16:17], 3, s[8:9]
	global_load_dwordx2 v[26:27], v[26:27], off
	v_pk_fma_f32 v[12:13], v[46:47], v[24:25], v[12:13] op_sel_hi:[1,0,1]
	v_pk_fma_f32 v[10:11], v[34:35], v[24:25], v[10:11] op_sel:[1,0,0] op_sel_hi:[0,0,1] neg_lo:[1,0,0]
	v_pk_fma_f32 v[8:9], v[42:43], v[24:25], v[8:9] op_sel:[1,0,0] op_sel_hi:[0,0,1] neg_lo:[1,0,0]
	s_waitcnt vmcnt(11)
	v_pk_fma_f32 v[12:13], v[44:45], v[28:29], v[12:13] op_sel_hi:[1,0,1]
	s_waitcnt vmcnt(10)
	v_pk_fma_f32 v[10:11], v[48:49], v[28:29], v[10:11] op_sel_hi:[1,0,1]
	;; [unrolled: 2-line block ×3, first 2 shown]
	v_pk_fma_f32 v[12:13], v[44:45], v[28:29], v[12:13] op_sel:[1,1,0] op_sel_hi:[0,1,1] neg_lo:[1,0,0]
	v_pk_fma_f32 v[10:11], v[48:49], v[28:29], v[10:11] op_sel:[1,1,0] op_sel_hi:[0,1,1] neg_lo:[1,0,0]
	;; [unrolled: 1-line block ×3, first 2 shown]
	v_mov_b32_e32 v16, v31
	s_waitcnt vmcnt(8)
	v_pk_fma_f32 v[12:13], v[52:53], v[30:31], v[12:13] op_sel_hi:[1,0,1]
	s_waitcnt vmcnt(7)
	v_pk_fma_f32 v[10:11], v[54:55], v[30:31], v[10:11] op_sel_hi:[1,0,1]
	;; [unrolled: 2-line block ×3, first 2 shown]
	v_pk_fma_f32 v[12:13], v[52:53], v[16:17], v[12:13] op_sel:[1,0,0] op_sel_hi:[0,0,1] neg_lo:[1,0,0]
	v_pk_fma_f32 v[10:11], v[54:55], v[16:17], v[10:11] op_sel:[1,0,0] op_sel_hi:[0,0,1] neg_lo:[1,0,0]
	;; [unrolled: 1-line block ×3, first 2 shown]
	v_add_u32_e32 v14, 0x48, v14
	s_waitcnt vmcnt(4)
	v_pk_fma_f32 v[12:13], v[58:59], v[18:19], v[12:13] op_sel_hi:[1,0,1]
	s_nop 0
	v_pk_fma_f32 v[12:13], v[58:59], v[18:19], v[12:13] op_sel:[1,1,0] op_sel_hi:[0,1,1] neg_lo:[1,0,0]
	v_mov_b32_e32 v16, v21
	s_waitcnt vmcnt(3)
	v_pk_fma_f32 v[10:11], v[56:57], v[18:19], v[10:11] op_sel_hi:[1,0,1]
	s_nop 0
	v_pk_fma_f32 v[10:11], v[56:57], v[18:19], v[10:11] op_sel:[1,1,0] op_sel_hi:[0,1,1] neg_lo:[1,0,0]
	s_waitcnt vmcnt(2)
	v_pk_fma_f32 v[8:9], v[38:39], v[18:19], v[8:9] op_sel_hi:[1,0,1]
	s_nop 0
	v_pk_fma_f32 v[8:9], v[38:39], v[18:19], v[8:9] op_sel:[1,1,0] op_sel_hi:[0,1,1] neg_lo:[1,0,0]
	s_waitcnt vmcnt(1)
	v_pk_fma_f32 v[12:13], v[60:61], v[20:21], v[12:13] op_sel_hi:[1,0,1]
	v_pk_fma_f32 v[8:9], v[40:41], v[20:21], v[8:9] op_sel_hi:[1,0,1]
	v_pk_fma_f32 v[12:13], v[60:61], v[16:17], v[12:13] op_sel:[1,0,0] op_sel_hi:[0,0,1] neg_lo:[1,0,0]
	v_pk_fma_f32 v[8:9], v[40:41], v[16:17], v[8:9] op_sel:[1,0,0] op_sel_hi:[0,0,1] neg_lo:[1,0,0]
	s_waitcnt vmcnt(0)
	v_pk_fma_f32 v[10:11], v[26:27], v[20:21], v[10:11] op_sel_hi:[1,0,1]
	s_nop 0
	v_pk_fma_f32 v[10:11], v[26:27], v[16:17], v[10:11] op_sel:[1,0,0] op_sel_hi:[0,0,1] neg_lo:[1,0,0]
	s_andn2_b64 exec, exec, s[2:3]
	s_cbranch_execnz .LBB94_21
; %bb.22:
	s_or_b64 exec, exec, s[2:3]
.LBB94_23:
	s_or_b64 exec, exec, s[4:5]
.LBB94_24:
	v_mov_b32_dpp v0, v12 row_shr:1 row_mask:0xf bank_mask:0xf
	v_add_f32_e32 v0, v12, v0
	v_mov_b32_dpp v12, v13 row_shr:1 row_mask:0xf bank_mask:0xf
	v_add_f32_e32 v13, v13, v12
	v_mov_b32_dpp v1, v0 row_shr:2 row_mask:0xf bank_mask:0xf
	v_mov_b32_dpp v12, v10 row_shr:1 row_mask:0xf bank_mask:0xf
	v_add_f32_e32 v10, v10, v12
	v_mov_b32_dpp v14, v13 row_shr:2 row_mask:0xf bank_mask:0xf
	;; [unrolled: 3-line block ×5, first 2 shown]
	v_cmp_eq_u32_e32 vcc, 3, v7
	v_mov_b32_dpp v19, v9 row_shr:2 row_mask:0xf bank_mask:0xf
	s_and_b64 exec, exec, vcc
	s_cbranch_execz .LBB94_29
; %bb.25:
	s_load_dwordx2 s[2:3], s[0:1], 0x38
	v_add_f32_e32 v12, v0, v1
	v_and_b32_e32 v1, 0x7fffffff, v4
	v_cmp_eq_u32_e32 vcc, 0, v1
	v_cmp_eq_f32_e64 s[0:1], 0, v5
	v_add_f32_e32 v16, v13, v14
	v_add_f32_e32 v10, v10, v15
	;; [unrolled: 1-line block ×5, first 2 shown]
	s_and_b64 s[0:1], vcc, s[0:1]
	s_and_saveexec_b64 s[4:5], s[0:1]
	s_xor_b64 s[0:1], exec, s[4:5]
	s_cbranch_execz .LBB94_27
; %bb.26:
	v_lshl_add_u32 v4, v6, 1, v6
	v_xor_b32_e32 v18, 0x80000000, v3
	v_ashrrev_i32_e32 v5, 31, v4
	v_mov_b32_e32 v19, v2
	s_waitcnt lgkmcnt(0)
	v_lshl_add_u64 v[20:21], v[4:5], 3, s[2:3]
	v_pk_mul_f32 v[4:5], v[16:17], v[18:19] op_sel_hi:[0,1]
	v_pk_mul_f32 v[6:7], v[14:15], v[18:19] op_sel_hi:[0,1]
	v_pk_fma_f32 v[4:5], v[2:3], v[12:13], v[4:5] op_sel_hi:[1,0,1]
	v_pk_fma_f32 v[6:7], v[2:3], v[10:11], v[6:7] op_sel_hi:[1,0,1]
	global_store_dwordx4 v[20:21], v[4:7], off
                                        ; implicit-def: $vgpr6
                                        ; implicit-def: $vgpr12
                                        ; implicit-def: $vgpr16
                                        ; implicit-def: $vgpr10
                                        ; implicit-def: $vgpr14
	s_nop 1
	v_pk_mul_f32 v[4:5], v[8:9], v[18:19] op_sel_hi:[0,1]
	v_pk_fma_f32 v[0:1], v[2:3], v[0:1], v[4:5] op_sel_hi:[1,0,1]
	global_store_dwordx2 v[20:21], v[0:1], off offset:16
                                        ; implicit-def: $vgpr3
                                        ; implicit-def: $vgpr4
                                        ; implicit-def: $vgpr0
                                        ; implicit-def: $vgpr8
.LBB94_27:
	s_andn2_saveexec_b64 s[0:1], s[0:1]
	s_cbranch_execz .LBB94_29
; %bb.28:
	v_lshl_add_u32 v6, v6, 1, v6
	v_ashrrev_i32_e32 v7, 31, v6
	s_waitcnt lgkmcnt(0)
	v_lshl_add_u64 v[6:7], v[6:7], 3, s[2:3]
	global_load_dwordx4 v[18:21], v[6:7], off
	global_load_dwordx2 v[22:23], v[6:7], off offset:16
	v_xor_b32_e32 v24, 0x80000000, v3
	v_mov_b32_e32 v25, v2
	v_pk_mul_f32 v[16:17], v[16:17], v[24:25] op_sel_hi:[0,1]
	v_pk_mul_f32 v[14:15], v[14:15], v[24:25] op_sel_hi:[0,1]
	;; [unrolled: 1-line block ×3, first 2 shown]
	v_pk_fma_f32 v[12:13], v[2:3], v[12:13], v[16:17] op_sel_hi:[1,0,1]
	v_pk_fma_f32 v[10:11], v[2:3], v[10:11], v[14:15] op_sel_hi:[1,0,1]
	v_xor_b32_e32 v26, 0x80000000, v5
	v_mov_b32_e32 v27, v4
	v_pk_fma_f32 v[0:1], v[2:3], v[0:1], v[8:9] op_sel_hi:[1,0,1]
	s_waitcnt vmcnt(1)
	v_pk_fma_f32 v[2:3], v[4:5], v[18:19], v[12:13] op_sel_hi:[1,0,1]
	v_pk_fma_f32 v[8:9], v[4:5], v[20:21], v[10:11] op_sel_hi:[1,0,1]
	v_mov_b32_e32 v10, v21
	s_waitcnt vmcnt(0)
	v_pk_fma_f32 v[4:5], v[4:5], v[22:23], v[0:1] op_sel_hi:[1,0,1]
	v_pk_fma_f32 v[0:1], v[26:27], v[18:19], v[2:3] op_sel:[0,1,0]
	v_pk_fma_f32 v[2:3], v[26:27], v[10:11], v[8:9] op_sel_hi:[1,0,1]
	v_pk_fma_f32 v[4:5], v[26:27], v[22:23], v[4:5] op_sel:[0,1,0]
	global_store_dwordx4 v[6:7], v[0:3], off
	global_store_dwordx2 v[6:7], v[4:5], off offset:16
.LBB94_29:
	s_endpgm
	.section	.rodata,"a",@progbits
	.p2align	6, 0x0
	.amdhsa_kernel _ZN9rocsparseL19gebsrmvn_3xn_kernelILj128ELj6ELj4E21rocsparse_complex_numIfEEEvi20rocsparse_direction_NS_24const_host_device_scalarIT2_EEPKiS8_PKS5_SA_S6_PS5_21rocsparse_index_base_b
		.amdhsa_group_segment_fixed_size 0
		.amdhsa_private_segment_fixed_size 0
		.amdhsa_kernarg_size 72
		.amdhsa_user_sgpr_count 2
		.amdhsa_user_sgpr_dispatch_ptr 0
		.amdhsa_user_sgpr_queue_ptr 0
		.amdhsa_user_sgpr_kernarg_segment_ptr 1
		.amdhsa_user_sgpr_dispatch_id 0
		.amdhsa_user_sgpr_kernarg_preload_length 0
		.amdhsa_user_sgpr_kernarg_preload_offset 0
		.amdhsa_user_sgpr_private_segment_size 0
		.amdhsa_uses_dynamic_stack 0
		.amdhsa_enable_private_segment 0
		.amdhsa_system_sgpr_workgroup_id_x 1
		.amdhsa_system_sgpr_workgroup_id_y 0
		.amdhsa_system_sgpr_workgroup_id_z 0
		.amdhsa_system_sgpr_workgroup_info 0
		.amdhsa_system_vgpr_workitem_id 0
		.amdhsa_next_free_vgpr 64
		.amdhsa_next_free_sgpr 16
		.amdhsa_accum_offset 64
		.amdhsa_reserve_vcc 1
		.amdhsa_float_round_mode_32 0
		.amdhsa_float_round_mode_16_64 0
		.amdhsa_float_denorm_mode_32 3
		.amdhsa_float_denorm_mode_16_64 3
		.amdhsa_dx10_clamp 1
		.amdhsa_ieee_mode 1
		.amdhsa_fp16_overflow 0
		.amdhsa_tg_split 0
		.amdhsa_exception_fp_ieee_invalid_op 0
		.amdhsa_exception_fp_denorm_src 0
		.amdhsa_exception_fp_ieee_div_zero 0
		.amdhsa_exception_fp_ieee_overflow 0
		.amdhsa_exception_fp_ieee_underflow 0
		.amdhsa_exception_fp_ieee_inexact 0
		.amdhsa_exception_int_div_zero 0
	.end_amdhsa_kernel
	.section	.text._ZN9rocsparseL19gebsrmvn_3xn_kernelILj128ELj6ELj4E21rocsparse_complex_numIfEEEvi20rocsparse_direction_NS_24const_host_device_scalarIT2_EEPKiS8_PKS5_SA_S6_PS5_21rocsparse_index_base_b,"axG",@progbits,_ZN9rocsparseL19gebsrmvn_3xn_kernelILj128ELj6ELj4E21rocsparse_complex_numIfEEEvi20rocsparse_direction_NS_24const_host_device_scalarIT2_EEPKiS8_PKS5_SA_S6_PS5_21rocsparse_index_base_b,comdat
.Lfunc_end94:
	.size	_ZN9rocsparseL19gebsrmvn_3xn_kernelILj128ELj6ELj4E21rocsparse_complex_numIfEEEvi20rocsparse_direction_NS_24const_host_device_scalarIT2_EEPKiS8_PKS5_SA_S6_PS5_21rocsparse_index_base_b, .Lfunc_end94-_ZN9rocsparseL19gebsrmvn_3xn_kernelILj128ELj6ELj4E21rocsparse_complex_numIfEEEvi20rocsparse_direction_NS_24const_host_device_scalarIT2_EEPKiS8_PKS5_SA_S6_PS5_21rocsparse_index_base_b
                                        ; -- End function
	.section	.AMDGPU.csdata,"",@progbits
; Kernel info:
; codeLenInByte = 2732
; NumSgprs: 22
; NumVgprs: 64
; NumAgprs: 0
; TotalNumVgprs: 64
; ScratchSize: 0
; MemoryBound: 0
; FloatMode: 240
; IeeeMode: 1
; LDSByteSize: 0 bytes/workgroup (compile time only)
; SGPRBlocks: 2
; VGPRBlocks: 7
; NumSGPRsForWavesPerEU: 22
; NumVGPRsForWavesPerEU: 64
; AccumOffset: 64
; Occupancy: 8
; WaveLimiterHint : 1
; COMPUTE_PGM_RSRC2:SCRATCH_EN: 0
; COMPUTE_PGM_RSRC2:USER_SGPR: 2
; COMPUTE_PGM_RSRC2:TRAP_HANDLER: 0
; COMPUTE_PGM_RSRC2:TGID_X_EN: 1
; COMPUTE_PGM_RSRC2:TGID_Y_EN: 0
; COMPUTE_PGM_RSRC2:TGID_Z_EN: 0
; COMPUTE_PGM_RSRC2:TIDIG_COMP_CNT: 0
; COMPUTE_PGM_RSRC3_GFX90A:ACCUM_OFFSET: 15
; COMPUTE_PGM_RSRC3_GFX90A:TG_SPLIT: 0
	.section	.text._ZN9rocsparseL19gebsrmvn_3xn_kernelILj128ELj6ELj8E21rocsparse_complex_numIfEEEvi20rocsparse_direction_NS_24const_host_device_scalarIT2_EEPKiS8_PKS5_SA_S6_PS5_21rocsparse_index_base_b,"axG",@progbits,_ZN9rocsparseL19gebsrmvn_3xn_kernelILj128ELj6ELj8E21rocsparse_complex_numIfEEEvi20rocsparse_direction_NS_24const_host_device_scalarIT2_EEPKiS8_PKS5_SA_S6_PS5_21rocsparse_index_base_b,comdat
	.globl	_ZN9rocsparseL19gebsrmvn_3xn_kernelILj128ELj6ELj8E21rocsparse_complex_numIfEEEvi20rocsparse_direction_NS_24const_host_device_scalarIT2_EEPKiS8_PKS5_SA_S6_PS5_21rocsparse_index_base_b ; -- Begin function _ZN9rocsparseL19gebsrmvn_3xn_kernelILj128ELj6ELj8E21rocsparse_complex_numIfEEEvi20rocsparse_direction_NS_24const_host_device_scalarIT2_EEPKiS8_PKS5_SA_S6_PS5_21rocsparse_index_base_b
	.p2align	8
	.type	_ZN9rocsparseL19gebsrmvn_3xn_kernelILj128ELj6ELj8E21rocsparse_complex_numIfEEEvi20rocsparse_direction_NS_24const_host_device_scalarIT2_EEPKiS8_PKS5_SA_S6_PS5_21rocsparse_index_base_b,@function
_ZN9rocsparseL19gebsrmvn_3xn_kernelILj128ELj6ELj8E21rocsparse_complex_numIfEEEvi20rocsparse_direction_NS_24const_host_device_scalarIT2_EEPKiS8_PKS5_SA_S6_PS5_21rocsparse_index_base_b: ; @_ZN9rocsparseL19gebsrmvn_3xn_kernelILj128ELj6ELj8E21rocsparse_complex_numIfEEEvi20rocsparse_direction_NS_24const_host_device_scalarIT2_EEPKiS8_PKS5_SA_S6_PS5_21rocsparse_index_base_b
; %bb.0:
	s_load_dwordx2 s[12:13], s[0:1], 0x40
	s_load_dwordx2 s[8:9], s[0:1], 0x8
	;; [unrolled: 1-line block ×3, first 2 shown]
	s_waitcnt lgkmcnt(0)
	s_bitcmp1_b32 s13, 0
	s_cselect_b64 s[4:5], -1, 0
	s_xor_b64 s[10:11], s[4:5], -1
	s_and_b64 vcc, exec, s[4:5]
	v_mov_b32_e32 v2, s8
	s_cbranch_vccnz .LBB95_2
; %bb.1:
	v_mov_b64_e32 v[2:3], s[8:9]
	flat_load_dword v2, v[2:3]
.LBB95_2:
	v_cndmask_b32_e64 v1, 0, 1, s[10:11]
	v_cmp_ne_u32_e64 s[4:5], 1, v1
	s_andn2_b64 vcc, exec, s[10:11]
	v_mov_b32_e32 v3, s9
	s_cbranch_vccz .LBB95_16
; %bb.3:
	s_and_b64 vcc, exec, s[4:5]
	v_mov_b32_e32 v4, s6
	s_cbranch_vccz .LBB95_17
.LBB95_4:
	s_and_b64 vcc, exec, s[4:5]
	v_mov_b32_e32 v5, s7
	s_cbranch_vccnz .LBB95_6
.LBB95_5:
	v_mov_b64_e32 v[6:7], s[6:7]
	flat_load_dword v5, v[6:7] offset:4
.LBB95_6:
	s_waitcnt vmcnt(0) lgkmcnt(0)
	v_and_b32_e32 v1, 0x7fffffff, v2
	v_cmp_eq_u32_e32 vcc, 0, v1
	v_cmp_eq_f32_e64 s[4:5], 0, v3
	s_and_b64 s[8:9], vcc, s[4:5]
	s_mov_b64 s[4:5], -1
	s_and_saveexec_b64 s[6:7], s[8:9]
; %bb.7:
	v_and_b32_e32 v1, 0x7fffffff, v5
	v_cmp_neq_f32_e32 vcc, 1.0, v4
	v_cmp_ne_u32_e64 s[4:5], 0, v1
	s_or_b64 s[4:5], vcc, s[4:5]
	s_orn2_b64 s[4:5], s[4:5], exec
; %bb.8:
	s_or_b64 exec, exec, s[6:7]
	s_and_saveexec_b64 s[6:7], s[4:5]
	s_cbranch_execz .LBB95_29
; %bb.9:
	s_load_dwordx2 s[14:15], s[0:1], 0x0
	v_lshrrev_b32_e32 v1, 3, v0
	v_lshl_or_b32 v6, s2, 4, v1
	s_waitcnt lgkmcnt(0)
	v_cmp_gt_i32_e32 vcc, s14, v6
	s_and_b64 exec, exec, vcc
	s_cbranch_execz .LBB95_29
; %bb.10:
	s_load_dwordx8 s[4:11], s[0:1], 0x10
	v_ashrrev_i32_e32 v7, 31, v6
	s_cmp_lg_u32 s15, 0
	s_waitcnt lgkmcnt(0)
	v_lshl_add_u64 v[8:9], v[6:7], 2, s[4:5]
	global_load_dwordx2 v[8:9], v[8:9], off
	v_and_b32_e32 v7, 7, v0
	s_waitcnt vmcnt(0)
	v_subrev_u32_e32 v0, s12, v8
	v_subrev_u32_e32 v22, s12, v9
	v_add_u32_e32 v0, v0, v7
	v_cmp_lt_i32_e64 s[2:3], v0, v22
	s_cbranch_scc0 .LBB95_18
; %bb.11:
	v_mov_b32_e32 v13, 0
	v_mov_b32_e32 v12, v13
	;; [unrolled: 1-line block ×6, first 2 shown]
	s_and_saveexec_b64 s[4:5], s[2:3]
	s_cbranch_execz .LBB95_15
; %bb.12:
	v_mad_u64_u32 v[14:15], s[14:15], v0, 18, 17
	v_mov_b32_e32 v17, 0
	s_mov_b64 s[14:15], 0
	v_mov_b32_e32 v18, v0
	v_mov_b32_e32 v8, v17
	;; [unrolled: 1-line block ×7, first 2 shown]
.LBB95_13:                              ; =>This Inner Loop Header: Depth=1
	v_ashrrev_i32_e32 v19, 31, v18
	v_subrev_u32_e32 v16, 17, v14
	v_lshl_add_u64 v[28:29], v[18:19], 2, s[6:7]
	v_lshl_add_u64 v[30:31], v[16:17], 3, s[8:9]
	global_load_dword v1, v[28:29], off
	global_load_dwordx4 v[24:27], v[30:31], off
	v_add_u32_e32 v16, -15, v14
	v_lshl_add_u64 v[28:29], v[16:17], 3, s[8:9]
	v_add_u32_e32 v16, -14, v14
	v_lshl_add_u64 v[30:31], v[16:17], 3, s[8:9]
	v_add_u32_e32 v16, -13, v14
	v_mov_b32_e32 v15, v17
	global_load_dwordx2 v[38:39], v[28:29], off
	global_load_dwordx2 v[40:41], v[30:31], off
	v_lshl_add_u64 v[28:29], v[16:17], 3, s[8:9]
	v_add_u32_e32 v16, -12, v14
	v_lshl_add_u64 v[32:33], v[14:15], 3, s[8:9]
	v_lshl_add_u64 v[30:31], v[16:17], 3, s[8:9]
	v_add_u32_e32 v16, -11, v14
	v_mov_b32_e32 v21, v17
	global_load_dwordx2 v[36:37], v[32:33], off
	global_load_dwordx2 v[42:43], v[28:29], off
	v_lshl_add_u64 v[28:29], v[16:17], 3, s[8:9]
	global_load_dwordx2 v[44:45], v[30:31], off
	global_load_dwordx2 v[46:47], v[28:29], off
	v_add_u32_e32 v18, 8, v18
	v_cmp_ge_i32_e32 vcc, v18, v22
	s_or_b64 s[14:15], vcc, s[14:15]
	s_waitcnt vmcnt(7)
	v_subrev_u32_e32 v1, s12, v1
	v_mul_lo_u32 v20, v1, 6
	v_lshl_add_u64 v[28:29], v[20:21], 3, s[10:11]
	global_load_dwordx4 v[28:31], v[28:29], off
	v_add_u32_e32 v16, 2, v20
	v_lshl_add_u64 v[32:33], v[16:17], 3, s[10:11]
	global_load_dwordx4 v[32:35], v[32:33], off
	v_add_u32_e32 v16, -10, v14
	v_lshl_add_u64 v[50:51], v[16:17], 3, s[8:9]
	v_add_u32_e32 v16, -9, v14
	v_lshl_add_u64 v[52:53], v[16:17], 3, s[8:9]
	;; [unrolled: 2-line block ×5, first 2 shown]
	v_add_u32_e32 v16, -5, v14
	global_load_dwordx2 v[50:51], v[50:51], off
	v_lshl_add_u64 v[60:61], v[16:17], 3, s[8:9]
	global_load_dwordx2 v[52:53], v[52:53], off
	v_add_u32_e32 v16, 4, v20
	global_load_dwordx2 v[54:55], v[54:55], off
	s_waitcnt vmcnt(11)
	v_xor_b32_e32 v48, 0x80000000, v27
	global_load_dwordx2 v[56:57], v[56:57], off
	v_mov_b32_e32 v49, v26
	global_load_dwordx2 v[20:21], v[58:59], off
	s_waitcnt vmcnt(6)
	v_pk_fma_f32 v[12:13], v[24:25], v[28:29], v[12:13] op_sel_hi:[1,0,1]
	global_load_dwordx2 v[60:61], v[60:61], off
	v_lshl_add_u64 v[58:59], v[16:17], 3, s[10:11]
	v_add_u32_e32 v16, -4, v14
	v_pk_fma_f32 v[10:11], v[26:27], v[28:29], v[10:11] op_sel_hi:[1,0,1]
	v_pk_fma_f32 v[12:13], v[24:25], v[28:29], v[12:13] op_sel:[1,1,0] op_sel_hi:[0,1,1] neg_lo:[1,0,0]
	global_load_dwordx4 v[24:27], v[58:59], off
	v_lshl_add_u64 v[58:59], v[16:17], 3, s[8:9]
	v_add_u32_e32 v16, -3, v14
	v_pk_fma_f32 v[10:11], v[48:49], v[28:29], v[10:11] op_sel:[0,1,0]
	v_lshl_add_u64 v[48:49], v[16:17], 3, s[8:9]
	v_add_u32_e32 v16, -2, v14
	v_pk_fma_f32 v[8:9], v[38:39], v[28:29], v[8:9] op_sel_hi:[1,0,1]
	global_load_dwordx2 v[58:59], v[58:59], off
	v_pk_fma_f32 v[8:9], v[38:39], v[28:29], v[8:9] op_sel:[1,1,0] op_sel_hi:[0,1,1] neg_lo:[1,0,0]
	v_lshl_add_u64 v[28:29], v[16:17], 3, s[8:9]
	v_add_u32_e32 v16, -1, v14
	global_load_dwordx2 v[38:39], v[48:49], off
	global_load_dwordx2 v[62:63], v[28:29], off
	v_pk_fma_f32 v[12:13], v[40:41], v[30:31], v[12:13] op_sel_hi:[1,0,1]
	v_pk_fma_f32 v[10:11], v[42:43], v[30:31], v[10:11] op_sel_hi:[1,0,1]
	;; [unrolled: 1-line block ×3, first 2 shown]
	v_mov_b32_e32 v28, v31
	v_lshl_add_u64 v[30:31], v[16:17], 3, s[8:9]
	global_load_dwordx2 v[30:31], v[30:31], off
	v_pk_fma_f32 v[12:13], v[40:41], v[28:29], v[12:13] op_sel:[1,0,0] op_sel_hi:[0,0,1] neg_lo:[1,0,0]
	v_pk_fma_f32 v[10:11], v[42:43], v[28:29], v[10:11] op_sel:[1,0,0] op_sel_hi:[0,0,1] neg_lo:[1,0,0]
	;; [unrolled: 1-line block ×3, first 2 shown]
	s_waitcnt vmcnt(11)
	v_pk_fma_f32 v[12:13], v[46:47], v[32:33], v[12:13] op_sel_hi:[1,0,1]
	s_waitcnt vmcnt(10)
	v_pk_fma_f32 v[10:11], v[50:51], v[32:33], v[10:11] op_sel_hi:[1,0,1]
	;; [unrolled: 2-line block ×3, first 2 shown]
	v_pk_fma_f32 v[12:13], v[46:47], v[32:33], v[12:13] op_sel:[1,1,0] op_sel_hi:[0,1,1] neg_lo:[1,0,0]
	v_pk_fma_f32 v[10:11], v[50:51], v[32:33], v[10:11] op_sel:[1,1,0] op_sel_hi:[0,1,1] neg_lo:[1,0,0]
	;; [unrolled: 1-line block ×3, first 2 shown]
	v_mov_b32_e32 v16, v35
	s_waitcnt vmcnt(8)
	v_pk_fma_f32 v[12:13], v[54:55], v[34:35], v[12:13] op_sel_hi:[1,0,1]
	s_waitcnt vmcnt(7)
	v_pk_fma_f32 v[10:11], v[56:57], v[34:35], v[10:11] op_sel_hi:[1,0,1]
	;; [unrolled: 2-line block ×3, first 2 shown]
	v_pk_fma_f32 v[12:13], v[54:55], v[16:17], v[12:13] op_sel:[1,0,0] op_sel_hi:[0,0,1] neg_lo:[1,0,0]
	v_pk_fma_f32 v[10:11], v[56:57], v[16:17], v[10:11] op_sel:[1,0,0] op_sel_hi:[0,0,1] neg_lo:[1,0,0]
	;; [unrolled: 1-line block ×3, first 2 shown]
	v_add_u32_e32 v14, 0x90, v14
	s_waitcnt vmcnt(4)
	v_pk_fma_f32 v[12:13], v[60:61], v[24:25], v[12:13] op_sel_hi:[1,0,1]
	s_nop 0
	v_pk_fma_f32 v[12:13], v[60:61], v[24:25], v[12:13] op_sel:[1,1,0] op_sel_hi:[0,1,1] neg_lo:[1,0,0]
	v_mov_b32_e32 v16, v27
	s_waitcnt vmcnt(3)
	v_pk_fma_f32 v[10:11], v[58:59], v[24:25], v[10:11] op_sel_hi:[1,0,1]
	s_nop 0
	v_pk_fma_f32 v[10:11], v[58:59], v[24:25], v[10:11] op_sel:[1,1,0] op_sel_hi:[0,1,1] neg_lo:[1,0,0]
	s_waitcnt vmcnt(2)
	v_pk_fma_f32 v[8:9], v[38:39], v[24:25], v[8:9] op_sel_hi:[1,0,1]
	s_nop 0
	v_pk_fma_f32 v[8:9], v[38:39], v[24:25], v[8:9] op_sel:[1,1,0] op_sel_hi:[0,1,1] neg_lo:[1,0,0]
	s_waitcnt vmcnt(1)
	v_pk_fma_f32 v[12:13], v[62:63], v[26:27], v[12:13] op_sel_hi:[1,0,1]
	v_pk_fma_f32 v[8:9], v[36:37], v[26:27], v[8:9] op_sel_hi:[1,0,1]
	v_pk_fma_f32 v[12:13], v[62:63], v[16:17], v[12:13] op_sel:[1,0,0] op_sel_hi:[0,0,1] neg_lo:[1,0,0]
	v_pk_fma_f32 v[8:9], v[36:37], v[16:17], v[8:9] op_sel:[1,0,0] op_sel_hi:[0,0,1] neg_lo:[1,0,0]
	s_waitcnt vmcnt(0)
	v_pk_fma_f32 v[10:11], v[30:31], v[26:27], v[10:11] op_sel_hi:[1,0,1]
	s_nop 0
	v_pk_fma_f32 v[10:11], v[30:31], v[16:17], v[10:11] op_sel:[1,0,0] op_sel_hi:[0,0,1] neg_lo:[1,0,0]
	s_andn2_b64 exec, exec, s[14:15]
	s_cbranch_execnz .LBB95_13
; %bb.14:
	s_or_b64 exec, exec, s[14:15]
.LBB95_15:
	s_or_b64 exec, exec, s[4:5]
	s_cbranch_execz .LBB95_19
	s_branch .LBB95_24
.LBB95_16:
	v_mov_b64_e32 v[4:5], s[8:9]
	flat_load_dword v3, v[4:5] offset:4
	s_and_b64 vcc, exec, s[4:5]
	v_mov_b32_e32 v4, s6
	s_cbranch_vccnz .LBB95_4
.LBB95_17:
	v_mov_b64_e32 v[4:5], s[6:7]
	flat_load_dword v4, v[4:5]
	s_and_b64 vcc, exec, s[4:5]
	v_mov_b32_e32 v5, s7
	s_cbranch_vccz .LBB95_5
	s_branch .LBB95_6
.LBB95_18:
                                        ; implicit-def: $vgpr13
                                        ; implicit-def: $vgpr9
                                        ; implicit-def: $vgpr11
.LBB95_19:
	v_mov_b32_e32 v13, 0
	v_mov_b32_e32 v12, v13
	;; [unrolled: 1-line block ×6, first 2 shown]
	s_and_saveexec_b64 s[4:5], s[2:3]
	s_cbranch_execz .LBB95_23
; %bb.20:
	v_mad_u64_u32 v[14:15], s[2:3], v0, 18, 17
	v_mov_b32_e32 v17, 0
	s_mov_b64 s[2:3], 0
	v_mov_b32_e32 v8, v17
	v_mov_b32_e32 v9, v17
	;; [unrolled: 1-line block ×6, first 2 shown]
.LBB95_21:                              ; =>This Inner Loop Header: Depth=1
	v_ashrrev_i32_e32 v1, 31, v0
	v_subrev_u32_e32 v16, 17, v14
	v_add_u32_e32 v18, -11, v14
	v_add_u32_e32 v20, -5, v14
	v_mov_b32_e32 v19, v17
	v_mov_b32_e32 v21, v17
	v_lshl_add_u64 v[24:25], v[0:1], 2, s[6:7]
	v_lshl_add_u64 v[26:27], v[16:17], 3, s[8:9]
	;; [unrolled: 1-line block ×4, first 2 shown]
	global_load_dword v1, v[24:25], off
	global_load_dwordx4 v[18:21], v[26:27], off
	v_add_u32_e32 v16, -10, v14
	v_mov_b32_e32 v15, v17
	v_lshl_add_u64 v[24:25], v[16:17], 3, s[8:9]
	v_add_u32_e32 v16, -4, v14
	v_lshl_add_u64 v[34:35], v[14:15], 3, s[8:9]
	v_lshl_add_u64 v[26:27], v[16:17], 3, s[8:9]
	v_add_u32_e32 v16, -15, v14
	v_mov_b32_e32 v33, v17
	global_load_dwordx2 v[36:37], v[28:29], off
	global_load_dwordx2 v[38:39], v[30:31], off
	;; [unrolled: 1-line block ×3, first 2 shown]
	v_add_u32_e32 v0, 8, v0
	global_load_dwordx2 v[34:35], v[24:25], off
	v_lshl_add_u64 v[24:25], v[16:17], 3, s[8:9]
	global_load_dwordx2 v[42:43], v[26:27], off
	global_load_dwordx2 v[44:45], v[24:25], off
	v_cmp_ge_i32_e32 vcc, v0, v22
	s_or_b64 s[2:3], vcc, s[2:3]
	s_waitcnt vmcnt(7)
	v_subrev_u32_e32 v1, s12, v1
	v_mul_lo_u32 v32, v1, 6
	v_lshl_add_u64 v[24:25], v[32:33], 3, s[10:11]
	global_load_dwordx4 v[24:27], v[24:25], off
	v_add_u32_e32 v16, 2, v32
	v_lshl_add_u64 v[28:29], v[16:17], 3, s[10:11]
	global_load_dwordx4 v[28:31], v[28:29], off
	v_add_u32_e32 v16, -9, v14
	v_lshl_add_u64 v[48:49], v[16:17], 3, s[8:9]
	v_add_u32_e32 v16, -3, v14
	v_lshl_add_u64 v[50:51], v[16:17], 3, s[8:9]
	;; [unrolled: 2-line block ×5, first 2 shown]
	v_add_u32_e32 v16, -13, v14
	global_load_dwordx2 v[48:49], v[48:49], off
	v_lshl_add_u64 v[58:59], v[16:17], 3, s[8:9]
	global_load_dwordx2 v[50:51], v[50:51], off
	v_add_u32_e32 v16, 4, v32
	global_load_dwordx2 v[52:53], v[52:53], off
	s_waitcnt vmcnt(11)
	v_xor_b32_e32 v46, 0x80000000, v21
	global_load_dwordx2 v[54:55], v[54:55], off
	v_mov_b32_e32 v47, v20
	global_load_dwordx2 v[32:33], v[56:57], off
	s_waitcnt vmcnt(6)
	v_pk_fma_f32 v[12:13], v[18:19], v[24:25], v[12:13] op_sel_hi:[1,0,1]
	global_load_dwordx2 v[58:59], v[58:59], off
	v_lshl_add_u64 v[56:57], v[16:17], 3, s[10:11]
	v_add_u32_e32 v16, -7, v14
	v_pk_fma_f32 v[12:13], v[18:19], v[24:25], v[12:13] op_sel:[1,1,0] op_sel_hi:[0,1,1] neg_lo:[1,0,0]
	v_pk_fma_f32 v[12:13], v[20:21], v[26:27], v[12:13] op_sel_hi:[1,0,1]
	global_load_dwordx4 v[18:21], v[56:57], off
	v_lshl_add_u64 v[56:57], v[16:17], 3, s[8:9]
	v_add_u32_e32 v16, -1, v14
	v_pk_fma_f32 v[10:11], v[36:37], v[24:25], v[10:11] op_sel_hi:[1,0,1]
	v_pk_fma_f32 v[8:9], v[38:39], v[24:25], v[8:9] op_sel_hi:[1,0,1]
	v_pk_fma_f32 v[10:11], v[36:37], v[24:25], v[10:11] op_sel:[1,1,0] op_sel_hi:[0,1,1] neg_lo:[1,0,0]
	v_lshl_add_u64 v[36:37], v[16:17], 3, s[8:9]
	v_add_u32_e32 v16, -12, v14
	global_load_dwordx2 v[56:57], v[56:57], off
	v_pk_fma_f32 v[8:9], v[38:39], v[24:25], v[8:9] op_sel:[1,1,0] op_sel_hi:[0,1,1] neg_lo:[1,0,0]
	v_lshl_add_u64 v[24:25], v[16:17], 3, s[8:9]
	v_add_u32_e32 v16, -6, v14
	global_load_dwordx2 v[38:39], v[36:37], off
	global_load_dwordx2 v[60:61], v[24:25], off
	v_pk_fma_f32 v[10:11], v[34:35], v[26:27], v[10:11] op_sel_hi:[1,0,1]
	v_pk_fma_f32 v[8:9], v[42:43], v[26:27], v[8:9] op_sel_hi:[1,0,1]
	v_mov_b32_e32 v24, v27
	v_lshl_add_u64 v[26:27], v[16:17], 3, s[8:9]
	global_load_dwordx2 v[26:27], v[26:27], off
	v_pk_fma_f32 v[12:13], v[46:47], v[24:25], v[12:13] op_sel_hi:[1,0,1]
	v_pk_fma_f32 v[10:11], v[34:35], v[24:25], v[10:11] op_sel:[1,0,0] op_sel_hi:[0,0,1] neg_lo:[1,0,0]
	v_pk_fma_f32 v[8:9], v[42:43], v[24:25], v[8:9] op_sel:[1,0,0] op_sel_hi:[0,0,1] neg_lo:[1,0,0]
	s_waitcnt vmcnt(11)
	v_pk_fma_f32 v[12:13], v[44:45], v[28:29], v[12:13] op_sel_hi:[1,0,1]
	s_waitcnt vmcnt(10)
	v_pk_fma_f32 v[10:11], v[48:49], v[28:29], v[10:11] op_sel_hi:[1,0,1]
	;; [unrolled: 2-line block ×3, first 2 shown]
	v_pk_fma_f32 v[12:13], v[44:45], v[28:29], v[12:13] op_sel:[1,1,0] op_sel_hi:[0,1,1] neg_lo:[1,0,0]
	v_pk_fma_f32 v[10:11], v[48:49], v[28:29], v[10:11] op_sel:[1,1,0] op_sel_hi:[0,1,1] neg_lo:[1,0,0]
	;; [unrolled: 1-line block ×3, first 2 shown]
	v_mov_b32_e32 v16, v31
	s_waitcnt vmcnt(8)
	v_pk_fma_f32 v[12:13], v[52:53], v[30:31], v[12:13] op_sel_hi:[1,0,1]
	s_waitcnt vmcnt(7)
	v_pk_fma_f32 v[10:11], v[54:55], v[30:31], v[10:11] op_sel_hi:[1,0,1]
	;; [unrolled: 2-line block ×3, first 2 shown]
	v_pk_fma_f32 v[12:13], v[52:53], v[16:17], v[12:13] op_sel:[1,0,0] op_sel_hi:[0,0,1] neg_lo:[1,0,0]
	v_pk_fma_f32 v[10:11], v[54:55], v[16:17], v[10:11] op_sel:[1,0,0] op_sel_hi:[0,0,1] neg_lo:[1,0,0]
	;; [unrolled: 1-line block ×3, first 2 shown]
	v_add_u32_e32 v14, 0x90, v14
	s_waitcnt vmcnt(4)
	v_pk_fma_f32 v[12:13], v[58:59], v[18:19], v[12:13] op_sel_hi:[1,0,1]
	s_nop 0
	v_pk_fma_f32 v[12:13], v[58:59], v[18:19], v[12:13] op_sel:[1,1,0] op_sel_hi:[0,1,1] neg_lo:[1,0,0]
	v_mov_b32_e32 v16, v21
	s_waitcnt vmcnt(3)
	v_pk_fma_f32 v[10:11], v[56:57], v[18:19], v[10:11] op_sel_hi:[1,0,1]
	s_nop 0
	v_pk_fma_f32 v[10:11], v[56:57], v[18:19], v[10:11] op_sel:[1,1,0] op_sel_hi:[0,1,1] neg_lo:[1,0,0]
	s_waitcnt vmcnt(2)
	v_pk_fma_f32 v[8:9], v[38:39], v[18:19], v[8:9] op_sel_hi:[1,0,1]
	s_nop 0
	v_pk_fma_f32 v[8:9], v[38:39], v[18:19], v[8:9] op_sel:[1,1,0] op_sel_hi:[0,1,1] neg_lo:[1,0,0]
	s_waitcnt vmcnt(1)
	v_pk_fma_f32 v[12:13], v[60:61], v[20:21], v[12:13] op_sel_hi:[1,0,1]
	v_pk_fma_f32 v[8:9], v[40:41], v[20:21], v[8:9] op_sel_hi:[1,0,1]
	v_pk_fma_f32 v[12:13], v[60:61], v[16:17], v[12:13] op_sel:[1,0,0] op_sel_hi:[0,0,1] neg_lo:[1,0,0]
	v_pk_fma_f32 v[8:9], v[40:41], v[16:17], v[8:9] op_sel:[1,0,0] op_sel_hi:[0,0,1] neg_lo:[1,0,0]
	s_waitcnt vmcnt(0)
	v_pk_fma_f32 v[10:11], v[26:27], v[20:21], v[10:11] op_sel_hi:[1,0,1]
	s_nop 0
	v_pk_fma_f32 v[10:11], v[26:27], v[16:17], v[10:11] op_sel:[1,0,0] op_sel_hi:[0,0,1] neg_lo:[1,0,0]
	s_andn2_b64 exec, exec, s[2:3]
	s_cbranch_execnz .LBB95_21
; %bb.22:
	s_or_b64 exec, exec, s[2:3]
.LBB95_23:
	s_or_b64 exec, exec, s[4:5]
.LBB95_24:
	v_mov_b32_dpp v0, v12 row_shr:1 row_mask:0xf bank_mask:0xf
	v_add_f32_e32 v0, v12, v0
	v_mov_b32_dpp v12, v13 row_shr:1 row_mask:0xf bank_mask:0xf
	v_add_f32_e32 v12, v13, v12
	;; [unrolled: 2-line block ×5, first 2 shown]
	v_mov_b32_dpp v1, v0 row_shr:4 row_mask:0xf bank_mask:0xe
	v_mov_b32_dpp v14, v13 row_shr:4 row_mask:0xf bank_mask:0xe
	;; [unrolled: 1-line block ×3, first 2 shown]
	v_add_f32_e32 v10, v10, v12
	v_cmp_eq_u32_e32 vcc, 7, v7
	v_mov_b32_dpp v12, v11 row_shr:1 row_mask:0xf bank_mask:0xf
	v_add_f32_e32 v11, v11, v12
	v_mov_b32_dpp v15, v10 row_shr:4 row_mask:0xf bank_mask:0xe
	s_nop 0
	v_mov_b32_dpp v12, v11 row_shr:2 row_mask:0xf bank_mask:0xf
	v_add_f32_e32 v11, v11, v12
	s_nop 0
	v_mov_b32_dpp v12, v8 row_shr:1 row_mask:0xf bank_mask:0xf
	v_add_f32_e32 v8, v8, v12
	v_mov_b32_dpp v17, v11 row_shr:4 row_mask:0xf bank_mask:0xe
	s_nop 0
	v_mov_b32_dpp v12, v8 row_shr:2 row_mask:0xf bank_mask:0xf
	v_add_f32_e32 v8, v8, v12
	s_nop 0
	;; [unrolled: 7-line block ×3, first 2 shown]
	v_mov_b32_dpp v19, v9 row_shr:4 row_mask:0xf bank_mask:0xe
	s_and_b64 exec, exec, vcc
	s_cbranch_execz .LBB95_29
; %bb.25:
	s_load_dwordx2 s[2:3], s[0:1], 0x38
	v_add_f32_e32 v12, v0, v1
	v_and_b32_e32 v1, 0x7fffffff, v4
	v_cmp_eq_u32_e32 vcc, 0, v1
	v_cmp_eq_f32_e64 s[0:1], 0, v5
	v_add_f32_e32 v16, v13, v14
	v_add_f32_e32 v10, v10, v15
	;; [unrolled: 1-line block ×5, first 2 shown]
	s_and_b64 s[0:1], vcc, s[0:1]
	s_and_saveexec_b64 s[4:5], s[0:1]
	s_xor_b64 s[0:1], exec, s[4:5]
	s_cbranch_execz .LBB95_27
; %bb.26:
	v_lshl_add_u32 v4, v6, 1, v6
	v_xor_b32_e32 v18, 0x80000000, v3
	v_ashrrev_i32_e32 v5, 31, v4
	v_mov_b32_e32 v19, v2
	s_waitcnt lgkmcnt(0)
	v_lshl_add_u64 v[20:21], v[4:5], 3, s[2:3]
	v_pk_mul_f32 v[4:5], v[16:17], v[18:19] op_sel_hi:[0,1]
	v_pk_mul_f32 v[6:7], v[14:15], v[18:19] op_sel_hi:[0,1]
	v_pk_fma_f32 v[4:5], v[2:3], v[12:13], v[4:5] op_sel_hi:[1,0,1]
	v_pk_fma_f32 v[6:7], v[2:3], v[10:11], v[6:7] op_sel_hi:[1,0,1]
	global_store_dwordx4 v[20:21], v[4:7], off
                                        ; implicit-def: $vgpr6
                                        ; implicit-def: $vgpr12
                                        ; implicit-def: $vgpr16
                                        ; implicit-def: $vgpr10
                                        ; implicit-def: $vgpr14
	s_nop 1
	v_pk_mul_f32 v[4:5], v[8:9], v[18:19] op_sel_hi:[0,1]
	v_pk_fma_f32 v[0:1], v[2:3], v[0:1], v[4:5] op_sel_hi:[1,0,1]
	global_store_dwordx2 v[20:21], v[0:1], off offset:16
                                        ; implicit-def: $vgpr3
                                        ; implicit-def: $vgpr4
                                        ; implicit-def: $vgpr0
                                        ; implicit-def: $vgpr8
.LBB95_27:
	s_andn2_saveexec_b64 s[0:1], s[0:1]
	s_cbranch_execz .LBB95_29
; %bb.28:
	v_lshl_add_u32 v6, v6, 1, v6
	v_ashrrev_i32_e32 v7, 31, v6
	s_waitcnt lgkmcnt(0)
	v_lshl_add_u64 v[6:7], v[6:7], 3, s[2:3]
	global_load_dwordx4 v[18:21], v[6:7], off
	global_load_dwordx2 v[22:23], v[6:7], off offset:16
	v_xor_b32_e32 v24, 0x80000000, v3
	v_mov_b32_e32 v25, v2
	v_pk_mul_f32 v[16:17], v[16:17], v[24:25] op_sel_hi:[0,1]
	v_pk_mul_f32 v[14:15], v[14:15], v[24:25] op_sel_hi:[0,1]
	;; [unrolled: 1-line block ×3, first 2 shown]
	v_pk_fma_f32 v[12:13], v[2:3], v[12:13], v[16:17] op_sel_hi:[1,0,1]
	v_pk_fma_f32 v[10:11], v[2:3], v[10:11], v[14:15] op_sel_hi:[1,0,1]
	v_xor_b32_e32 v26, 0x80000000, v5
	v_mov_b32_e32 v27, v4
	v_pk_fma_f32 v[0:1], v[2:3], v[0:1], v[8:9] op_sel_hi:[1,0,1]
	s_waitcnt vmcnt(1)
	v_pk_fma_f32 v[2:3], v[4:5], v[18:19], v[12:13] op_sel_hi:[1,0,1]
	v_pk_fma_f32 v[8:9], v[4:5], v[20:21], v[10:11] op_sel_hi:[1,0,1]
	v_mov_b32_e32 v10, v21
	s_waitcnt vmcnt(0)
	v_pk_fma_f32 v[4:5], v[4:5], v[22:23], v[0:1] op_sel_hi:[1,0,1]
	v_pk_fma_f32 v[0:1], v[26:27], v[18:19], v[2:3] op_sel:[0,1,0]
	v_pk_fma_f32 v[2:3], v[26:27], v[10:11], v[8:9] op_sel_hi:[1,0,1]
	v_pk_fma_f32 v[4:5], v[26:27], v[22:23], v[4:5] op_sel:[0,1,0]
	global_store_dwordx4 v[6:7], v[0:3], off
	global_store_dwordx2 v[6:7], v[4:5], off offset:16
.LBB95_29:
	s_endpgm
	.section	.rodata,"a",@progbits
	.p2align	6, 0x0
	.amdhsa_kernel _ZN9rocsparseL19gebsrmvn_3xn_kernelILj128ELj6ELj8E21rocsparse_complex_numIfEEEvi20rocsparse_direction_NS_24const_host_device_scalarIT2_EEPKiS8_PKS5_SA_S6_PS5_21rocsparse_index_base_b
		.amdhsa_group_segment_fixed_size 0
		.amdhsa_private_segment_fixed_size 0
		.amdhsa_kernarg_size 72
		.amdhsa_user_sgpr_count 2
		.amdhsa_user_sgpr_dispatch_ptr 0
		.amdhsa_user_sgpr_queue_ptr 0
		.amdhsa_user_sgpr_kernarg_segment_ptr 1
		.amdhsa_user_sgpr_dispatch_id 0
		.amdhsa_user_sgpr_kernarg_preload_length 0
		.amdhsa_user_sgpr_kernarg_preload_offset 0
		.amdhsa_user_sgpr_private_segment_size 0
		.amdhsa_uses_dynamic_stack 0
		.amdhsa_enable_private_segment 0
		.amdhsa_system_sgpr_workgroup_id_x 1
		.amdhsa_system_sgpr_workgroup_id_y 0
		.amdhsa_system_sgpr_workgroup_id_z 0
		.amdhsa_system_sgpr_workgroup_info 0
		.amdhsa_system_vgpr_workitem_id 0
		.amdhsa_next_free_vgpr 64
		.amdhsa_next_free_sgpr 16
		.amdhsa_accum_offset 64
		.amdhsa_reserve_vcc 1
		.amdhsa_float_round_mode_32 0
		.amdhsa_float_round_mode_16_64 0
		.amdhsa_float_denorm_mode_32 3
		.amdhsa_float_denorm_mode_16_64 3
		.amdhsa_dx10_clamp 1
		.amdhsa_ieee_mode 1
		.amdhsa_fp16_overflow 0
		.amdhsa_tg_split 0
		.amdhsa_exception_fp_ieee_invalid_op 0
		.amdhsa_exception_fp_denorm_src 0
		.amdhsa_exception_fp_ieee_div_zero 0
		.amdhsa_exception_fp_ieee_overflow 0
		.amdhsa_exception_fp_ieee_underflow 0
		.amdhsa_exception_fp_ieee_inexact 0
		.amdhsa_exception_int_div_zero 0
	.end_amdhsa_kernel
	.section	.text._ZN9rocsparseL19gebsrmvn_3xn_kernelILj128ELj6ELj8E21rocsparse_complex_numIfEEEvi20rocsparse_direction_NS_24const_host_device_scalarIT2_EEPKiS8_PKS5_SA_S6_PS5_21rocsparse_index_base_b,"axG",@progbits,_ZN9rocsparseL19gebsrmvn_3xn_kernelILj128ELj6ELj8E21rocsparse_complex_numIfEEEvi20rocsparse_direction_NS_24const_host_device_scalarIT2_EEPKiS8_PKS5_SA_S6_PS5_21rocsparse_index_base_b,comdat
.Lfunc_end95:
	.size	_ZN9rocsparseL19gebsrmvn_3xn_kernelILj128ELj6ELj8E21rocsparse_complex_numIfEEEvi20rocsparse_direction_NS_24const_host_device_scalarIT2_EEPKiS8_PKS5_SA_S6_PS5_21rocsparse_index_base_b, .Lfunc_end95-_ZN9rocsparseL19gebsrmvn_3xn_kernelILj128ELj6ELj8E21rocsparse_complex_numIfEEEvi20rocsparse_direction_NS_24const_host_device_scalarIT2_EEPKiS8_PKS5_SA_S6_PS5_21rocsparse_index_base_b
                                        ; -- End function
	.section	.AMDGPU.csdata,"",@progbits
; Kernel info:
; codeLenInByte = 2828
; NumSgprs: 22
; NumVgprs: 64
; NumAgprs: 0
; TotalNumVgprs: 64
; ScratchSize: 0
; MemoryBound: 0
; FloatMode: 240
; IeeeMode: 1
; LDSByteSize: 0 bytes/workgroup (compile time only)
; SGPRBlocks: 2
; VGPRBlocks: 7
; NumSGPRsForWavesPerEU: 22
; NumVGPRsForWavesPerEU: 64
; AccumOffset: 64
; Occupancy: 8
; WaveLimiterHint : 1
; COMPUTE_PGM_RSRC2:SCRATCH_EN: 0
; COMPUTE_PGM_RSRC2:USER_SGPR: 2
; COMPUTE_PGM_RSRC2:TRAP_HANDLER: 0
; COMPUTE_PGM_RSRC2:TGID_X_EN: 1
; COMPUTE_PGM_RSRC2:TGID_Y_EN: 0
; COMPUTE_PGM_RSRC2:TGID_Z_EN: 0
; COMPUTE_PGM_RSRC2:TIDIG_COMP_CNT: 0
; COMPUTE_PGM_RSRC3_GFX90A:ACCUM_OFFSET: 15
; COMPUTE_PGM_RSRC3_GFX90A:TG_SPLIT: 0
	.section	.text._ZN9rocsparseL19gebsrmvn_3xn_kernelILj128ELj6ELj16E21rocsparse_complex_numIfEEEvi20rocsparse_direction_NS_24const_host_device_scalarIT2_EEPKiS8_PKS5_SA_S6_PS5_21rocsparse_index_base_b,"axG",@progbits,_ZN9rocsparseL19gebsrmvn_3xn_kernelILj128ELj6ELj16E21rocsparse_complex_numIfEEEvi20rocsparse_direction_NS_24const_host_device_scalarIT2_EEPKiS8_PKS5_SA_S6_PS5_21rocsparse_index_base_b,comdat
	.globl	_ZN9rocsparseL19gebsrmvn_3xn_kernelILj128ELj6ELj16E21rocsparse_complex_numIfEEEvi20rocsparse_direction_NS_24const_host_device_scalarIT2_EEPKiS8_PKS5_SA_S6_PS5_21rocsparse_index_base_b ; -- Begin function _ZN9rocsparseL19gebsrmvn_3xn_kernelILj128ELj6ELj16E21rocsparse_complex_numIfEEEvi20rocsparse_direction_NS_24const_host_device_scalarIT2_EEPKiS8_PKS5_SA_S6_PS5_21rocsparse_index_base_b
	.p2align	8
	.type	_ZN9rocsparseL19gebsrmvn_3xn_kernelILj128ELj6ELj16E21rocsparse_complex_numIfEEEvi20rocsparse_direction_NS_24const_host_device_scalarIT2_EEPKiS8_PKS5_SA_S6_PS5_21rocsparse_index_base_b,@function
_ZN9rocsparseL19gebsrmvn_3xn_kernelILj128ELj6ELj16E21rocsparse_complex_numIfEEEvi20rocsparse_direction_NS_24const_host_device_scalarIT2_EEPKiS8_PKS5_SA_S6_PS5_21rocsparse_index_base_b: ; @_ZN9rocsparseL19gebsrmvn_3xn_kernelILj128ELj6ELj16E21rocsparse_complex_numIfEEEvi20rocsparse_direction_NS_24const_host_device_scalarIT2_EEPKiS8_PKS5_SA_S6_PS5_21rocsparse_index_base_b
; %bb.0:
	s_load_dwordx2 s[12:13], s[0:1], 0x40
	s_load_dwordx2 s[8:9], s[0:1], 0x8
	;; [unrolled: 1-line block ×3, first 2 shown]
	s_waitcnt lgkmcnt(0)
	s_bitcmp1_b32 s13, 0
	s_cselect_b64 s[4:5], -1, 0
	s_xor_b64 s[10:11], s[4:5], -1
	s_and_b64 vcc, exec, s[4:5]
	v_mov_b32_e32 v2, s8
	s_cbranch_vccnz .LBB96_2
; %bb.1:
	v_mov_b64_e32 v[2:3], s[8:9]
	flat_load_dword v2, v[2:3]
.LBB96_2:
	v_cndmask_b32_e64 v1, 0, 1, s[10:11]
	v_cmp_ne_u32_e64 s[4:5], 1, v1
	s_andn2_b64 vcc, exec, s[10:11]
	v_mov_b32_e32 v3, s9
	s_cbranch_vccz .LBB96_16
; %bb.3:
	s_and_b64 vcc, exec, s[4:5]
	v_mov_b32_e32 v4, s6
	s_cbranch_vccz .LBB96_17
.LBB96_4:
	s_and_b64 vcc, exec, s[4:5]
	v_mov_b32_e32 v5, s7
	s_cbranch_vccnz .LBB96_6
.LBB96_5:
	v_mov_b64_e32 v[6:7], s[6:7]
	flat_load_dword v5, v[6:7] offset:4
.LBB96_6:
	s_waitcnt vmcnt(0) lgkmcnt(0)
	v_and_b32_e32 v1, 0x7fffffff, v2
	v_cmp_eq_u32_e32 vcc, 0, v1
	v_cmp_eq_f32_e64 s[4:5], 0, v3
	s_and_b64 s[8:9], vcc, s[4:5]
	s_mov_b64 s[4:5], -1
	s_and_saveexec_b64 s[6:7], s[8:9]
; %bb.7:
	v_and_b32_e32 v1, 0x7fffffff, v5
	v_cmp_neq_f32_e32 vcc, 1.0, v4
	v_cmp_ne_u32_e64 s[4:5], 0, v1
	s_or_b64 s[4:5], vcc, s[4:5]
	s_orn2_b64 s[4:5], s[4:5], exec
; %bb.8:
	s_or_b64 exec, exec, s[6:7]
	s_and_saveexec_b64 s[6:7], s[4:5]
	s_cbranch_execz .LBB96_29
; %bb.9:
	s_load_dwordx2 s[14:15], s[0:1], 0x0
	v_lshrrev_b32_e32 v1, 4, v0
	v_lshl_or_b32 v6, s2, 3, v1
	s_waitcnt lgkmcnt(0)
	v_cmp_gt_i32_e32 vcc, s14, v6
	s_and_b64 exec, exec, vcc
	s_cbranch_execz .LBB96_29
; %bb.10:
	s_load_dwordx8 s[4:11], s[0:1], 0x10
	v_ashrrev_i32_e32 v7, 31, v6
	s_cmp_lg_u32 s15, 0
	s_waitcnt lgkmcnt(0)
	v_lshl_add_u64 v[8:9], v[6:7], 2, s[4:5]
	global_load_dwordx2 v[8:9], v[8:9], off
	v_and_b32_e32 v7, 15, v0
	s_waitcnt vmcnt(0)
	v_subrev_u32_e32 v0, s12, v8
	v_subrev_u32_e32 v22, s12, v9
	v_add_u32_e32 v0, v0, v7
	v_cmp_lt_i32_e64 s[2:3], v0, v22
	s_cbranch_scc0 .LBB96_18
; %bb.11:
	v_mov_b32_e32 v13, 0
	v_mov_b32_e32 v12, v13
	;; [unrolled: 1-line block ×6, first 2 shown]
	s_and_saveexec_b64 s[4:5], s[2:3]
	s_cbranch_execz .LBB96_15
; %bb.12:
	v_mad_u64_u32 v[14:15], s[14:15], v0, 18, 17
	v_mov_b32_e32 v17, 0
	s_mov_b64 s[14:15], 0
	v_mov_b32_e32 v18, v0
	v_mov_b32_e32 v8, v17
	;; [unrolled: 1-line block ×7, first 2 shown]
.LBB96_13:                              ; =>This Inner Loop Header: Depth=1
	v_ashrrev_i32_e32 v19, 31, v18
	v_subrev_u32_e32 v16, 17, v14
	v_lshl_add_u64 v[28:29], v[18:19], 2, s[6:7]
	v_lshl_add_u64 v[30:31], v[16:17], 3, s[8:9]
	global_load_dword v1, v[28:29], off
	global_load_dwordx4 v[24:27], v[30:31], off
	v_add_u32_e32 v16, -15, v14
	v_lshl_add_u64 v[28:29], v[16:17], 3, s[8:9]
	v_add_u32_e32 v16, -14, v14
	v_lshl_add_u64 v[30:31], v[16:17], 3, s[8:9]
	v_add_u32_e32 v16, -13, v14
	v_mov_b32_e32 v15, v17
	global_load_dwordx2 v[38:39], v[28:29], off
	global_load_dwordx2 v[40:41], v[30:31], off
	v_lshl_add_u64 v[28:29], v[16:17], 3, s[8:9]
	v_add_u32_e32 v16, -12, v14
	v_lshl_add_u64 v[32:33], v[14:15], 3, s[8:9]
	v_lshl_add_u64 v[30:31], v[16:17], 3, s[8:9]
	v_add_u32_e32 v16, -11, v14
	v_mov_b32_e32 v21, v17
	global_load_dwordx2 v[36:37], v[32:33], off
	global_load_dwordx2 v[42:43], v[28:29], off
	v_lshl_add_u64 v[28:29], v[16:17], 3, s[8:9]
	global_load_dwordx2 v[44:45], v[30:31], off
	global_load_dwordx2 v[46:47], v[28:29], off
	v_add_u32_e32 v18, 16, v18
	v_cmp_ge_i32_e32 vcc, v18, v22
	s_or_b64 s[14:15], vcc, s[14:15]
	s_waitcnt vmcnt(7)
	v_subrev_u32_e32 v1, s12, v1
	v_mul_lo_u32 v20, v1, 6
	v_lshl_add_u64 v[28:29], v[20:21], 3, s[10:11]
	global_load_dwordx4 v[28:31], v[28:29], off
	v_add_u32_e32 v16, 2, v20
	v_lshl_add_u64 v[32:33], v[16:17], 3, s[10:11]
	global_load_dwordx4 v[32:35], v[32:33], off
	v_add_u32_e32 v16, -10, v14
	v_lshl_add_u64 v[50:51], v[16:17], 3, s[8:9]
	v_add_u32_e32 v16, -9, v14
	v_lshl_add_u64 v[52:53], v[16:17], 3, s[8:9]
	;; [unrolled: 2-line block ×5, first 2 shown]
	v_add_u32_e32 v16, -5, v14
	global_load_dwordx2 v[50:51], v[50:51], off
	v_lshl_add_u64 v[60:61], v[16:17], 3, s[8:9]
	global_load_dwordx2 v[52:53], v[52:53], off
	v_add_u32_e32 v16, 4, v20
	global_load_dwordx2 v[54:55], v[54:55], off
	s_waitcnt vmcnt(11)
	v_xor_b32_e32 v48, 0x80000000, v27
	global_load_dwordx2 v[56:57], v[56:57], off
	v_mov_b32_e32 v49, v26
	global_load_dwordx2 v[20:21], v[58:59], off
	s_waitcnt vmcnt(6)
	v_pk_fma_f32 v[12:13], v[24:25], v[28:29], v[12:13] op_sel_hi:[1,0,1]
	global_load_dwordx2 v[60:61], v[60:61], off
	v_lshl_add_u64 v[58:59], v[16:17], 3, s[10:11]
	v_add_u32_e32 v16, -4, v14
	v_pk_fma_f32 v[10:11], v[26:27], v[28:29], v[10:11] op_sel_hi:[1,0,1]
	v_pk_fma_f32 v[12:13], v[24:25], v[28:29], v[12:13] op_sel:[1,1,0] op_sel_hi:[0,1,1] neg_lo:[1,0,0]
	global_load_dwordx4 v[24:27], v[58:59], off
	v_lshl_add_u64 v[58:59], v[16:17], 3, s[8:9]
	v_add_u32_e32 v16, -3, v14
	v_pk_fma_f32 v[10:11], v[48:49], v[28:29], v[10:11] op_sel:[0,1,0]
	v_lshl_add_u64 v[48:49], v[16:17], 3, s[8:9]
	v_add_u32_e32 v16, -2, v14
	v_pk_fma_f32 v[8:9], v[38:39], v[28:29], v[8:9] op_sel_hi:[1,0,1]
	global_load_dwordx2 v[58:59], v[58:59], off
	v_pk_fma_f32 v[8:9], v[38:39], v[28:29], v[8:9] op_sel:[1,1,0] op_sel_hi:[0,1,1] neg_lo:[1,0,0]
	v_lshl_add_u64 v[28:29], v[16:17], 3, s[8:9]
	v_add_u32_e32 v16, -1, v14
	global_load_dwordx2 v[38:39], v[48:49], off
	global_load_dwordx2 v[62:63], v[28:29], off
	v_pk_fma_f32 v[12:13], v[40:41], v[30:31], v[12:13] op_sel_hi:[1,0,1]
	v_pk_fma_f32 v[10:11], v[42:43], v[30:31], v[10:11] op_sel_hi:[1,0,1]
	;; [unrolled: 1-line block ×3, first 2 shown]
	v_mov_b32_e32 v28, v31
	v_lshl_add_u64 v[30:31], v[16:17], 3, s[8:9]
	global_load_dwordx2 v[30:31], v[30:31], off
	v_pk_fma_f32 v[12:13], v[40:41], v[28:29], v[12:13] op_sel:[1,0,0] op_sel_hi:[0,0,1] neg_lo:[1,0,0]
	v_pk_fma_f32 v[10:11], v[42:43], v[28:29], v[10:11] op_sel:[1,0,0] op_sel_hi:[0,0,1] neg_lo:[1,0,0]
	;; [unrolled: 1-line block ×3, first 2 shown]
	s_waitcnt vmcnt(11)
	v_pk_fma_f32 v[12:13], v[46:47], v[32:33], v[12:13] op_sel_hi:[1,0,1]
	s_waitcnt vmcnt(10)
	v_pk_fma_f32 v[10:11], v[50:51], v[32:33], v[10:11] op_sel_hi:[1,0,1]
	;; [unrolled: 2-line block ×3, first 2 shown]
	v_pk_fma_f32 v[12:13], v[46:47], v[32:33], v[12:13] op_sel:[1,1,0] op_sel_hi:[0,1,1] neg_lo:[1,0,0]
	v_pk_fma_f32 v[10:11], v[50:51], v[32:33], v[10:11] op_sel:[1,1,0] op_sel_hi:[0,1,1] neg_lo:[1,0,0]
	;; [unrolled: 1-line block ×3, first 2 shown]
	v_mov_b32_e32 v16, v35
	s_waitcnt vmcnt(8)
	v_pk_fma_f32 v[12:13], v[54:55], v[34:35], v[12:13] op_sel_hi:[1,0,1]
	s_waitcnt vmcnt(7)
	v_pk_fma_f32 v[10:11], v[56:57], v[34:35], v[10:11] op_sel_hi:[1,0,1]
	;; [unrolled: 2-line block ×3, first 2 shown]
	v_pk_fma_f32 v[12:13], v[54:55], v[16:17], v[12:13] op_sel:[1,0,0] op_sel_hi:[0,0,1] neg_lo:[1,0,0]
	v_pk_fma_f32 v[10:11], v[56:57], v[16:17], v[10:11] op_sel:[1,0,0] op_sel_hi:[0,0,1] neg_lo:[1,0,0]
	;; [unrolled: 1-line block ×3, first 2 shown]
	v_add_u32_e32 v14, 0x120, v14
	s_waitcnt vmcnt(4)
	v_pk_fma_f32 v[12:13], v[60:61], v[24:25], v[12:13] op_sel_hi:[1,0,1]
	s_nop 0
	v_pk_fma_f32 v[12:13], v[60:61], v[24:25], v[12:13] op_sel:[1,1,0] op_sel_hi:[0,1,1] neg_lo:[1,0,0]
	v_mov_b32_e32 v16, v27
	s_waitcnt vmcnt(3)
	v_pk_fma_f32 v[10:11], v[58:59], v[24:25], v[10:11] op_sel_hi:[1,0,1]
	s_nop 0
	v_pk_fma_f32 v[10:11], v[58:59], v[24:25], v[10:11] op_sel:[1,1,0] op_sel_hi:[0,1,1] neg_lo:[1,0,0]
	s_waitcnt vmcnt(2)
	v_pk_fma_f32 v[8:9], v[38:39], v[24:25], v[8:9] op_sel_hi:[1,0,1]
	s_nop 0
	v_pk_fma_f32 v[8:9], v[38:39], v[24:25], v[8:9] op_sel:[1,1,0] op_sel_hi:[0,1,1] neg_lo:[1,0,0]
	s_waitcnt vmcnt(1)
	v_pk_fma_f32 v[12:13], v[62:63], v[26:27], v[12:13] op_sel_hi:[1,0,1]
	v_pk_fma_f32 v[8:9], v[36:37], v[26:27], v[8:9] op_sel_hi:[1,0,1]
	v_pk_fma_f32 v[12:13], v[62:63], v[16:17], v[12:13] op_sel:[1,0,0] op_sel_hi:[0,0,1] neg_lo:[1,0,0]
	v_pk_fma_f32 v[8:9], v[36:37], v[16:17], v[8:9] op_sel:[1,0,0] op_sel_hi:[0,0,1] neg_lo:[1,0,0]
	s_waitcnt vmcnt(0)
	v_pk_fma_f32 v[10:11], v[30:31], v[26:27], v[10:11] op_sel_hi:[1,0,1]
	s_nop 0
	v_pk_fma_f32 v[10:11], v[30:31], v[16:17], v[10:11] op_sel:[1,0,0] op_sel_hi:[0,0,1] neg_lo:[1,0,0]
	s_andn2_b64 exec, exec, s[14:15]
	s_cbranch_execnz .LBB96_13
; %bb.14:
	s_or_b64 exec, exec, s[14:15]
.LBB96_15:
	s_or_b64 exec, exec, s[4:5]
	s_cbranch_execz .LBB96_19
	s_branch .LBB96_24
.LBB96_16:
	v_mov_b64_e32 v[4:5], s[8:9]
	flat_load_dword v3, v[4:5] offset:4
	s_and_b64 vcc, exec, s[4:5]
	v_mov_b32_e32 v4, s6
	s_cbranch_vccnz .LBB96_4
.LBB96_17:
	v_mov_b64_e32 v[4:5], s[6:7]
	flat_load_dword v4, v[4:5]
	s_and_b64 vcc, exec, s[4:5]
	v_mov_b32_e32 v5, s7
	s_cbranch_vccz .LBB96_5
	s_branch .LBB96_6
.LBB96_18:
                                        ; implicit-def: $vgpr13
                                        ; implicit-def: $vgpr9
                                        ; implicit-def: $vgpr11
.LBB96_19:
	v_mov_b32_e32 v13, 0
	v_mov_b32_e32 v12, v13
	;; [unrolled: 1-line block ×6, first 2 shown]
	s_and_saveexec_b64 s[4:5], s[2:3]
	s_cbranch_execz .LBB96_23
; %bb.20:
	v_mad_u64_u32 v[14:15], s[2:3], v0, 18, 17
	v_mov_b32_e32 v17, 0
	s_mov_b64 s[2:3], 0
	v_mov_b32_e32 v8, v17
	v_mov_b32_e32 v9, v17
	;; [unrolled: 1-line block ×6, first 2 shown]
.LBB96_21:                              ; =>This Inner Loop Header: Depth=1
	v_ashrrev_i32_e32 v1, 31, v0
	v_subrev_u32_e32 v16, 17, v14
	v_add_u32_e32 v18, -11, v14
	v_add_u32_e32 v20, -5, v14
	v_mov_b32_e32 v19, v17
	v_mov_b32_e32 v21, v17
	v_lshl_add_u64 v[24:25], v[0:1], 2, s[6:7]
	v_lshl_add_u64 v[26:27], v[16:17], 3, s[8:9]
	;; [unrolled: 1-line block ×4, first 2 shown]
	global_load_dword v1, v[24:25], off
	global_load_dwordx4 v[18:21], v[26:27], off
	v_add_u32_e32 v16, -10, v14
	v_mov_b32_e32 v15, v17
	v_lshl_add_u64 v[24:25], v[16:17], 3, s[8:9]
	v_add_u32_e32 v16, -4, v14
	v_lshl_add_u64 v[34:35], v[14:15], 3, s[8:9]
	v_lshl_add_u64 v[26:27], v[16:17], 3, s[8:9]
	v_add_u32_e32 v16, -15, v14
	v_mov_b32_e32 v33, v17
	global_load_dwordx2 v[36:37], v[28:29], off
	global_load_dwordx2 v[38:39], v[30:31], off
	;; [unrolled: 1-line block ×3, first 2 shown]
	v_add_u32_e32 v0, 16, v0
	global_load_dwordx2 v[34:35], v[24:25], off
	v_lshl_add_u64 v[24:25], v[16:17], 3, s[8:9]
	global_load_dwordx2 v[42:43], v[26:27], off
	global_load_dwordx2 v[44:45], v[24:25], off
	v_cmp_ge_i32_e32 vcc, v0, v22
	s_or_b64 s[2:3], vcc, s[2:3]
	s_waitcnt vmcnt(7)
	v_subrev_u32_e32 v1, s12, v1
	v_mul_lo_u32 v32, v1, 6
	v_lshl_add_u64 v[24:25], v[32:33], 3, s[10:11]
	global_load_dwordx4 v[24:27], v[24:25], off
	v_add_u32_e32 v16, 2, v32
	v_lshl_add_u64 v[28:29], v[16:17], 3, s[10:11]
	global_load_dwordx4 v[28:31], v[28:29], off
	v_add_u32_e32 v16, -9, v14
	v_lshl_add_u64 v[48:49], v[16:17], 3, s[8:9]
	v_add_u32_e32 v16, -3, v14
	v_lshl_add_u64 v[50:51], v[16:17], 3, s[8:9]
	;; [unrolled: 2-line block ×5, first 2 shown]
	v_add_u32_e32 v16, -13, v14
	global_load_dwordx2 v[48:49], v[48:49], off
	v_lshl_add_u64 v[58:59], v[16:17], 3, s[8:9]
	global_load_dwordx2 v[50:51], v[50:51], off
	v_add_u32_e32 v16, 4, v32
	global_load_dwordx2 v[52:53], v[52:53], off
	s_waitcnt vmcnt(11)
	v_xor_b32_e32 v46, 0x80000000, v21
	global_load_dwordx2 v[54:55], v[54:55], off
	v_mov_b32_e32 v47, v20
	global_load_dwordx2 v[32:33], v[56:57], off
	s_waitcnt vmcnt(6)
	v_pk_fma_f32 v[12:13], v[18:19], v[24:25], v[12:13] op_sel_hi:[1,0,1]
	global_load_dwordx2 v[58:59], v[58:59], off
	v_lshl_add_u64 v[56:57], v[16:17], 3, s[10:11]
	v_add_u32_e32 v16, -7, v14
	v_pk_fma_f32 v[12:13], v[18:19], v[24:25], v[12:13] op_sel:[1,1,0] op_sel_hi:[0,1,1] neg_lo:[1,0,0]
	v_pk_fma_f32 v[12:13], v[20:21], v[26:27], v[12:13] op_sel_hi:[1,0,1]
	global_load_dwordx4 v[18:21], v[56:57], off
	v_lshl_add_u64 v[56:57], v[16:17], 3, s[8:9]
	v_add_u32_e32 v16, -1, v14
	v_pk_fma_f32 v[10:11], v[36:37], v[24:25], v[10:11] op_sel_hi:[1,0,1]
	v_pk_fma_f32 v[8:9], v[38:39], v[24:25], v[8:9] op_sel_hi:[1,0,1]
	v_pk_fma_f32 v[10:11], v[36:37], v[24:25], v[10:11] op_sel:[1,1,0] op_sel_hi:[0,1,1] neg_lo:[1,0,0]
	v_lshl_add_u64 v[36:37], v[16:17], 3, s[8:9]
	v_add_u32_e32 v16, -12, v14
	global_load_dwordx2 v[56:57], v[56:57], off
	v_pk_fma_f32 v[8:9], v[38:39], v[24:25], v[8:9] op_sel:[1,1,0] op_sel_hi:[0,1,1] neg_lo:[1,0,0]
	v_lshl_add_u64 v[24:25], v[16:17], 3, s[8:9]
	v_add_u32_e32 v16, -6, v14
	global_load_dwordx2 v[38:39], v[36:37], off
	global_load_dwordx2 v[60:61], v[24:25], off
	v_pk_fma_f32 v[10:11], v[34:35], v[26:27], v[10:11] op_sel_hi:[1,0,1]
	v_pk_fma_f32 v[8:9], v[42:43], v[26:27], v[8:9] op_sel_hi:[1,0,1]
	v_mov_b32_e32 v24, v27
	v_lshl_add_u64 v[26:27], v[16:17], 3, s[8:9]
	global_load_dwordx2 v[26:27], v[26:27], off
	v_pk_fma_f32 v[12:13], v[46:47], v[24:25], v[12:13] op_sel_hi:[1,0,1]
	v_pk_fma_f32 v[10:11], v[34:35], v[24:25], v[10:11] op_sel:[1,0,0] op_sel_hi:[0,0,1] neg_lo:[1,0,0]
	v_pk_fma_f32 v[8:9], v[42:43], v[24:25], v[8:9] op_sel:[1,0,0] op_sel_hi:[0,0,1] neg_lo:[1,0,0]
	s_waitcnt vmcnt(11)
	v_pk_fma_f32 v[12:13], v[44:45], v[28:29], v[12:13] op_sel_hi:[1,0,1]
	s_waitcnt vmcnt(10)
	v_pk_fma_f32 v[10:11], v[48:49], v[28:29], v[10:11] op_sel_hi:[1,0,1]
	;; [unrolled: 2-line block ×3, first 2 shown]
	v_pk_fma_f32 v[12:13], v[44:45], v[28:29], v[12:13] op_sel:[1,1,0] op_sel_hi:[0,1,1] neg_lo:[1,0,0]
	v_pk_fma_f32 v[10:11], v[48:49], v[28:29], v[10:11] op_sel:[1,1,0] op_sel_hi:[0,1,1] neg_lo:[1,0,0]
	;; [unrolled: 1-line block ×3, first 2 shown]
	v_mov_b32_e32 v16, v31
	s_waitcnt vmcnt(8)
	v_pk_fma_f32 v[12:13], v[52:53], v[30:31], v[12:13] op_sel_hi:[1,0,1]
	s_waitcnt vmcnt(7)
	v_pk_fma_f32 v[10:11], v[54:55], v[30:31], v[10:11] op_sel_hi:[1,0,1]
	;; [unrolled: 2-line block ×3, first 2 shown]
	v_pk_fma_f32 v[12:13], v[52:53], v[16:17], v[12:13] op_sel:[1,0,0] op_sel_hi:[0,0,1] neg_lo:[1,0,0]
	v_pk_fma_f32 v[10:11], v[54:55], v[16:17], v[10:11] op_sel:[1,0,0] op_sel_hi:[0,0,1] neg_lo:[1,0,0]
	;; [unrolled: 1-line block ×3, first 2 shown]
	v_add_u32_e32 v14, 0x120, v14
	s_waitcnt vmcnt(4)
	v_pk_fma_f32 v[12:13], v[58:59], v[18:19], v[12:13] op_sel_hi:[1,0,1]
	s_nop 0
	v_pk_fma_f32 v[12:13], v[58:59], v[18:19], v[12:13] op_sel:[1,1,0] op_sel_hi:[0,1,1] neg_lo:[1,0,0]
	v_mov_b32_e32 v16, v21
	s_waitcnt vmcnt(3)
	v_pk_fma_f32 v[10:11], v[56:57], v[18:19], v[10:11] op_sel_hi:[1,0,1]
	s_nop 0
	v_pk_fma_f32 v[10:11], v[56:57], v[18:19], v[10:11] op_sel:[1,1,0] op_sel_hi:[0,1,1] neg_lo:[1,0,0]
	s_waitcnt vmcnt(2)
	v_pk_fma_f32 v[8:9], v[38:39], v[18:19], v[8:9] op_sel_hi:[1,0,1]
	s_nop 0
	v_pk_fma_f32 v[8:9], v[38:39], v[18:19], v[8:9] op_sel:[1,1,0] op_sel_hi:[0,1,1] neg_lo:[1,0,0]
	s_waitcnt vmcnt(1)
	v_pk_fma_f32 v[12:13], v[60:61], v[20:21], v[12:13] op_sel_hi:[1,0,1]
	v_pk_fma_f32 v[8:9], v[40:41], v[20:21], v[8:9] op_sel_hi:[1,0,1]
	v_pk_fma_f32 v[12:13], v[60:61], v[16:17], v[12:13] op_sel:[1,0,0] op_sel_hi:[0,0,1] neg_lo:[1,0,0]
	v_pk_fma_f32 v[8:9], v[40:41], v[16:17], v[8:9] op_sel:[1,0,0] op_sel_hi:[0,0,1] neg_lo:[1,0,0]
	s_waitcnt vmcnt(0)
	v_pk_fma_f32 v[10:11], v[26:27], v[20:21], v[10:11] op_sel_hi:[1,0,1]
	s_nop 0
	v_pk_fma_f32 v[10:11], v[26:27], v[16:17], v[10:11] op_sel:[1,0,0] op_sel_hi:[0,0,1] neg_lo:[1,0,0]
	s_andn2_b64 exec, exec, s[2:3]
	s_cbranch_execnz .LBB96_21
; %bb.22:
	s_or_b64 exec, exec, s[2:3]
.LBB96_23:
	s_or_b64 exec, exec, s[4:5]
.LBB96_24:
	v_mov_b32_dpp v0, v12 row_shr:1 row_mask:0xf bank_mask:0xf
	v_add_f32_e32 v0, v12, v0
	v_mov_b32_dpp v12, v13 row_shr:1 row_mask:0xf bank_mask:0xf
	v_add_f32_e32 v12, v13, v12
	;; [unrolled: 2-line block ×7, first 2 shown]
	v_mov_b32_dpp v1, v0 row_shr:8 row_mask:0xf bank_mask:0xc
	v_mov_b32_dpp v14, v13 row_shr:8 row_mask:0xf bank_mask:0xc
	;; [unrolled: 1-line block ×3, first 2 shown]
	v_add_f32_e32 v10, v10, v12
	v_cmp_eq_u32_e32 vcc, 15, v7
	s_nop 0
	v_mov_b32_dpp v12, v10 row_shr:4 row_mask:0xf bank_mask:0xe
	v_add_f32_e32 v10, v10, v12
	s_nop 0
	v_mov_b32_dpp v12, v11 row_shr:1 row_mask:0xf bank_mask:0xf
	v_add_f32_e32 v11, v11, v12
	v_mov_b32_dpp v15, v10 row_shr:8 row_mask:0xf bank_mask:0xc
	s_nop 0
	v_mov_b32_dpp v12, v11 row_shr:2 row_mask:0xf bank_mask:0xf
	v_add_f32_e32 v11, v11, v12
	s_nop 1
	v_mov_b32_dpp v12, v11 row_shr:4 row_mask:0xf bank_mask:0xe
	v_add_f32_e32 v11, v11, v12
	s_nop 0
	v_mov_b32_dpp v12, v8 row_shr:1 row_mask:0xf bank_mask:0xf
	v_add_f32_e32 v8, v8, v12
	v_mov_b32_dpp v17, v11 row_shr:8 row_mask:0xf bank_mask:0xc
	s_nop 0
	v_mov_b32_dpp v12, v8 row_shr:2 row_mask:0xf bank_mask:0xf
	v_add_f32_e32 v8, v8, v12
	;; [unrolled: 10-line block ×3, first 2 shown]
	s_nop 1
	v_mov_b32_dpp v12, v9 row_shr:4 row_mask:0xf bank_mask:0xe
	v_add_f32_e32 v9, v9, v12
	s_nop 1
	v_mov_b32_dpp v19, v9 row_shr:8 row_mask:0xf bank_mask:0xc
	s_and_b64 exec, exec, vcc
	s_cbranch_execz .LBB96_29
; %bb.25:
	s_load_dwordx2 s[2:3], s[0:1], 0x38
	v_add_f32_e32 v12, v0, v1
	v_and_b32_e32 v1, 0x7fffffff, v4
	v_cmp_eq_u32_e32 vcc, 0, v1
	v_cmp_eq_f32_e64 s[0:1], 0, v5
	v_add_f32_e32 v16, v13, v14
	v_add_f32_e32 v10, v10, v15
	;; [unrolled: 1-line block ×5, first 2 shown]
	s_and_b64 s[0:1], vcc, s[0:1]
	s_and_saveexec_b64 s[4:5], s[0:1]
	s_xor_b64 s[0:1], exec, s[4:5]
	s_cbranch_execz .LBB96_27
; %bb.26:
	v_lshl_add_u32 v4, v6, 1, v6
	v_xor_b32_e32 v18, 0x80000000, v3
	v_ashrrev_i32_e32 v5, 31, v4
	v_mov_b32_e32 v19, v2
	s_waitcnt lgkmcnt(0)
	v_lshl_add_u64 v[20:21], v[4:5], 3, s[2:3]
	v_pk_mul_f32 v[4:5], v[16:17], v[18:19] op_sel_hi:[0,1]
	v_pk_mul_f32 v[6:7], v[14:15], v[18:19] op_sel_hi:[0,1]
	v_pk_fma_f32 v[4:5], v[2:3], v[12:13], v[4:5] op_sel_hi:[1,0,1]
	v_pk_fma_f32 v[6:7], v[2:3], v[10:11], v[6:7] op_sel_hi:[1,0,1]
	global_store_dwordx4 v[20:21], v[4:7], off
                                        ; implicit-def: $vgpr6
                                        ; implicit-def: $vgpr12
                                        ; implicit-def: $vgpr16
                                        ; implicit-def: $vgpr10
                                        ; implicit-def: $vgpr14
	s_nop 1
	v_pk_mul_f32 v[4:5], v[8:9], v[18:19] op_sel_hi:[0,1]
	v_pk_fma_f32 v[0:1], v[2:3], v[0:1], v[4:5] op_sel_hi:[1,0,1]
	global_store_dwordx2 v[20:21], v[0:1], off offset:16
                                        ; implicit-def: $vgpr3
                                        ; implicit-def: $vgpr4
                                        ; implicit-def: $vgpr0
                                        ; implicit-def: $vgpr8
.LBB96_27:
	s_andn2_saveexec_b64 s[0:1], s[0:1]
	s_cbranch_execz .LBB96_29
; %bb.28:
	v_lshl_add_u32 v6, v6, 1, v6
	v_ashrrev_i32_e32 v7, 31, v6
	s_waitcnt lgkmcnt(0)
	v_lshl_add_u64 v[6:7], v[6:7], 3, s[2:3]
	global_load_dwordx4 v[18:21], v[6:7], off
	global_load_dwordx2 v[22:23], v[6:7], off offset:16
	v_xor_b32_e32 v24, 0x80000000, v3
	v_mov_b32_e32 v25, v2
	v_pk_mul_f32 v[16:17], v[16:17], v[24:25] op_sel_hi:[0,1]
	v_pk_mul_f32 v[14:15], v[14:15], v[24:25] op_sel_hi:[0,1]
	;; [unrolled: 1-line block ×3, first 2 shown]
	v_pk_fma_f32 v[12:13], v[2:3], v[12:13], v[16:17] op_sel_hi:[1,0,1]
	v_pk_fma_f32 v[10:11], v[2:3], v[10:11], v[14:15] op_sel_hi:[1,0,1]
	v_xor_b32_e32 v26, 0x80000000, v5
	v_mov_b32_e32 v27, v4
	v_pk_fma_f32 v[0:1], v[2:3], v[0:1], v[8:9] op_sel_hi:[1,0,1]
	s_waitcnt vmcnt(1)
	v_pk_fma_f32 v[2:3], v[4:5], v[18:19], v[12:13] op_sel_hi:[1,0,1]
	v_pk_fma_f32 v[8:9], v[4:5], v[20:21], v[10:11] op_sel_hi:[1,0,1]
	v_mov_b32_e32 v10, v21
	s_waitcnt vmcnt(0)
	v_pk_fma_f32 v[4:5], v[4:5], v[22:23], v[0:1] op_sel_hi:[1,0,1]
	v_pk_fma_f32 v[0:1], v[26:27], v[18:19], v[2:3] op_sel:[0,1,0]
	v_pk_fma_f32 v[2:3], v[26:27], v[10:11], v[8:9] op_sel_hi:[1,0,1]
	v_pk_fma_f32 v[4:5], v[26:27], v[22:23], v[4:5] op_sel:[0,1,0]
	global_store_dwordx4 v[6:7], v[0:3], off
	global_store_dwordx2 v[6:7], v[4:5], off offset:16
.LBB96_29:
	s_endpgm
	.section	.rodata,"a",@progbits
	.p2align	6, 0x0
	.amdhsa_kernel _ZN9rocsparseL19gebsrmvn_3xn_kernelILj128ELj6ELj16E21rocsparse_complex_numIfEEEvi20rocsparse_direction_NS_24const_host_device_scalarIT2_EEPKiS8_PKS5_SA_S6_PS5_21rocsparse_index_base_b
		.amdhsa_group_segment_fixed_size 0
		.amdhsa_private_segment_fixed_size 0
		.amdhsa_kernarg_size 72
		.amdhsa_user_sgpr_count 2
		.amdhsa_user_sgpr_dispatch_ptr 0
		.amdhsa_user_sgpr_queue_ptr 0
		.amdhsa_user_sgpr_kernarg_segment_ptr 1
		.amdhsa_user_sgpr_dispatch_id 0
		.amdhsa_user_sgpr_kernarg_preload_length 0
		.amdhsa_user_sgpr_kernarg_preload_offset 0
		.amdhsa_user_sgpr_private_segment_size 0
		.amdhsa_uses_dynamic_stack 0
		.amdhsa_enable_private_segment 0
		.amdhsa_system_sgpr_workgroup_id_x 1
		.amdhsa_system_sgpr_workgroup_id_y 0
		.amdhsa_system_sgpr_workgroup_id_z 0
		.amdhsa_system_sgpr_workgroup_info 0
		.amdhsa_system_vgpr_workitem_id 0
		.amdhsa_next_free_vgpr 64
		.amdhsa_next_free_sgpr 16
		.amdhsa_accum_offset 64
		.amdhsa_reserve_vcc 1
		.amdhsa_float_round_mode_32 0
		.amdhsa_float_round_mode_16_64 0
		.amdhsa_float_denorm_mode_32 3
		.amdhsa_float_denorm_mode_16_64 3
		.amdhsa_dx10_clamp 1
		.amdhsa_ieee_mode 1
		.amdhsa_fp16_overflow 0
		.amdhsa_tg_split 0
		.amdhsa_exception_fp_ieee_invalid_op 0
		.amdhsa_exception_fp_denorm_src 0
		.amdhsa_exception_fp_ieee_div_zero 0
		.amdhsa_exception_fp_ieee_overflow 0
		.amdhsa_exception_fp_ieee_underflow 0
		.amdhsa_exception_fp_ieee_inexact 0
		.amdhsa_exception_int_div_zero 0
	.end_amdhsa_kernel
	.section	.text._ZN9rocsparseL19gebsrmvn_3xn_kernelILj128ELj6ELj16E21rocsparse_complex_numIfEEEvi20rocsparse_direction_NS_24const_host_device_scalarIT2_EEPKiS8_PKS5_SA_S6_PS5_21rocsparse_index_base_b,"axG",@progbits,_ZN9rocsparseL19gebsrmvn_3xn_kernelILj128ELj6ELj16E21rocsparse_complex_numIfEEEvi20rocsparse_direction_NS_24const_host_device_scalarIT2_EEPKiS8_PKS5_SA_S6_PS5_21rocsparse_index_base_b,comdat
.Lfunc_end96:
	.size	_ZN9rocsparseL19gebsrmvn_3xn_kernelILj128ELj6ELj16E21rocsparse_complex_numIfEEEvi20rocsparse_direction_NS_24const_host_device_scalarIT2_EEPKiS8_PKS5_SA_S6_PS5_21rocsparse_index_base_b, .Lfunc_end96-_ZN9rocsparseL19gebsrmvn_3xn_kernelILj128ELj6ELj16E21rocsparse_complex_numIfEEEvi20rocsparse_direction_NS_24const_host_device_scalarIT2_EEPKiS8_PKS5_SA_S6_PS5_21rocsparse_index_base_b
                                        ; -- End function
	.section	.AMDGPU.csdata,"",@progbits
; Kernel info:
; codeLenInByte = 2920
; NumSgprs: 22
; NumVgprs: 64
; NumAgprs: 0
; TotalNumVgprs: 64
; ScratchSize: 0
; MemoryBound: 0
; FloatMode: 240
; IeeeMode: 1
; LDSByteSize: 0 bytes/workgroup (compile time only)
; SGPRBlocks: 2
; VGPRBlocks: 7
; NumSGPRsForWavesPerEU: 22
; NumVGPRsForWavesPerEU: 64
; AccumOffset: 64
; Occupancy: 8
; WaveLimiterHint : 1
; COMPUTE_PGM_RSRC2:SCRATCH_EN: 0
; COMPUTE_PGM_RSRC2:USER_SGPR: 2
; COMPUTE_PGM_RSRC2:TRAP_HANDLER: 0
; COMPUTE_PGM_RSRC2:TGID_X_EN: 1
; COMPUTE_PGM_RSRC2:TGID_Y_EN: 0
; COMPUTE_PGM_RSRC2:TGID_Z_EN: 0
; COMPUTE_PGM_RSRC2:TIDIG_COMP_CNT: 0
; COMPUTE_PGM_RSRC3_GFX90A:ACCUM_OFFSET: 15
; COMPUTE_PGM_RSRC3_GFX90A:TG_SPLIT: 0
	.section	.text._ZN9rocsparseL19gebsrmvn_3xn_kernelILj128ELj6ELj32E21rocsparse_complex_numIfEEEvi20rocsparse_direction_NS_24const_host_device_scalarIT2_EEPKiS8_PKS5_SA_S6_PS5_21rocsparse_index_base_b,"axG",@progbits,_ZN9rocsparseL19gebsrmvn_3xn_kernelILj128ELj6ELj32E21rocsparse_complex_numIfEEEvi20rocsparse_direction_NS_24const_host_device_scalarIT2_EEPKiS8_PKS5_SA_S6_PS5_21rocsparse_index_base_b,comdat
	.globl	_ZN9rocsparseL19gebsrmvn_3xn_kernelILj128ELj6ELj32E21rocsparse_complex_numIfEEEvi20rocsparse_direction_NS_24const_host_device_scalarIT2_EEPKiS8_PKS5_SA_S6_PS5_21rocsparse_index_base_b ; -- Begin function _ZN9rocsparseL19gebsrmvn_3xn_kernelILj128ELj6ELj32E21rocsparse_complex_numIfEEEvi20rocsparse_direction_NS_24const_host_device_scalarIT2_EEPKiS8_PKS5_SA_S6_PS5_21rocsparse_index_base_b
	.p2align	8
	.type	_ZN9rocsparseL19gebsrmvn_3xn_kernelILj128ELj6ELj32E21rocsparse_complex_numIfEEEvi20rocsparse_direction_NS_24const_host_device_scalarIT2_EEPKiS8_PKS5_SA_S6_PS5_21rocsparse_index_base_b,@function
_ZN9rocsparseL19gebsrmvn_3xn_kernelILj128ELj6ELj32E21rocsparse_complex_numIfEEEvi20rocsparse_direction_NS_24const_host_device_scalarIT2_EEPKiS8_PKS5_SA_S6_PS5_21rocsparse_index_base_b: ; @_ZN9rocsparseL19gebsrmvn_3xn_kernelILj128ELj6ELj32E21rocsparse_complex_numIfEEEvi20rocsparse_direction_NS_24const_host_device_scalarIT2_EEPKiS8_PKS5_SA_S6_PS5_21rocsparse_index_base_b
; %bb.0:
	s_load_dwordx2 s[12:13], s[0:1], 0x40
	s_load_dwordx2 s[8:9], s[0:1], 0x8
	;; [unrolled: 1-line block ×3, first 2 shown]
	s_waitcnt lgkmcnt(0)
	s_bitcmp1_b32 s13, 0
	s_cselect_b64 s[4:5], -1, 0
	s_xor_b64 s[10:11], s[4:5], -1
	s_and_b64 vcc, exec, s[4:5]
	v_mov_b32_e32 v2, s8
	s_cbranch_vccnz .LBB97_2
; %bb.1:
	v_mov_b64_e32 v[2:3], s[8:9]
	flat_load_dword v2, v[2:3]
.LBB97_2:
	v_cndmask_b32_e64 v1, 0, 1, s[10:11]
	v_cmp_ne_u32_e64 s[4:5], 1, v1
	s_andn2_b64 vcc, exec, s[10:11]
	v_mov_b32_e32 v3, s9
	s_cbranch_vccz .LBB97_16
; %bb.3:
	s_and_b64 vcc, exec, s[4:5]
	v_mov_b32_e32 v4, s6
	s_cbranch_vccz .LBB97_17
.LBB97_4:
	s_and_b64 vcc, exec, s[4:5]
	v_mov_b32_e32 v5, s7
	s_cbranch_vccnz .LBB97_6
.LBB97_5:
	v_mov_b64_e32 v[6:7], s[6:7]
	flat_load_dword v5, v[6:7] offset:4
.LBB97_6:
	s_waitcnt vmcnt(0) lgkmcnt(0)
	v_and_b32_e32 v1, 0x7fffffff, v2
	v_cmp_eq_u32_e32 vcc, 0, v1
	v_cmp_eq_f32_e64 s[4:5], 0, v3
	s_and_b64 s[8:9], vcc, s[4:5]
	s_mov_b64 s[4:5], -1
	s_and_saveexec_b64 s[6:7], s[8:9]
; %bb.7:
	v_and_b32_e32 v1, 0x7fffffff, v5
	v_cmp_neq_f32_e32 vcc, 1.0, v4
	v_cmp_ne_u32_e64 s[4:5], 0, v1
	s_or_b64 s[4:5], vcc, s[4:5]
	s_orn2_b64 s[4:5], s[4:5], exec
; %bb.8:
	s_or_b64 exec, exec, s[6:7]
	s_and_saveexec_b64 s[6:7], s[4:5]
	s_cbranch_execz .LBB97_29
; %bb.9:
	s_load_dwordx2 s[14:15], s[0:1], 0x0
	v_lshrrev_b32_e32 v1, 5, v0
	v_lshl_or_b32 v6, s2, 2, v1
	s_waitcnt lgkmcnt(0)
	v_cmp_gt_i32_e32 vcc, s14, v6
	s_and_b64 exec, exec, vcc
	s_cbranch_execz .LBB97_29
; %bb.10:
	s_load_dwordx8 s[4:11], s[0:1], 0x10
	v_ashrrev_i32_e32 v7, 31, v6
	s_cmp_lg_u32 s15, 0
	s_waitcnt lgkmcnt(0)
	v_lshl_add_u64 v[8:9], v[6:7], 2, s[4:5]
	global_load_dwordx2 v[8:9], v[8:9], off
	v_and_b32_e32 v7, 31, v0
	s_waitcnt vmcnt(0)
	v_subrev_u32_e32 v0, s12, v8
	v_subrev_u32_e32 v22, s12, v9
	v_add_u32_e32 v0, v0, v7
	v_cmp_lt_i32_e64 s[2:3], v0, v22
	s_cbranch_scc0 .LBB97_18
; %bb.11:
	v_mov_b32_e32 v13, 0
	v_mov_b32_e32 v12, v13
	;; [unrolled: 1-line block ×6, first 2 shown]
	s_and_saveexec_b64 s[4:5], s[2:3]
	s_cbranch_execz .LBB97_15
; %bb.12:
	v_mad_u64_u32 v[14:15], s[14:15], v0, 18, 17
	v_mov_b32_e32 v17, 0
	s_mov_b64 s[14:15], 0
	v_mov_b32_e32 v18, v0
	v_mov_b32_e32 v8, v17
	;; [unrolled: 1-line block ×7, first 2 shown]
.LBB97_13:                              ; =>This Inner Loop Header: Depth=1
	v_ashrrev_i32_e32 v19, 31, v18
	v_subrev_u32_e32 v16, 17, v14
	v_lshl_add_u64 v[28:29], v[18:19], 2, s[6:7]
	v_lshl_add_u64 v[30:31], v[16:17], 3, s[8:9]
	global_load_dword v1, v[28:29], off
	global_load_dwordx4 v[24:27], v[30:31], off
	v_add_u32_e32 v16, -15, v14
	v_lshl_add_u64 v[28:29], v[16:17], 3, s[8:9]
	v_add_u32_e32 v16, -14, v14
	v_lshl_add_u64 v[30:31], v[16:17], 3, s[8:9]
	v_add_u32_e32 v16, -13, v14
	v_mov_b32_e32 v15, v17
	global_load_dwordx2 v[38:39], v[28:29], off
	global_load_dwordx2 v[40:41], v[30:31], off
	v_lshl_add_u64 v[28:29], v[16:17], 3, s[8:9]
	v_add_u32_e32 v16, -12, v14
	v_lshl_add_u64 v[32:33], v[14:15], 3, s[8:9]
	v_lshl_add_u64 v[30:31], v[16:17], 3, s[8:9]
	v_add_u32_e32 v16, -11, v14
	v_mov_b32_e32 v21, v17
	global_load_dwordx2 v[36:37], v[32:33], off
	global_load_dwordx2 v[42:43], v[28:29], off
	v_lshl_add_u64 v[28:29], v[16:17], 3, s[8:9]
	global_load_dwordx2 v[44:45], v[30:31], off
	global_load_dwordx2 v[46:47], v[28:29], off
	v_add_u32_e32 v18, 32, v18
	v_cmp_ge_i32_e32 vcc, v18, v22
	s_or_b64 s[14:15], vcc, s[14:15]
	s_waitcnt vmcnt(7)
	v_subrev_u32_e32 v1, s12, v1
	v_mul_lo_u32 v20, v1, 6
	v_lshl_add_u64 v[28:29], v[20:21], 3, s[10:11]
	global_load_dwordx4 v[28:31], v[28:29], off
	v_add_u32_e32 v16, 2, v20
	v_lshl_add_u64 v[32:33], v[16:17], 3, s[10:11]
	global_load_dwordx4 v[32:35], v[32:33], off
	v_add_u32_e32 v16, -10, v14
	v_lshl_add_u64 v[50:51], v[16:17], 3, s[8:9]
	v_add_u32_e32 v16, -9, v14
	v_lshl_add_u64 v[52:53], v[16:17], 3, s[8:9]
	;; [unrolled: 2-line block ×5, first 2 shown]
	v_add_u32_e32 v16, -5, v14
	global_load_dwordx2 v[50:51], v[50:51], off
	v_lshl_add_u64 v[60:61], v[16:17], 3, s[8:9]
	global_load_dwordx2 v[52:53], v[52:53], off
	v_add_u32_e32 v16, 4, v20
	global_load_dwordx2 v[54:55], v[54:55], off
	s_waitcnt vmcnt(11)
	v_xor_b32_e32 v48, 0x80000000, v27
	global_load_dwordx2 v[56:57], v[56:57], off
	v_mov_b32_e32 v49, v26
	global_load_dwordx2 v[20:21], v[58:59], off
	s_waitcnt vmcnt(6)
	v_pk_fma_f32 v[12:13], v[24:25], v[28:29], v[12:13] op_sel_hi:[1,0,1]
	global_load_dwordx2 v[60:61], v[60:61], off
	v_lshl_add_u64 v[58:59], v[16:17], 3, s[10:11]
	v_add_u32_e32 v16, -4, v14
	v_pk_fma_f32 v[10:11], v[26:27], v[28:29], v[10:11] op_sel_hi:[1,0,1]
	v_pk_fma_f32 v[12:13], v[24:25], v[28:29], v[12:13] op_sel:[1,1,0] op_sel_hi:[0,1,1] neg_lo:[1,0,0]
	global_load_dwordx4 v[24:27], v[58:59], off
	v_lshl_add_u64 v[58:59], v[16:17], 3, s[8:9]
	v_add_u32_e32 v16, -3, v14
	v_pk_fma_f32 v[10:11], v[48:49], v[28:29], v[10:11] op_sel:[0,1,0]
	v_lshl_add_u64 v[48:49], v[16:17], 3, s[8:9]
	v_add_u32_e32 v16, -2, v14
	v_pk_fma_f32 v[8:9], v[38:39], v[28:29], v[8:9] op_sel_hi:[1,0,1]
	global_load_dwordx2 v[58:59], v[58:59], off
	v_pk_fma_f32 v[8:9], v[38:39], v[28:29], v[8:9] op_sel:[1,1,0] op_sel_hi:[0,1,1] neg_lo:[1,0,0]
	v_lshl_add_u64 v[28:29], v[16:17], 3, s[8:9]
	v_add_u32_e32 v16, -1, v14
	global_load_dwordx2 v[38:39], v[48:49], off
	global_load_dwordx2 v[62:63], v[28:29], off
	v_pk_fma_f32 v[12:13], v[40:41], v[30:31], v[12:13] op_sel_hi:[1,0,1]
	v_pk_fma_f32 v[10:11], v[42:43], v[30:31], v[10:11] op_sel_hi:[1,0,1]
	;; [unrolled: 1-line block ×3, first 2 shown]
	v_mov_b32_e32 v28, v31
	v_lshl_add_u64 v[30:31], v[16:17], 3, s[8:9]
	global_load_dwordx2 v[30:31], v[30:31], off
	v_pk_fma_f32 v[12:13], v[40:41], v[28:29], v[12:13] op_sel:[1,0,0] op_sel_hi:[0,0,1] neg_lo:[1,0,0]
	v_pk_fma_f32 v[10:11], v[42:43], v[28:29], v[10:11] op_sel:[1,0,0] op_sel_hi:[0,0,1] neg_lo:[1,0,0]
	;; [unrolled: 1-line block ×3, first 2 shown]
	s_waitcnt vmcnt(11)
	v_pk_fma_f32 v[12:13], v[46:47], v[32:33], v[12:13] op_sel_hi:[1,0,1]
	s_waitcnt vmcnt(10)
	v_pk_fma_f32 v[10:11], v[50:51], v[32:33], v[10:11] op_sel_hi:[1,0,1]
	;; [unrolled: 2-line block ×3, first 2 shown]
	v_pk_fma_f32 v[12:13], v[46:47], v[32:33], v[12:13] op_sel:[1,1,0] op_sel_hi:[0,1,1] neg_lo:[1,0,0]
	v_pk_fma_f32 v[10:11], v[50:51], v[32:33], v[10:11] op_sel:[1,1,0] op_sel_hi:[0,1,1] neg_lo:[1,0,0]
	;; [unrolled: 1-line block ×3, first 2 shown]
	v_mov_b32_e32 v16, v35
	s_waitcnt vmcnt(8)
	v_pk_fma_f32 v[12:13], v[54:55], v[34:35], v[12:13] op_sel_hi:[1,0,1]
	s_waitcnt vmcnt(7)
	v_pk_fma_f32 v[10:11], v[56:57], v[34:35], v[10:11] op_sel_hi:[1,0,1]
	;; [unrolled: 2-line block ×3, first 2 shown]
	v_pk_fma_f32 v[12:13], v[54:55], v[16:17], v[12:13] op_sel:[1,0,0] op_sel_hi:[0,0,1] neg_lo:[1,0,0]
	v_pk_fma_f32 v[10:11], v[56:57], v[16:17], v[10:11] op_sel:[1,0,0] op_sel_hi:[0,0,1] neg_lo:[1,0,0]
	;; [unrolled: 1-line block ×3, first 2 shown]
	v_add_u32_e32 v14, 0x240, v14
	s_waitcnt vmcnt(4)
	v_pk_fma_f32 v[12:13], v[60:61], v[24:25], v[12:13] op_sel_hi:[1,0,1]
	s_nop 0
	v_pk_fma_f32 v[12:13], v[60:61], v[24:25], v[12:13] op_sel:[1,1,0] op_sel_hi:[0,1,1] neg_lo:[1,0,0]
	v_mov_b32_e32 v16, v27
	s_waitcnt vmcnt(3)
	v_pk_fma_f32 v[10:11], v[58:59], v[24:25], v[10:11] op_sel_hi:[1,0,1]
	s_nop 0
	v_pk_fma_f32 v[10:11], v[58:59], v[24:25], v[10:11] op_sel:[1,1,0] op_sel_hi:[0,1,1] neg_lo:[1,0,0]
	s_waitcnt vmcnt(2)
	v_pk_fma_f32 v[8:9], v[38:39], v[24:25], v[8:9] op_sel_hi:[1,0,1]
	s_nop 0
	v_pk_fma_f32 v[8:9], v[38:39], v[24:25], v[8:9] op_sel:[1,1,0] op_sel_hi:[0,1,1] neg_lo:[1,0,0]
	s_waitcnt vmcnt(1)
	v_pk_fma_f32 v[12:13], v[62:63], v[26:27], v[12:13] op_sel_hi:[1,0,1]
	v_pk_fma_f32 v[8:9], v[36:37], v[26:27], v[8:9] op_sel_hi:[1,0,1]
	v_pk_fma_f32 v[12:13], v[62:63], v[16:17], v[12:13] op_sel:[1,0,0] op_sel_hi:[0,0,1] neg_lo:[1,0,0]
	v_pk_fma_f32 v[8:9], v[36:37], v[16:17], v[8:9] op_sel:[1,0,0] op_sel_hi:[0,0,1] neg_lo:[1,0,0]
	s_waitcnt vmcnt(0)
	v_pk_fma_f32 v[10:11], v[30:31], v[26:27], v[10:11] op_sel_hi:[1,0,1]
	s_nop 0
	v_pk_fma_f32 v[10:11], v[30:31], v[16:17], v[10:11] op_sel:[1,0,0] op_sel_hi:[0,0,1] neg_lo:[1,0,0]
	s_andn2_b64 exec, exec, s[14:15]
	s_cbranch_execnz .LBB97_13
; %bb.14:
	s_or_b64 exec, exec, s[14:15]
.LBB97_15:
	s_or_b64 exec, exec, s[4:5]
	s_cbranch_execz .LBB97_19
	s_branch .LBB97_24
.LBB97_16:
	v_mov_b64_e32 v[4:5], s[8:9]
	flat_load_dword v3, v[4:5] offset:4
	s_and_b64 vcc, exec, s[4:5]
	v_mov_b32_e32 v4, s6
	s_cbranch_vccnz .LBB97_4
.LBB97_17:
	v_mov_b64_e32 v[4:5], s[6:7]
	flat_load_dword v4, v[4:5]
	s_and_b64 vcc, exec, s[4:5]
	v_mov_b32_e32 v5, s7
	s_cbranch_vccz .LBB97_5
	s_branch .LBB97_6
.LBB97_18:
                                        ; implicit-def: $vgpr13
                                        ; implicit-def: $vgpr9
                                        ; implicit-def: $vgpr11
.LBB97_19:
	v_mov_b32_e32 v13, 0
	v_mov_b32_e32 v12, v13
	;; [unrolled: 1-line block ×6, first 2 shown]
	s_and_saveexec_b64 s[4:5], s[2:3]
	s_cbranch_execz .LBB97_23
; %bb.20:
	v_mad_u64_u32 v[14:15], s[2:3], v0, 18, 17
	v_mov_b32_e32 v17, 0
	s_mov_b64 s[2:3], 0
	v_mov_b32_e32 v8, v17
	v_mov_b32_e32 v9, v17
	;; [unrolled: 1-line block ×6, first 2 shown]
.LBB97_21:                              ; =>This Inner Loop Header: Depth=1
	v_ashrrev_i32_e32 v1, 31, v0
	v_subrev_u32_e32 v16, 17, v14
	v_add_u32_e32 v18, -11, v14
	v_add_u32_e32 v20, -5, v14
	v_mov_b32_e32 v19, v17
	v_mov_b32_e32 v21, v17
	v_lshl_add_u64 v[24:25], v[0:1], 2, s[6:7]
	v_lshl_add_u64 v[26:27], v[16:17], 3, s[8:9]
	;; [unrolled: 1-line block ×4, first 2 shown]
	global_load_dword v1, v[24:25], off
	global_load_dwordx4 v[18:21], v[26:27], off
	v_add_u32_e32 v16, -10, v14
	v_mov_b32_e32 v15, v17
	v_lshl_add_u64 v[24:25], v[16:17], 3, s[8:9]
	v_add_u32_e32 v16, -4, v14
	v_lshl_add_u64 v[34:35], v[14:15], 3, s[8:9]
	v_lshl_add_u64 v[26:27], v[16:17], 3, s[8:9]
	v_add_u32_e32 v16, -15, v14
	v_mov_b32_e32 v33, v17
	global_load_dwordx2 v[36:37], v[28:29], off
	global_load_dwordx2 v[38:39], v[30:31], off
	;; [unrolled: 1-line block ×3, first 2 shown]
	v_add_u32_e32 v0, 32, v0
	global_load_dwordx2 v[34:35], v[24:25], off
	v_lshl_add_u64 v[24:25], v[16:17], 3, s[8:9]
	global_load_dwordx2 v[42:43], v[26:27], off
	global_load_dwordx2 v[44:45], v[24:25], off
	v_cmp_ge_i32_e32 vcc, v0, v22
	s_or_b64 s[2:3], vcc, s[2:3]
	s_waitcnt vmcnt(7)
	v_subrev_u32_e32 v1, s12, v1
	v_mul_lo_u32 v32, v1, 6
	v_lshl_add_u64 v[24:25], v[32:33], 3, s[10:11]
	global_load_dwordx4 v[24:27], v[24:25], off
	v_add_u32_e32 v16, 2, v32
	v_lshl_add_u64 v[28:29], v[16:17], 3, s[10:11]
	global_load_dwordx4 v[28:31], v[28:29], off
	v_add_u32_e32 v16, -9, v14
	v_lshl_add_u64 v[48:49], v[16:17], 3, s[8:9]
	v_add_u32_e32 v16, -3, v14
	v_lshl_add_u64 v[50:51], v[16:17], 3, s[8:9]
	v_add_u32_e32 v16, -14, v14
	v_lshl_add_u64 v[52:53], v[16:17], 3, s[8:9]
	v_add_u32_e32 v16, -8, v14
	v_lshl_add_u64 v[54:55], v[16:17], 3, s[8:9]
	v_add_u32_e32 v16, -2, v14
	v_lshl_add_u64 v[56:57], v[16:17], 3, s[8:9]
	v_add_u32_e32 v16, -13, v14
	global_load_dwordx2 v[48:49], v[48:49], off
	v_lshl_add_u64 v[58:59], v[16:17], 3, s[8:9]
	global_load_dwordx2 v[50:51], v[50:51], off
	v_add_u32_e32 v16, 4, v32
	global_load_dwordx2 v[52:53], v[52:53], off
	s_waitcnt vmcnt(11)
	v_xor_b32_e32 v46, 0x80000000, v21
	global_load_dwordx2 v[54:55], v[54:55], off
	v_mov_b32_e32 v47, v20
	global_load_dwordx2 v[32:33], v[56:57], off
	s_waitcnt vmcnt(6)
	v_pk_fma_f32 v[12:13], v[18:19], v[24:25], v[12:13] op_sel_hi:[1,0,1]
	global_load_dwordx2 v[58:59], v[58:59], off
	v_lshl_add_u64 v[56:57], v[16:17], 3, s[10:11]
	v_add_u32_e32 v16, -7, v14
	v_pk_fma_f32 v[12:13], v[18:19], v[24:25], v[12:13] op_sel:[1,1,0] op_sel_hi:[0,1,1] neg_lo:[1,0,0]
	v_pk_fma_f32 v[12:13], v[20:21], v[26:27], v[12:13] op_sel_hi:[1,0,1]
	global_load_dwordx4 v[18:21], v[56:57], off
	v_lshl_add_u64 v[56:57], v[16:17], 3, s[8:9]
	v_add_u32_e32 v16, -1, v14
	v_pk_fma_f32 v[10:11], v[36:37], v[24:25], v[10:11] op_sel_hi:[1,0,1]
	v_pk_fma_f32 v[8:9], v[38:39], v[24:25], v[8:9] op_sel_hi:[1,0,1]
	v_pk_fma_f32 v[10:11], v[36:37], v[24:25], v[10:11] op_sel:[1,1,0] op_sel_hi:[0,1,1] neg_lo:[1,0,0]
	v_lshl_add_u64 v[36:37], v[16:17], 3, s[8:9]
	v_add_u32_e32 v16, -12, v14
	global_load_dwordx2 v[56:57], v[56:57], off
	v_pk_fma_f32 v[8:9], v[38:39], v[24:25], v[8:9] op_sel:[1,1,0] op_sel_hi:[0,1,1] neg_lo:[1,0,0]
	v_lshl_add_u64 v[24:25], v[16:17], 3, s[8:9]
	v_add_u32_e32 v16, -6, v14
	global_load_dwordx2 v[38:39], v[36:37], off
	global_load_dwordx2 v[60:61], v[24:25], off
	v_pk_fma_f32 v[10:11], v[34:35], v[26:27], v[10:11] op_sel_hi:[1,0,1]
	v_pk_fma_f32 v[8:9], v[42:43], v[26:27], v[8:9] op_sel_hi:[1,0,1]
	v_mov_b32_e32 v24, v27
	v_lshl_add_u64 v[26:27], v[16:17], 3, s[8:9]
	global_load_dwordx2 v[26:27], v[26:27], off
	v_pk_fma_f32 v[12:13], v[46:47], v[24:25], v[12:13] op_sel_hi:[1,0,1]
	v_pk_fma_f32 v[10:11], v[34:35], v[24:25], v[10:11] op_sel:[1,0,0] op_sel_hi:[0,0,1] neg_lo:[1,0,0]
	v_pk_fma_f32 v[8:9], v[42:43], v[24:25], v[8:9] op_sel:[1,0,0] op_sel_hi:[0,0,1] neg_lo:[1,0,0]
	s_waitcnt vmcnt(11)
	v_pk_fma_f32 v[12:13], v[44:45], v[28:29], v[12:13] op_sel_hi:[1,0,1]
	s_waitcnt vmcnt(10)
	v_pk_fma_f32 v[10:11], v[48:49], v[28:29], v[10:11] op_sel_hi:[1,0,1]
	;; [unrolled: 2-line block ×3, first 2 shown]
	v_pk_fma_f32 v[12:13], v[44:45], v[28:29], v[12:13] op_sel:[1,1,0] op_sel_hi:[0,1,1] neg_lo:[1,0,0]
	v_pk_fma_f32 v[10:11], v[48:49], v[28:29], v[10:11] op_sel:[1,1,0] op_sel_hi:[0,1,1] neg_lo:[1,0,0]
	;; [unrolled: 1-line block ×3, first 2 shown]
	v_mov_b32_e32 v16, v31
	s_waitcnt vmcnt(8)
	v_pk_fma_f32 v[12:13], v[52:53], v[30:31], v[12:13] op_sel_hi:[1,0,1]
	s_waitcnt vmcnt(7)
	v_pk_fma_f32 v[10:11], v[54:55], v[30:31], v[10:11] op_sel_hi:[1,0,1]
	;; [unrolled: 2-line block ×3, first 2 shown]
	v_pk_fma_f32 v[12:13], v[52:53], v[16:17], v[12:13] op_sel:[1,0,0] op_sel_hi:[0,0,1] neg_lo:[1,0,0]
	v_pk_fma_f32 v[10:11], v[54:55], v[16:17], v[10:11] op_sel:[1,0,0] op_sel_hi:[0,0,1] neg_lo:[1,0,0]
	;; [unrolled: 1-line block ×3, first 2 shown]
	v_add_u32_e32 v14, 0x240, v14
	s_waitcnt vmcnt(4)
	v_pk_fma_f32 v[12:13], v[58:59], v[18:19], v[12:13] op_sel_hi:[1,0,1]
	s_nop 0
	v_pk_fma_f32 v[12:13], v[58:59], v[18:19], v[12:13] op_sel:[1,1,0] op_sel_hi:[0,1,1] neg_lo:[1,0,0]
	v_mov_b32_e32 v16, v21
	s_waitcnt vmcnt(3)
	v_pk_fma_f32 v[10:11], v[56:57], v[18:19], v[10:11] op_sel_hi:[1,0,1]
	s_nop 0
	v_pk_fma_f32 v[10:11], v[56:57], v[18:19], v[10:11] op_sel:[1,1,0] op_sel_hi:[0,1,1] neg_lo:[1,0,0]
	s_waitcnt vmcnt(2)
	v_pk_fma_f32 v[8:9], v[38:39], v[18:19], v[8:9] op_sel_hi:[1,0,1]
	s_nop 0
	v_pk_fma_f32 v[8:9], v[38:39], v[18:19], v[8:9] op_sel:[1,1,0] op_sel_hi:[0,1,1] neg_lo:[1,0,0]
	s_waitcnt vmcnt(1)
	v_pk_fma_f32 v[12:13], v[60:61], v[20:21], v[12:13] op_sel_hi:[1,0,1]
	v_pk_fma_f32 v[8:9], v[40:41], v[20:21], v[8:9] op_sel_hi:[1,0,1]
	v_pk_fma_f32 v[12:13], v[60:61], v[16:17], v[12:13] op_sel:[1,0,0] op_sel_hi:[0,0,1] neg_lo:[1,0,0]
	v_pk_fma_f32 v[8:9], v[40:41], v[16:17], v[8:9] op_sel:[1,0,0] op_sel_hi:[0,0,1] neg_lo:[1,0,0]
	s_waitcnt vmcnt(0)
	v_pk_fma_f32 v[10:11], v[26:27], v[20:21], v[10:11] op_sel_hi:[1,0,1]
	s_nop 0
	v_pk_fma_f32 v[10:11], v[26:27], v[16:17], v[10:11] op_sel:[1,0,0] op_sel_hi:[0,0,1] neg_lo:[1,0,0]
	s_andn2_b64 exec, exec, s[2:3]
	s_cbranch_execnz .LBB97_21
; %bb.22:
	s_or_b64 exec, exec, s[2:3]
.LBB97_23:
	s_or_b64 exec, exec, s[4:5]
.LBB97_24:
	v_mov_b32_dpp v0, v12 row_shr:1 row_mask:0xf bank_mask:0xf
	v_add_f32_e32 v0, v12, v0
	v_mov_b32_dpp v12, v13 row_shr:1 row_mask:0xf bank_mask:0xf
	v_add_f32_e32 v12, v13, v12
	;; [unrolled: 2-line block ×9, first 2 shown]
	v_mov_b32_dpp v1, v0 row_bcast:15 row_mask:0xa bank_mask:0xf
	v_mov_b32_dpp v14, v13 row_bcast:15 row_mask:0xa bank_mask:0xf
	v_mov_b32_dpp v12, v10 row_shr:2 row_mask:0xf bank_mask:0xf
	v_add_f32_e32 v10, v10, v12
	v_cmp_eq_u32_e32 vcc, 31, v7
	s_nop 0
	v_mov_b32_dpp v12, v10 row_shr:4 row_mask:0xf bank_mask:0xe
	v_add_f32_e32 v10, v10, v12
	s_nop 1
	v_mov_b32_dpp v12, v10 row_shr:8 row_mask:0xf bank_mask:0xc
	v_add_f32_e32 v10, v10, v12
	s_nop 0
	v_mov_b32_dpp v12, v11 row_shr:1 row_mask:0xf bank_mask:0xf
	v_add_f32_e32 v11, v11, v12
	v_mov_b32_dpp v15, v10 row_bcast:15 row_mask:0xa bank_mask:0xf
	s_nop 0
	v_mov_b32_dpp v12, v11 row_shr:2 row_mask:0xf bank_mask:0xf
	v_add_f32_e32 v11, v11, v12
	s_nop 1
	v_mov_b32_dpp v12, v11 row_shr:4 row_mask:0xf bank_mask:0xe
	v_add_f32_e32 v11, v11, v12
	s_nop 1
	v_mov_b32_dpp v12, v11 row_shr:8 row_mask:0xf bank_mask:0xc
	v_add_f32_e32 v11, v11, v12
	s_nop 0
	v_mov_b32_dpp v12, v8 row_shr:1 row_mask:0xf bank_mask:0xf
	v_add_f32_e32 v8, v8, v12
	v_mov_b32_dpp v17, v11 row_bcast:15 row_mask:0xa bank_mask:0xf
	s_nop 0
	v_mov_b32_dpp v12, v8 row_shr:2 row_mask:0xf bank_mask:0xf
	v_add_f32_e32 v8, v8, v12
	;; [unrolled: 13-line block ×3, first 2 shown]
	s_nop 1
	v_mov_b32_dpp v12, v9 row_shr:4 row_mask:0xf bank_mask:0xe
	v_add_f32_e32 v9, v9, v12
	s_nop 1
	v_mov_b32_dpp v12, v9 row_shr:8 row_mask:0xf bank_mask:0xc
	v_add_f32_e32 v9, v9, v12
	s_nop 1
	v_mov_b32_dpp v19, v9 row_bcast:15 row_mask:0xa bank_mask:0xf
	s_and_b64 exec, exec, vcc
	s_cbranch_execz .LBB97_29
; %bb.25:
	s_load_dwordx2 s[2:3], s[0:1], 0x38
	v_add_f32_e32 v12, v0, v1
	v_and_b32_e32 v1, 0x7fffffff, v4
	v_cmp_eq_u32_e32 vcc, 0, v1
	v_cmp_eq_f32_e64 s[0:1], 0, v5
	v_add_f32_e32 v16, v13, v14
	v_add_f32_e32 v10, v10, v15
	;; [unrolled: 1-line block ×5, first 2 shown]
	s_and_b64 s[0:1], vcc, s[0:1]
	s_and_saveexec_b64 s[4:5], s[0:1]
	s_xor_b64 s[0:1], exec, s[4:5]
	s_cbranch_execz .LBB97_27
; %bb.26:
	v_lshl_add_u32 v4, v6, 1, v6
	v_xor_b32_e32 v18, 0x80000000, v3
	v_ashrrev_i32_e32 v5, 31, v4
	v_mov_b32_e32 v19, v2
	s_waitcnt lgkmcnt(0)
	v_lshl_add_u64 v[20:21], v[4:5], 3, s[2:3]
	v_pk_mul_f32 v[4:5], v[16:17], v[18:19] op_sel_hi:[0,1]
	v_pk_mul_f32 v[6:7], v[14:15], v[18:19] op_sel_hi:[0,1]
	v_pk_fma_f32 v[4:5], v[2:3], v[12:13], v[4:5] op_sel_hi:[1,0,1]
	v_pk_fma_f32 v[6:7], v[2:3], v[10:11], v[6:7] op_sel_hi:[1,0,1]
	global_store_dwordx4 v[20:21], v[4:7], off
                                        ; implicit-def: $vgpr6
                                        ; implicit-def: $vgpr12
                                        ; implicit-def: $vgpr16
                                        ; implicit-def: $vgpr10
                                        ; implicit-def: $vgpr14
	s_nop 1
	v_pk_mul_f32 v[4:5], v[8:9], v[18:19] op_sel_hi:[0,1]
	v_pk_fma_f32 v[0:1], v[2:3], v[0:1], v[4:5] op_sel_hi:[1,0,1]
	global_store_dwordx2 v[20:21], v[0:1], off offset:16
                                        ; implicit-def: $vgpr3
                                        ; implicit-def: $vgpr4
                                        ; implicit-def: $vgpr0
                                        ; implicit-def: $vgpr8
.LBB97_27:
	s_andn2_saveexec_b64 s[0:1], s[0:1]
	s_cbranch_execz .LBB97_29
; %bb.28:
	v_lshl_add_u32 v6, v6, 1, v6
	v_ashrrev_i32_e32 v7, 31, v6
	s_waitcnt lgkmcnt(0)
	v_lshl_add_u64 v[6:7], v[6:7], 3, s[2:3]
	global_load_dwordx4 v[18:21], v[6:7], off
	global_load_dwordx2 v[22:23], v[6:7], off offset:16
	v_xor_b32_e32 v24, 0x80000000, v3
	v_mov_b32_e32 v25, v2
	v_pk_mul_f32 v[16:17], v[16:17], v[24:25] op_sel_hi:[0,1]
	v_pk_mul_f32 v[14:15], v[14:15], v[24:25] op_sel_hi:[0,1]
	;; [unrolled: 1-line block ×3, first 2 shown]
	v_pk_fma_f32 v[12:13], v[2:3], v[12:13], v[16:17] op_sel_hi:[1,0,1]
	v_pk_fma_f32 v[10:11], v[2:3], v[10:11], v[14:15] op_sel_hi:[1,0,1]
	v_xor_b32_e32 v26, 0x80000000, v5
	v_mov_b32_e32 v27, v4
	v_pk_fma_f32 v[0:1], v[2:3], v[0:1], v[8:9] op_sel_hi:[1,0,1]
	s_waitcnt vmcnt(1)
	v_pk_fma_f32 v[2:3], v[4:5], v[18:19], v[12:13] op_sel_hi:[1,0,1]
	v_pk_fma_f32 v[8:9], v[4:5], v[20:21], v[10:11] op_sel_hi:[1,0,1]
	v_mov_b32_e32 v10, v21
	s_waitcnt vmcnt(0)
	v_pk_fma_f32 v[4:5], v[4:5], v[22:23], v[0:1] op_sel_hi:[1,0,1]
	v_pk_fma_f32 v[0:1], v[26:27], v[18:19], v[2:3] op_sel:[0,1,0]
	v_pk_fma_f32 v[2:3], v[26:27], v[10:11], v[8:9] op_sel_hi:[1,0,1]
	v_pk_fma_f32 v[4:5], v[26:27], v[22:23], v[4:5] op_sel:[0,1,0]
	global_store_dwordx4 v[6:7], v[0:3], off
	global_store_dwordx2 v[6:7], v[4:5], off offset:16
.LBB97_29:
	s_endpgm
	.section	.rodata,"a",@progbits
	.p2align	6, 0x0
	.amdhsa_kernel _ZN9rocsparseL19gebsrmvn_3xn_kernelILj128ELj6ELj32E21rocsparse_complex_numIfEEEvi20rocsparse_direction_NS_24const_host_device_scalarIT2_EEPKiS8_PKS5_SA_S6_PS5_21rocsparse_index_base_b
		.amdhsa_group_segment_fixed_size 0
		.amdhsa_private_segment_fixed_size 0
		.amdhsa_kernarg_size 72
		.amdhsa_user_sgpr_count 2
		.amdhsa_user_sgpr_dispatch_ptr 0
		.amdhsa_user_sgpr_queue_ptr 0
		.amdhsa_user_sgpr_kernarg_segment_ptr 1
		.amdhsa_user_sgpr_dispatch_id 0
		.amdhsa_user_sgpr_kernarg_preload_length 0
		.amdhsa_user_sgpr_kernarg_preload_offset 0
		.amdhsa_user_sgpr_private_segment_size 0
		.amdhsa_uses_dynamic_stack 0
		.amdhsa_enable_private_segment 0
		.amdhsa_system_sgpr_workgroup_id_x 1
		.amdhsa_system_sgpr_workgroup_id_y 0
		.amdhsa_system_sgpr_workgroup_id_z 0
		.amdhsa_system_sgpr_workgroup_info 0
		.amdhsa_system_vgpr_workitem_id 0
		.amdhsa_next_free_vgpr 64
		.amdhsa_next_free_sgpr 16
		.amdhsa_accum_offset 64
		.amdhsa_reserve_vcc 1
		.amdhsa_float_round_mode_32 0
		.amdhsa_float_round_mode_16_64 0
		.amdhsa_float_denorm_mode_32 3
		.amdhsa_float_denorm_mode_16_64 3
		.amdhsa_dx10_clamp 1
		.amdhsa_ieee_mode 1
		.amdhsa_fp16_overflow 0
		.amdhsa_tg_split 0
		.amdhsa_exception_fp_ieee_invalid_op 0
		.amdhsa_exception_fp_denorm_src 0
		.amdhsa_exception_fp_ieee_div_zero 0
		.amdhsa_exception_fp_ieee_overflow 0
		.amdhsa_exception_fp_ieee_underflow 0
		.amdhsa_exception_fp_ieee_inexact 0
		.amdhsa_exception_int_div_zero 0
	.end_amdhsa_kernel
	.section	.text._ZN9rocsparseL19gebsrmvn_3xn_kernelILj128ELj6ELj32E21rocsparse_complex_numIfEEEvi20rocsparse_direction_NS_24const_host_device_scalarIT2_EEPKiS8_PKS5_SA_S6_PS5_21rocsparse_index_base_b,"axG",@progbits,_ZN9rocsparseL19gebsrmvn_3xn_kernelILj128ELj6ELj32E21rocsparse_complex_numIfEEEvi20rocsparse_direction_NS_24const_host_device_scalarIT2_EEPKiS8_PKS5_SA_S6_PS5_21rocsparse_index_base_b,comdat
.Lfunc_end97:
	.size	_ZN9rocsparseL19gebsrmvn_3xn_kernelILj128ELj6ELj32E21rocsparse_complex_numIfEEEvi20rocsparse_direction_NS_24const_host_device_scalarIT2_EEPKiS8_PKS5_SA_S6_PS5_21rocsparse_index_base_b, .Lfunc_end97-_ZN9rocsparseL19gebsrmvn_3xn_kernelILj128ELj6ELj32E21rocsparse_complex_numIfEEEvi20rocsparse_direction_NS_24const_host_device_scalarIT2_EEPKiS8_PKS5_SA_S6_PS5_21rocsparse_index_base_b
                                        ; -- End function
	.section	.AMDGPU.csdata,"",@progbits
; Kernel info:
; codeLenInByte = 3008
; NumSgprs: 22
; NumVgprs: 64
; NumAgprs: 0
; TotalNumVgprs: 64
; ScratchSize: 0
; MemoryBound: 0
; FloatMode: 240
; IeeeMode: 1
; LDSByteSize: 0 bytes/workgroup (compile time only)
; SGPRBlocks: 2
; VGPRBlocks: 7
; NumSGPRsForWavesPerEU: 22
; NumVGPRsForWavesPerEU: 64
; AccumOffset: 64
; Occupancy: 8
; WaveLimiterHint : 1
; COMPUTE_PGM_RSRC2:SCRATCH_EN: 0
; COMPUTE_PGM_RSRC2:USER_SGPR: 2
; COMPUTE_PGM_RSRC2:TRAP_HANDLER: 0
; COMPUTE_PGM_RSRC2:TGID_X_EN: 1
; COMPUTE_PGM_RSRC2:TGID_Y_EN: 0
; COMPUTE_PGM_RSRC2:TGID_Z_EN: 0
; COMPUTE_PGM_RSRC2:TIDIG_COMP_CNT: 0
; COMPUTE_PGM_RSRC3_GFX90A:ACCUM_OFFSET: 15
; COMPUTE_PGM_RSRC3_GFX90A:TG_SPLIT: 0
	.section	.text._ZN9rocsparseL19gebsrmvn_3xn_kernelILj128ELj6ELj64E21rocsparse_complex_numIfEEEvi20rocsparse_direction_NS_24const_host_device_scalarIT2_EEPKiS8_PKS5_SA_S6_PS5_21rocsparse_index_base_b,"axG",@progbits,_ZN9rocsparseL19gebsrmvn_3xn_kernelILj128ELj6ELj64E21rocsparse_complex_numIfEEEvi20rocsparse_direction_NS_24const_host_device_scalarIT2_EEPKiS8_PKS5_SA_S6_PS5_21rocsparse_index_base_b,comdat
	.globl	_ZN9rocsparseL19gebsrmvn_3xn_kernelILj128ELj6ELj64E21rocsparse_complex_numIfEEEvi20rocsparse_direction_NS_24const_host_device_scalarIT2_EEPKiS8_PKS5_SA_S6_PS5_21rocsparse_index_base_b ; -- Begin function _ZN9rocsparseL19gebsrmvn_3xn_kernelILj128ELj6ELj64E21rocsparse_complex_numIfEEEvi20rocsparse_direction_NS_24const_host_device_scalarIT2_EEPKiS8_PKS5_SA_S6_PS5_21rocsparse_index_base_b
	.p2align	8
	.type	_ZN9rocsparseL19gebsrmvn_3xn_kernelILj128ELj6ELj64E21rocsparse_complex_numIfEEEvi20rocsparse_direction_NS_24const_host_device_scalarIT2_EEPKiS8_PKS5_SA_S6_PS5_21rocsparse_index_base_b,@function
_ZN9rocsparseL19gebsrmvn_3xn_kernelILj128ELj6ELj64E21rocsparse_complex_numIfEEEvi20rocsparse_direction_NS_24const_host_device_scalarIT2_EEPKiS8_PKS5_SA_S6_PS5_21rocsparse_index_base_b: ; @_ZN9rocsparseL19gebsrmvn_3xn_kernelILj128ELj6ELj64E21rocsparse_complex_numIfEEEvi20rocsparse_direction_NS_24const_host_device_scalarIT2_EEPKiS8_PKS5_SA_S6_PS5_21rocsparse_index_base_b
; %bb.0:
	s_load_dwordx2 s[12:13], s[0:1], 0x40
	s_load_dwordx2 s[8:9], s[0:1], 0x8
	;; [unrolled: 1-line block ×3, first 2 shown]
	s_waitcnt lgkmcnt(0)
	s_bitcmp1_b32 s13, 0
	s_cselect_b64 s[4:5], -1, 0
	s_xor_b64 s[10:11], s[4:5], -1
	s_and_b64 vcc, exec, s[4:5]
	v_mov_b32_e32 v2, s8
	s_cbranch_vccnz .LBB98_2
; %bb.1:
	v_mov_b64_e32 v[2:3], s[8:9]
	flat_load_dword v2, v[2:3]
.LBB98_2:
	v_cndmask_b32_e64 v1, 0, 1, s[10:11]
	v_cmp_ne_u32_e64 s[4:5], 1, v1
	s_andn2_b64 vcc, exec, s[10:11]
	v_mov_b32_e32 v3, s9
	s_cbranch_vccz .LBB98_16
; %bb.3:
	s_and_b64 vcc, exec, s[4:5]
	v_mov_b32_e32 v4, s6
	s_cbranch_vccz .LBB98_17
.LBB98_4:
	s_and_b64 vcc, exec, s[4:5]
	v_mov_b32_e32 v5, s7
	s_cbranch_vccnz .LBB98_6
.LBB98_5:
	v_mov_b64_e32 v[6:7], s[6:7]
	flat_load_dword v5, v[6:7] offset:4
.LBB98_6:
	s_waitcnt vmcnt(0) lgkmcnt(0)
	v_and_b32_e32 v1, 0x7fffffff, v2
	v_cmp_eq_u32_e32 vcc, 0, v1
	v_cmp_eq_f32_e64 s[4:5], 0, v3
	s_and_b64 s[8:9], vcc, s[4:5]
	s_mov_b64 s[4:5], -1
	s_and_saveexec_b64 s[6:7], s[8:9]
; %bb.7:
	v_and_b32_e32 v1, 0x7fffffff, v5
	v_cmp_neq_f32_e32 vcc, 1.0, v4
	v_cmp_ne_u32_e64 s[4:5], 0, v1
	s_or_b64 s[4:5], vcc, s[4:5]
	s_orn2_b64 s[4:5], s[4:5], exec
; %bb.8:
	s_or_b64 exec, exec, s[6:7]
	s_and_saveexec_b64 s[6:7], s[4:5]
	s_cbranch_execz .LBB98_29
; %bb.9:
	s_load_dwordx2 s[14:15], s[0:1], 0x0
	v_lshrrev_b32_e32 v1, 6, v0
	v_lshl_or_b32 v6, s2, 1, v1
	s_waitcnt lgkmcnt(0)
	v_cmp_gt_i32_e32 vcc, s14, v6
	s_and_b64 exec, exec, vcc
	s_cbranch_execz .LBB98_29
; %bb.10:
	s_load_dwordx8 s[4:11], s[0:1], 0x10
	v_ashrrev_i32_e32 v7, 31, v6
	s_cmp_lg_u32 s15, 0
	s_waitcnt lgkmcnt(0)
	v_lshl_add_u64 v[8:9], v[6:7], 2, s[4:5]
	global_load_dwordx2 v[8:9], v[8:9], off
	v_and_b32_e32 v7, 63, v0
	s_waitcnt vmcnt(0)
	v_subrev_u32_e32 v0, s12, v8
	v_subrev_u32_e32 v22, s12, v9
	v_add_u32_e32 v0, v0, v7
	v_cmp_lt_i32_e64 s[2:3], v0, v22
	s_cbranch_scc0 .LBB98_18
; %bb.11:
	v_mov_b32_e32 v13, 0
	v_mov_b32_e32 v12, v13
	;; [unrolled: 1-line block ×6, first 2 shown]
	s_and_saveexec_b64 s[4:5], s[2:3]
	s_cbranch_execz .LBB98_15
; %bb.12:
	v_mad_u64_u32 v[14:15], s[14:15], v0, 18, 17
	v_mov_b32_e32 v17, 0
	s_mov_b64 s[14:15], 0
	v_mov_b32_e32 v18, v0
	v_mov_b32_e32 v8, v17
	;; [unrolled: 1-line block ×7, first 2 shown]
.LBB98_13:                              ; =>This Inner Loop Header: Depth=1
	v_ashrrev_i32_e32 v19, 31, v18
	v_subrev_u32_e32 v16, 17, v14
	v_lshl_add_u64 v[28:29], v[18:19], 2, s[6:7]
	v_lshl_add_u64 v[30:31], v[16:17], 3, s[8:9]
	global_load_dword v1, v[28:29], off
	global_load_dwordx4 v[24:27], v[30:31], off
	v_add_u32_e32 v16, -15, v14
	v_lshl_add_u64 v[28:29], v[16:17], 3, s[8:9]
	v_add_u32_e32 v16, -14, v14
	v_lshl_add_u64 v[30:31], v[16:17], 3, s[8:9]
	v_add_u32_e32 v16, -13, v14
	v_mov_b32_e32 v15, v17
	global_load_dwordx2 v[38:39], v[28:29], off
	global_load_dwordx2 v[40:41], v[30:31], off
	v_lshl_add_u64 v[28:29], v[16:17], 3, s[8:9]
	v_add_u32_e32 v16, -12, v14
	v_lshl_add_u64 v[32:33], v[14:15], 3, s[8:9]
	v_lshl_add_u64 v[30:31], v[16:17], 3, s[8:9]
	v_add_u32_e32 v16, -11, v14
	v_mov_b32_e32 v21, v17
	global_load_dwordx2 v[36:37], v[32:33], off
	global_load_dwordx2 v[42:43], v[28:29], off
	v_lshl_add_u64 v[28:29], v[16:17], 3, s[8:9]
	global_load_dwordx2 v[44:45], v[30:31], off
	global_load_dwordx2 v[46:47], v[28:29], off
	v_add_u32_e32 v18, 64, v18
	v_cmp_ge_i32_e32 vcc, v18, v22
	s_or_b64 s[14:15], vcc, s[14:15]
	s_waitcnt vmcnt(7)
	v_subrev_u32_e32 v1, s12, v1
	v_mul_lo_u32 v20, v1, 6
	v_lshl_add_u64 v[28:29], v[20:21], 3, s[10:11]
	global_load_dwordx4 v[28:31], v[28:29], off
	v_add_u32_e32 v16, 2, v20
	v_lshl_add_u64 v[32:33], v[16:17], 3, s[10:11]
	global_load_dwordx4 v[32:35], v[32:33], off
	v_add_u32_e32 v16, -10, v14
	v_lshl_add_u64 v[50:51], v[16:17], 3, s[8:9]
	v_add_u32_e32 v16, -9, v14
	v_lshl_add_u64 v[52:53], v[16:17], 3, s[8:9]
	;; [unrolled: 2-line block ×5, first 2 shown]
	v_add_u32_e32 v16, -5, v14
	global_load_dwordx2 v[50:51], v[50:51], off
	v_lshl_add_u64 v[60:61], v[16:17], 3, s[8:9]
	global_load_dwordx2 v[52:53], v[52:53], off
	v_add_u32_e32 v16, 4, v20
	global_load_dwordx2 v[54:55], v[54:55], off
	s_waitcnt vmcnt(11)
	v_xor_b32_e32 v48, 0x80000000, v27
	global_load_dwordx2 v[56:57], v[56:57], off
	v_mov_b32_e32 v49, v26
	global_load_dwordx2 v[20:21], v[58:59], off
	s_waitcnt vmcnt(6)
	v_pk_fma_f32 v[12:13], v[24:25], v[28:29], v[12:13] op_sel_hi:[1,0,1]
	global_load_dwordx2 v[60:61], v[60:61], off
	v_lshl_add_u64 v[58:59], v[16:17], 3, s[10:11]
	v_add_u32_e32 v16, -4, v14
	v_pk_fma_f32 v[10:11], v[26:27], v[28:29], v[10:11] op_sel_hi:[1,0,1]
	v_pk_fma_f32 v[12:13], v[24:25], v[28:29], v[12:13] op_sel:[1,1,0] op_sel_hi:[0,1,1] neg_lo:[1,0,0]
	global_load_dwordx4 v[24:27], v[58:59], off
	v_lshl_add_u64 v[58:59], v[16:17], 3, s[8:9]
	v_add_u32_e32 v16, -3, v14
	v_pk_fma_f32 v[10:11], v[48:49], v[28:29], v[10:11] op_sel:[0,1,0]
	v_lshl_add_u64 v[48:49], v[16:17], 3, s[8:9]
	v_add_u32_e32 v16, -2, v14
	v_pk_fma_f32 v[8:9], v[38:39], v[28:29], v[8:9] op_sel_hi:[1,0,1]
	global_load_dwordx2 v[58:59], v[58:59], off
	v_pk_fma_f32 v[8:9], v[38:39], v[28:29], v[8:9] op_sel:[1,1,0] op_sel_hi:[0,1,1] neg_lo:[1,0,0]
	v_lshl_add_u64 v[28:29], v[16:17], 3, s[8:9]
	v_add_u32_e32 v16, -1, v14
	global_load_dwordx2 v[38:39], v[48:49], off
	global_load_dwordx2 v[62:63], v[28:29], off
	v_pk_fma_f32 v[12:13], v[40:41], v[30:31], v[12:13] op_sel_hi:[1,0,1]
	v_pk_fma_f32 v[10:11], v[42:43], v[30:31], v[10:11] op_sel_hi:[1,0,1]
	;; [unrolled: 1-line block ×3, first 2 shown]
	v_mov_b32_e32 v28, v31
	v_lshl_add_u64 v[30:31], v[16:17], 3, s[8:9]
	global_load_dwordx2 v[30:31], v[30:31], off
	v_pk_fma_f32 v[12:13], v[40:41], v[28:29], v[12:13] op_sel:[1,0,0] op_sel_hi:[0,0,1] neg_lo:[1,0,0]
	v_pk_fma_f32 v[10:11], v[42:43], v[28:29], v[10:11] op_sel:[1,0,0] op_sel_hi:[0,0,1] neg_lo:[1,0,0]
	;; [unrolled: 1-line block ×3, first 2 shown]
	s_waitcnt vmcnt(11)
	v_pk_fma_f32 v[12:13], v[46:47], v[32:33], v[12:13] op_sel_hi:[1,0,1]
	s_waitcnt vmcnt(10)
	v_pk_fma_f32 v[10:11], v[50:51], v[32:33], v[10:11] op_sel_hi:[1,0,1]
	;; [unrolled: 2-line block ×3, first 2 shown]
	v_pk_fma_f32 v[12:13], v[46:47], v[32:33], v[12:13] op_sel:[1,1,0] op_sel_hi:[0,1,1] neg_lo:[1,0,0]
	v_pk_fma_f32 v[10:11], v[50:51], v[32:33], v[10:11] op_sel:[1,1,0] op_sel_hi:[0,1,1] neg_lo:[1,0,0]
	;; [unrolled: 1-line block ×3, first 2 shown]
	v_mov_b32_e32 v16, v35
	s_waitcnt vmcnt(8)
	v_pk_fma_f32 v[12:13], v[54:55], v[34:35], v[12:13] op_sel_hi:[1,0,1]
	s_waitcnt vmcnt(7)
	v_pk_fma_f32 v[10:11], v[56:57], v[34:35], v[10:11] op_sel_hi:[1,0,1]
	;; [unrolled: 2-line block ×3, first 2 shown]
	v_pk_fma_f32 v[12:13], v[54:55], v[16:17], v[12:13] op_sel:[1,0,0] op_sel_hi:[0,0,1] neg_lo:[1,0,0]
	v_pk_fma_f32 v[10:11], v[56:57], v[16:17], v[10:11] op_sel:[1,0,0] op_sel_hi:[0,0,1] neg_lo:[1,0,0]
	;; [unrolled: 1-line block ×3, first 2 shown]
	v_add_u32_e32 v14, 0x480, v14
	s_waitcnt vmcnt(4)
	v_pk_fma_f32 v[12:13], v[60:61], v[24:25], v[12:13] op_sel_hi:[1,0,1]
	s_nop 0
	v_pk_fma_f32 v[12:13], v[60:61], v[24:25], v[12:13] op_sel:[1,1,0] op_sel_hi:[0,1,1] neg_lo:[1,0,0]
	v_mov_b32_e32 v16, v27
	s_waitcnt vmcnt(3)
	v_pk_fma_f32 v[10:11], v[58:59], v[24:25], v[10:11] op_sel_hi:[1,0,1]
	s_nop 0
	v_pk_fma_f32 v[10:11], v[58:59], v[24:25], v[10:11] op_sel:[1,1,0] op_sel_hi:[0,1,1] neg_lo:[1,0,0]
	s_waitcnt vmcnt(2)
	v_pk_fma_f32 v[8:9], v[38:39], v[24:25], v[8:9] op_sel_hi:[1,0,1]
	s_nop 0
	v_pk_fma_f32 v[8:9], v[38:39], v[24:25], v[8:9] op_sel:[1,1,0] op_sel_hi:[0,1,1] neg_lo:[1,0,0]
	s_waitcnt vmcnt(1)
	v_pk_fma_f32 v[12:13], v[62:63], v[26:27], v[12:13] op_sel_hi:[1,0,1]
	v_pk_fma_f32 v[8:9], v[36:37], v[26:27], v[8:9] op_sel_hi:[1,0,1]
	v_pk_fma_f32 v[12:13], v[62:63], v[16:17], v[12:13] op_sel:[1,0,0] op_sel_hi:[0,0,1] neg_lo:[1,0,0]
	v_pk_fma_f32 v[8:9], v[36:37], v[16:17], v[8:9] op_sel:[1,0,0] op_sel_hi:[0,0,1] neg_lo:[1,0,0]
	s_waitcnt vmcnt(0)
	v_pk_fma_f32 v[10:11], v[30:31], v[26:27], v[10:11] op_sel_hi:[1,0,1]
	s_nop 0
	v_pk_fma_f32 v[10:11], v[30:31], v[16:17], v[10:11] op_sel:[1,0,0] op_sel_hi:[0,0,1] neg_lo:[1,0,0]
	s_andn2_b64 exec, exec, s[14:15]
	s_cbranch_execnz .LBB98_13
; %bb.14:
	s_or_b64 exec, exec, s[14:15]
.LBB98_15:
	s_or_b64 exec, exec, s[4:5]
	s_cbranch_execz .LBB98_19
	s_branch .LBB98_24
.LBB98_16:
	v_mov_b64_e32 v[4:5], s[8:9]
	flat_load_dword v3, v[4:5] offset:4
	s_and_b64 vcc, exec, s[4:5]
	v_mov_b32_e32 v4, s6
	s_cbranch_vccnz .LBB98_4
.LBB98_17:
	v_mov_b64_e32 v[4:5], s[6:7]
	flat_load_dword v4, v[4:5]
	s_and_b64 vcc, exec, s[4:5]
	v_mov_b32_e32 v5, s7
	s_cbranch_vccz .LBB98_5
	s_branch .LBB98_6
.LBB98_18:
                                        ; implicit-def: $vgpr13
                                        ; implicit-def: $vgpr9
                                        ; implicit-def: $vgpr11
.LBB98_19:
	v_mov_b32_e32 v13, 0
	v_mov_b32_e32 v12, v13
	;; [unrolled: 1-line block ×6, first 2 shown]
	s_and_saveexec_b64 s[4:5], s[2:3]
	s_cbranch_execz .LBB98_23
; %bb.20:
	v_mad_u64_u32 v[14:15], s[2:3], v0, 18, 17
	v_mov_b32_e32 v17, 0
	s_mov_b64 s[2:3], 0
	v_mov_b32_e32 v8, v17
	v_mov_b32_e32 v9, v17
	;; [unrolled: 1-line block ×6, first 2 shown]
.LBB98_21:                              ; =>This Inner Loop Header: Depth=1
	v_ashrrev_i32_e32 v1, 31, v0
	v_subrev_u32_e32 v16, 17, v14
	v_add_u32_e32 v18, -11, v14
	v_add_u32_e32 v20, -5, v14
	v_mov_b32_e32 v19, v17
	v_mov_b32_e32 v21, v17
	v_lshl_add_u64 v[24:25], v[0:1], 2, s[6:7]
	v_lshl_add_u64 v[26:27], v[16:17], 3, s[8:9]
	;; [unrolled: 1-line block ×4, first 2 shown]
	global_load_dword v1, v[24:25], off
	global_load_dwordx4 v[18:21], v[26:27], off
	v_add_u32_e32 v16, -10, v14
	v_mov_b32_e32 v15, v17
	v_lshl_add_u64 v[24:25], v[16:17], 3, s[8:9]
	v_add_u32_e32 v16, -4, v14
	v_lshl_add_u64 v[34:35], v[14:15], 3, s[8:9]
	v_lshl_add_u64 v[26:27], v[16:17], 3, s[8:9]
	v_add_u32_e32 v16, -15, v14
	v_mov_b32_e32 v33, v17
	global_load_dwordx2 v[36:37], v[28:29], off
	global_load_dwordx2 v[38:39], v[30:31], off
	;; [unrolled: 1-line block ×3, first 2 shown]
	v_add_u32_e32 v0, 64, v0
	global_load_dwordx2 v[34:35], v[24:25], off
	v_lshl_add_u64 v[24:25], v[16:17], 3, s[8:9]
	global_load_dwordx2 v[42:43], v[26:27], off
	global_load_dwordx2 v[44:45], v[24:25], off
	v_cmp_ge_i32_e32 vcc, v0, v22
	s_or_b64 s[2:3], vcc, s[2:3]
	s_waitcnt vmcnt(7)
	v_subrev_u32_e32 v1, s12, v1
	v_mul_lo_u32 v32, v1, 6
	v_lshl_add_u64 v[24:25], v[32:33], 3, s[10:11]
	global_load_dwordx4 v[24:27], v[24:25], off
	v_add_u32_e32 v16, 2, v32
	v_lshl_add_u64 v[28:29], v[16:17], 3, s[10:11]
	global_load_dwordx4 v[28:31], v[28:29], off
	v_add_u32_e32 v16, -9, v14
	v_lshl_add_u64 v[48:49], v[16:17], 3, s[8:9]
	v_add_u32_e32 v16, -3, v14
	v_lshl_add_u64 v[50:51], v[16:17], 3, s[8:9]
	;; [unrolled: 2-line block ×5, first 2 shown]
	v_add_u32_e32 v16, -13, v14
	global_load_dwordx2 v[48:49], v[48:49], off
	v_lshl_add_u64 v[58:59], v[16:17], 3, s[8:9]
	global_load_dwordx2 v[50:51], v[50:51], off
	v_add_u32_e32 v16, 4, v32
	global_load_dwordx2 v[52:53], v[52:53], off
	s_waitcnt vmcnt(11)
	v_xor_b32_e32 v46, 0x80000000, v21
	global_load_dwordx2 v[54:55], v[54:55], off
	v_mov_b32_e32 v47, v20
	global_load_dwordx2 v[32:33], v[56:57], off
	s_waitcnt vmcnt(6)
	v_pk_fma_f32 v[12:13], v[18:19], v[24:25], v[12:13] op_sel_hi:[1,0,1]
	global_load_dwordx2 v[58:59], v[58:59], off
	v_lshl_add_u64 v[56:57], v[16:17], 3, s[10:11]
	v_add_u32_e32 v16, -7, v14
	v_pk_fma_f32 v[12:13], v[18:19], v[24:25], v[12:13] op_sel:[1,1,0] op_sel_hi:[0,1,1] neg_lo:[1,0,0]
	v_pk_fma_f32 v[12:13], v[20:21], v[26:27], v[12:13] op_sel_hi:[1,0,1]
	global_load_dwordx4 v[18:21], v[56:57], off
	v_lshl_add_u64 v[56:57], v[16:17], 3, s[8:9]
	v_add_u32_e32 v16, -1, v14
	v_pk_fma_f32 v[10:11], v[36:37], v[24:25], v[10:11] op_sel_hi:[1,0,1]
	v_pk_fma_f32 v[8:9], v[38:39], v[24:25], v[8:9] op_sel_hi:[1,0,1]
	v_pk_fma_f32 v[10:11], v[36:37], v[24:25], v[10:11] op_sel:[1,1,0] op_sel_hi:[0,1,1] neg_lo:[1,0,0]
	v_lshl_add_u64 v[36:37], v[16:17], 3, s[8:9]
	v_add_u32_e32 v16, -12, v14
	global_load_dwordx2 v[56:57], v[56:57], off
	v_pk_fma_f32 v[8:9], v[38:39], v[24:25], v[8:9] op_sel:[1,1,0] op_sel_hi:[0,1,1] neg_lo:[1,0,0]
	v_lshl_add_u64 v[24:25], v[16:17], 3, s[8:9]
	v_add_u32_e32 v16, -6, v14
	global_load_dwordx2 v[38:39], v[36:37], off
	global_load_dwordx2 v[60:61], v[24:25], off
	v_pk_fma_f32 v[10:11], v[34:35], v[26:27], v[10:11] op_sel_hi:[1,0,1]
	v_pk_fma_f32 v[8:9], v[42:43], v[26:27], v[8:9] op_sel_hi:[1,0,1]
	v_mov_b32_e32 v24, v27
	v_lshl_add_u64 v[26:27], v[16:17], 3, s[8:9]
	global_load_dwordx2 v[26:27], v[26:27], off
	v_pk_fma_f32 v[12:13], v[46:47], v[24:25], v[12:13] op_sel_hi:[1,0,1]
	v_pk_fma_f32 v[10:11], v[34:35], v[24:25], v[10:11] op_sel:[1,0,0] op_sel_hi:[0,0,1] neg_lo:[1,0,0]
	v_pk_fma_f32 v[8:9], v[42:43], v[24:25], v[8:9] op_sel:[1,0,0] op_sel_hi:[0,0,1] neg_lo:[1,0,0]
	s_waitcnt vmcnt(11)
	v_pk_fma_f32 v[12:13], v[44:45], v[28:29], v[12:13] op_sel_hi:[1,0,1]
	s_waitcnt vmcnt(10)
	v_pk_fma_f32 v[10:11], v[48:49], v[28:29], v[10:11] op_sel_hi:[1,0,1]
	s_waitcnt vmcnt(9)
	v_pk_fma_f32 v[8:9], v[50:51], v[28:29], v[8:9] op_sel_hi:[1,0,1]
	v_pk_fma_f32 v[12:13], v[44:45], v[28:29], v[12:13] op_sel:[1,1,0] op_sel_hi:[0,1,1] neg_lo:[1,0,0]
	v_pk_fma_f32 v[10:11], v[48:49], v[28:29], v[10:11] op_sel:[1,1,0] op_sel_hi:[0,1,1] neg_lo:[1,0,0]
	;; [unrolled: 1-line block ×3, first 2 shown]
	v_mov_b32_e32 v16, v31
	s_waitcnt vmcnt(8)
	v_pk_fma_f32 v[12:13], v[52:53], v[30:31], v[12:13] op_sel_hi:[1,0,1]
	s_waitcnt vmcnt(7)
	v_pk_fma_f32 v[10:11], v[54:55], v[30:31], v[10:11] op_sel_hi:[1,0,1]
	s_waitcnt vmcnt(6)
	v_pk_fma_f32 v[8:9], v[32:33], v[30:31], v[8:9] op_sel_hi:[1,0,1]
	v_pk_fma_f32 v[12:13], v[52:53], v[16:17], v[12:13] op_sel:[1,0,0] op_sel_hi:[0,0,1] neg_lo:[1,0,0]
	v_pk_fma_f32 v[10:11], v[54:55], v[16:17], v[10:11] op_sel:[1,0,0] op_sel_hi:[0,0,1] neg_lo:[1,0,0]
	;; [unrolled: 1-line block ×3, first 2 shown]
	v_add_u32_e32 v14, 0x480, v14
	s_waitcnt vmcnt(4)
	v_pk_fma_f32 v[12:13], v[58:59], v[18:19], v[12:13] op_sel_hi:[1,0,1]
	s_nop 0
	v_pk_fma_f32 v[12:13], v[58:59], v[18:19], v[12:13] op_sel:[1,1,0] op_sel_hi:[0,1,1] neg_lo:[1,0,0]
	v_mov_b32_e32 v16, v21
	s_waitcnt vmcnt(3)
	v_pk_fma_f32 v[10:11], v[56:57], v[18:19], v[10:11] op_sel_hi:[1,0,1]
	s_nop 0
	v_pk_fma_f32 v[10:11], v[56:57], v[18:19], v[10:11] op_sel:[1,1,0] op_sel_hi:[0,1,1] neg_lo:[1,0,0]
	s_waitcnt vmcnt(2)
	v_pk_fma_f32 v[8:9], v[38:39], v[18:19], v[8:9] op_sel_hi:[1,0,1]
	s_nop 0
	v_pk_fma_f32 v[8:9], v[38:39], v[18:19], v[8:9] op_sel:[1,1,0] op_sel_hi:[0,1,1] neg_lo:[1,0,0]
	s_waitcnt vmcnt(1)
	v_pk_fma_f32 v[12:13], v[60:61], v[20:21], v[12:13] op_sel_hi:[1,0,1]
	v_pk_fma_f32 v[8:9], v[40:41], v[20:21], v[8:9] op_sel_hi:[1,0,1]
	v_pk_fma_f32 v[12:13], v[60:61], v[16:17], v[12:13] op_sel:[1,0,0] op_sel_hi:[0,0,1] neg_lo:[1,0,0]
	v_pk_fma_f32 v[8:9], v[40:41], v[16:17], v[8:9] op_sel:[1,0,0] op_sel_hi:[0,0,1] neg_lo:[1,0,0]
	s_waitcnt vmcnt(0)
	v_pk_fma_f32 v[10:11], v[26:27], v[20:21], v[10:11] op_sel_hi:[1,0,1]
	s_nop 0
	v_pk_fma_f32 v[10:11], v[26:27], v[16:17], v[10:11] op_sel:[1,0,0] op_sel_hi:[0,0,1] neg_lo:[1,0,0]
	s_andn2_b64 exec, exec, s[2:3]
	s_cbranch_execnz .LBB98_21
; %bb.22:
	s_or_b64 exec, exec, s[2:3]
.LBB98_23:
	s_or_b64 exec, exec, s[4:5]
.LBB98_24:
	v_mov_b32_dpp v0, v12 row_shr:1 row_mask:0xf bank_mask:0xf
	v_add_f32_e32 v0, v12, v0
	v_mov_b32_dpp v12, v13 row_shr:1 row_mask:0xf bank_mask:0xf
	v_add_f32_e32 v12, v13, v12
	v_mov_b32_dpp v1, v0 row_shr:2 row_mask:0xf bank_mask:0xf
	v_add_f32_e32 v0, v0, v1
	v_mov_b32_dpp v13, v12 row_shr:2 row_mask:0xf bank_mask:0xf
	v_add_f32_e32 v12, v12, v13
	v_mov_b32_dpp v1, v0 row_shr:4 row_mask:0xf bank_mask:0xe
	v_add_f32_e32 v0, v0, v1
	v_mov_b32_dpp v13, v12 row_shr:4 row_mask:0xf bank_mask:0xe
	v_add_f32_e32 v12, v12, v13
	v_mov_b32_dpp v1, v0 row_shr:8 row_mask:0xf bank_mask:0xc
	v_add_f32_e32 v0, v0, v1
	v_mov_b32_dpp v13, v12 row_shr:8 row_mask:0xf bank_mask:0xc
	v_add_f32_e32 v12, v12, v13
	v_mov_b32_dpp v1, v0 row_bcast:15 row_mask:0xa bank_mask:0xf
	v_add_f32_e32 v0, v0, v1
	v_mov_b32_dpp v13, v12 row_bcast:15 row_mask:0xa bank_mask:0xf
	v_add_f32_e32 v13, v12, v13
	v_mov_b32_dpp v12, v10 row_shr:1 row_mask:0xf bank_mask:0xf
	v_add_f32_e32 v10, v10, v12
	v_mov_b32_dpp v1, v0 row_bcast:31 row_mask:0xc bank_mask:0xf
	v_mov_b32_dpp v14, v13 row_bcast:31 row_mask:0xc bank_mask:0xf
	v_mov_b32_dpp v12, v10 row_shr:2 row_mask:0xf bank_mask:0xf
	v_add_f32_e32 v10, v10, v12
	v_cmp_eq_u32_e32 vcc, 63, v7
	s_nop 0
	v_mov_b32_dpp v12, v10 row_shr:4 row_mask:0xf bank_mask:0xe
	v_add_f32_e32 v10, v10, v12
	s_nop 1
	v_mov_b32_dpp v12, v10 row_shr:8 row_mask:0xf bank_mask:0xc
	v_add_f32_e32 v10, v10, v12
	s_nop 1
	v_mov_b32_dpp v12, v10 row_bcast:15 row_mask:0xa bank_mask:0xf
	v_add_f32_e32 v10, v10, v12
	s_nop 0
	v_mov_b32_dpp v12, v11 row_shr:1 row_mask:0xf bank_mask:0xf
	v_add_f32_e32 v11, v11, v12
	v_mov_b32_dpp v15, v10 row_bcast:31 row_mask:0xc bank_mask:0xf
	s_nop 0
	v_mov_b32_dpp v12, v11 row_shr:2 row_mask:0xf bank_mask:0xf
	v_add_f32_e32 v11, v11, v12
	s_nop 1
	v_mov_b32_dpp v12, v11 row_shr:4 row_mask:0xf bank_mask:0xe
	v_add_f32_e32 v11, v11, v12
	s_nop 1
	v_mov_b32_dpp v12, v11 row_shr:8 row_mask:0xf bank_mask:0xc
	v_add_f32_e32 v11, v11, v12
	s_nop 1
	v_mov_b32_dpp v12, v11 row_bcast:15 row_mask:0xa bank_mask:0xf
	v_add_f32_e32 v11, v11, v12
	s_nop 0
	v_mov_b32_dpp v12, v8 row_shr:1 row_mask:0xf bank_mask:0xf
	v_add_f32_e32 v8, v8, v12
	v_mov_b32_dpp v17, v11 row_bcast:31 row_mask:0xc bank_mask:0xf
	s_nop 0
	v_mov_b32_dpp v12, v8 row_shr:2 row_mask:0xf bank_mask:0xf
	v_add_f32_e32 v8, v8, v12
	;; [unrolled: 16-line block ×3, first 2 shown]
	s_nop 1
	v_mov_b32_dpp v12, v9 row_shr:4 row_mask:0xf bank_mask:0xe
	v_add_f32_e32 v9, v9, v12
	s_nop 1
	v_mov_b32_dpp v12, v9 row_shr:8 row_mask:0xf bank_mask:0xc
	v_add_f32_e32 v9, v9, v12
	s_nop 1
	v_mov_b32_dpp v12, v9 row_bcast:15 row_mask:0xa bank_mask:0xf
	v_add_f32_e32 v9, v9, v12
	s_nop 1
	v_mov_b32_dpp v19, v9 row_bcast:31 row_mask:0xc bank_mask:0xf
	s_and_b64 exec, exec, vcc
	s_cbranch_execz .LBB98_29
; %bb.25:
	s_load_dwordx2 s[2:3], s[0:1], 0x38
	v_add_f32_e32 v12, v0, v1
	v_and_b32_e32 v1, 0x7fffffff, v4
	v_cmp_eq_u32_e32 vcc, 0, v1
	v_cmp_eq_f32_e64 s[0:1], 0, v5
	v_add_f32_e32 v16, v13, v14
	v_add_f32_e32 v10, v10, v15
	;; [unrolled: 1-line block ×5, first 2 shown]
	s_and_b64 s[0:1], vcc, s[0:1]
	s_and_saveexec_b64 s[4:5], s[0:1]
	s_xor_b64 s[0:1], exec, s[4:5]
	s_cbranch_execz .LBB98_27
; %bb.26:
	v_lshl_add_u32 v4, v6, 1, v6
	v_xor_b32_e32 v18, 0x80000000, v3
	v_ashrrev_i32_e32 v5, 31, v4
	v_mov_b32_e32 v19, v2
	s_waitcnt lgkmcnt(0)
	v_lshl_add_u64 v[20:21], v[4:5], 3, s[2:3]
	v_pk_mul_f32 v[4:5], v[16:17], v[18:19] op_sel_hi:[0,1]
	v_pk_mul_f32 v[6:7], v[14:15], v[18:19] op_sel_hi:[0,1]
	v_pk_fma_f32 v[4:5], v[2:3], v[12:13], v[4:5] op_sel_hi:[1,0,1]
	v_pk_fma_f32 v[6:7], v[2:3], v[10:11], v[6:7] op_sel_hi:[1,0,1]
	global_store_dwordx4 v[20:21], v[4:7], off
                                        ; implicit-def: $vgpr6
                                        ; implicit-def: $vgpr12
                                        ; implicit-def: $vgpr16
                                        ; implicit-def: $vgpr10
                                        ; implicit-def: $vgpr14
	s_nop 1
	v_pk_mul_f32 v[4:5], v[8:9], v[18:19] op_sel_hi:[0,1]
	v_pk_fma_f32 v[0:1], v[2:3], v[0:1], v[4:5] op_sel_hi:[1,0,1]
	global_store_dwordx2 v[20:21], v[0:1], off offset:16
                                        ; implicit-def: $vgpr3
                                        ; implicit-def: $vgpr4
                                        ; implicit-def: $vgpr0
                                        ; implicit-def: $vgpr8
.LBB98_27:
	s_andn2_saveexec_b64 s[0:1], s[0:1]
	s_cbranch_execz .LBB98_29
; %bb.28:
	v_lshl_add_u32 v6, v6, 1, v6
	v_ashrrev_i32_e32 v7, 31, v6
	s_waitcnt lgkmcnt(0)
	v_lshl_add_u64 v[6:7], v[6:7], 3, s[2:3]
	global_load_dwordx4 v[18:21], v[6:7], off
	global_load_dwordx2 v[22:23], v[6:7], off offset:16
	v_xor_b32_e32 v24, 0x80000000, v3
	v_mov_b32_e32 v25, v2
	v_pk_mul_f32 v[16:17], v[16:17], v[24:25] op_sel_hi:[0,1]
	v_pk_mul_f32 v[14:15], v[14:15], v[24:25] op_sel_hi:[0,1]
	;; [unrolled: 1-line block ×3, first 2 shown]
	v_pk_fma_f32 v[12:13], v[2:3], v[12:13], v[16:17] op_sel_hi:[1,0,1]
	v_pk_fma_f32 v[10:11], v[2:3], v[10:11], v[14:15] op_sel_hi:[1,0,1]
	v_xor_b32_e32 v26, 0x80000000, v5
	v_mov_b32_e32 v27, v4
	v_pk_fma_f32 v[0:1], v[2:3], v[0:1], v[8:9] op_sel_hi:[1,0,1]
	s_waitcnt vmcnt(1)
	v_pk_fma_f32 v[2:3], v[4:5], v[18:19], v[12:13] op_sel_hi:[1,0,1]
	v_pk_fma_f32 v[8:9], v[4:5], v[20:21], v[10:11] op_sel_hi:[1,0,1]
	v_mov_b32_e32 v10, v21
	s_waitcnt vmcnt(0)
	v_pk_fma_f32 v[4:5], v[4:5], v[22:23], v[0:1] op_sel_hi:[1,0,1]
	v_pk_fma_f32 v[0:1], v[26:27], v[18:19], v[2:3] op_sel:[0,1,0]
	v_pk_fma_f32 v[2:3], v[26:27], v[10:11], v[8:9] op_sel_hi:[1,0,1]
	v_pk_fma_f32 v[4:5], v[26:27], v[22:23], v[4:5] op_sel:[0,1,0]
	global_store_dwordx4 v[6:7], v[0:3], off
	global_store_dwordx2 v[6:7], v[4:5], off offset:16
.LBB98_29:
	s_endpgm
	.section	.rodata,"a",@progbits
	.p2align	6, 0x0
	.amdhsa_kernel _ZN9rocsparseL19gebsrmvn_3xn_kernelILj128ELj6ELj64E21rocsparse_complex_numIfEEEvi20rocsparse_direction_NS_24const_host_device_scalarIT2_EEPKiS8_PKS5_SA_S6_PS5_21rocsparse_index_base_b
		.amdhsa_group_segment_fixed_size 0
		.amdhsa_private_segment_fixed_size 0
		.amdhsa_kernarg_size 72
		.amdhsa_user_sgpr_count 2
		.amdhsa_user_sgpr_dispatch_ptr 0
		.amdhsa_user_sgpr_queue_ptr 0
		.amdhsa_user_sgpr_kernarg_segment_ptr 1
		.amdhsa_user_sgpr_dispatch_id 0
		.amdhsa_user_sgpr_kernarg_preload_length 0
		.amdhsa_user_sgpr_kernarg_preload_offset 0
		.amdhsa_user_sgpr_private_segment_size 0
		.amdhsa_uses_dynamic_stack 0
		.amdhsa_enable_private_segment 0
		.amdhsa_system_sgpr_workgroup_id_x 1
		.amdhsa_system_sgpr_workgroup_id_y 0
		.amdhsa_system_sgpr_workgroup_id_z 0
		.amdhsa_system_sgpr_workgroup_info 0
		.amdhsa_system_vgpr_workitem_id 0
		.amdhsa_next_free_vgpr 64
		.amdhsa_next_free_sgpr 16
		.amdhsa_accum_offset 64
		.amdhsa_reserve_vcc 1
		.amdhsa_float_round_mode_32 0
		.amdhsa_float_round_mode_16_64 0
		.amdhsa_float_denorm_mode_32 3
		.amdhsa_float_denorm_mode_16_64 3
		.amdhsa_dx10_clamp 1
		.amdhsa_ieee_mode 1
		.amdhsa_fp16_overflow 0
		.amdhsa_tg_split 0
		.amdhsa_exception_fp_ieee_invalid_op 0
		.amdhsa_exception_fp_denorm_src 0
		.amdhsa_exception_fp_ieee_div_zero 0
		.amdhsa_exception_fp_ieee_overflow 0
		.amdhsa_exception_fp_ieee_underflow 0
		.amdhsa_exception_fp_ieee_inexact 0
		.amdhsa_exception_int_div_zero 0
	.end_amdhsa_kernel
	.section	.text._ZN9rocsparseL19gebsrmvn_3xn_kernelILj128ELj6ELj64E21rocsparse_complex_numIfEEEvi20rocsparse_direction_NS_24const_host_device_scalarIT2_EEPKiS8_PKS5_SA_S6_PS5_21rocsparse_index_base_b,"axG",@progbits,_ZN9rocsparseL19gebsrmvn_3xn_kernelILj128ELj6ELj64E21rocsparse_complex_numIfEEEvi20rocsparse_direction_NS_24const_host_device_scalarIT2_EEPKiS8_PKS5_SA_S6_PS5_21rocsparse_index_base_b,comdat
.Lfunc_end98:
	.size	_ZN9rocsparseL19gebsrmvn_3xn_kernelILj128ELj6ELj64E21rocsparse_complex_numIfEEEvi20rocsparse_direction_NS_24const_host_device_scalarIT2_EEPKiS8_PKS5_SA_S6_PS5_21rocsparse_index_base_b, .Lfunc_end98-_ZN9rocsparseL19gebsrmvn_3xn_kernelILj128ELj6ELj64E21rocsparse_complex_numIfEEEvi20rocsparse_direction_NS_24const_host_device_scalarIT2_EEPKiS8_PKS5_SA_S6_PS5_21rocsparse_index_base_b
                                        ; -- End function
	.section	.AMDGPU.csdata,"",@progbits
; Kernel info:
; codeLenInByte = 3096
; NumSgprs: 22
; NumVgprs: 64
; NumAgprs: 0
; TotalNumVgprs: 64
; ScratchSize: 0
; MemoryBound: 0
; FloatMode: 240
; IeeeMode: 1
; LDSByteSize: 0 bytes/workgroup (compile time only)
; SGPRBlocks: 2
; VGPRBlocks: 7
; NumSGPRsForWavesPerEU: 22
; NumVGPRsForWavesPerEU: 64
; AccumOffset: 64
; Occupancy: 8
; WaveLimiterHint : 1
; COMPUTE_PGM_RSRC2:SCRATCH_EN: 0
; COMPUTE_PGM_RSRC2:USER_SGPR: 2
; COMPUTE_PGM_RSRC2:TRAP_HANDLER: 0
; COMPUTE_PGM_RSRC2:TGID_X_EN: 1
; COMPUTE_PGM_RSRC2:TGID_Y_EN: 0
; COMPUTE_PGM_RSRC2:TGID_Z_EN: 0
; COMPUTE_PGM_RSRC2:TIDIG_COMP_CNT: 0
; COMPUTE_PGM_RSRC3_GFX90A:ACCUM_OFFSET: 15
; COMPUTE_PGM_RSRC3_GFX90A:TG_SPLIT: 0
	.section	.text._ZN9rocsparseL19gebsrmvn_3xn_kernelILj128ELj7ELj4E21rocsparse_complex_numIfEEEvi20rocsparse_direction_NS_24const_host_device_scalarIT2_EEPKiS8_PKS5_SA_S6_PS5_21rocsparse_index_base_b,"axG",@progbits,_ZN9rocsparseL19gebsrmvn_3xn_kernelILj128ELj7ELj4E21rocsparse_complex_numIfEEEvi20rocsparse_direction_NS_24const_host_device_scalarIT2_EEPKiS8_PKS5_SA_S6_PS5_21rocsparse_index_base_b,comdat
	.globl	_ZN9rocsparseL19gebsrmvn_3xn_kernelILj128ELj7ELj4E21rocsparse_complex_numIfEEEvi20rocsparse_direction_NS_24const_host_device_scalarIT2_EEPKiS8_PKS5_SA_S6_PS5_21rocsparse_index_base_b ; -- Begin function _ZN9rocsparseL19gebsrmvn_3xn_kernelILj128ELj7ELj4E21rocsparse_complex_numIfEEEvi20rocsparse_direction_NS_24const_host_device_scalarIT2_EEPKiS8_PKS5_SA_S6_PS5_21rocsparse_index_base_b
	.p2align	8
	.type	_ZN9rocsparseL19gebsrmvn_3xn_kernelILj128ELj7ELj4E21rocsparse_complex_numIfEEEvi20rocsparse_direction_NS_24const_host_device_scalarIT2_EEPKiS8_PKS5_SA_S6_PS5_21rocsparse_index_base_b,@function
_ZN9rocsparseL19gebsrmvn_3xn_kernelILj128ELj7ELj4E21rocsparse_complex_numIfEEEvi20rocsparse_direction_NS_24const_host_device_scalarIT2_EEPKiS8_PKS5_SA_S6_PS5_21rocsparse_index_base_b: ; @_ZN9rocsparseL19gebsrmvn_3xn_kernelILj128ELj7ELj4E21rocsparse_complex_numIfEEEvi20rocsparse_direction_NS_24const_host_device_scalarIT2_EEPKiS8_PKS5_SA_S6_PS5_21rocsparse_index_base_b
; %bb.0:
	s_load_dwordx2 s[12:13], s[0:1], 0x40
	s_load_dwordx2 s[8:9], s[0:1], 0x8
	;; [unrolled: 1-line block ×3, first 2 shown]
	s_waitcnt lgkmcnt(0)
	s_bitcmp1_b32 s13, 0
	s_cselect_b64 s[4:5], -1, 0
	s_xor_b64 s[10:11], s[4:5], -1
	s_and_b64 vcc, exec, s[4:5]
	v_mov_b32_e32 v2, s8
	s_cbranch_vccnz .LBB99_2
; %bb.1:
	v_mov_b64_e32 v[2:3], s[8:9]
	flat_load_dword v2, v[2:3]
.LBB99_2:
	v_cndmask_b32_e64 v1, 0, 1, s[10:11]
	v_cmp_ne_u32_e64 s[4:5], 1, v1
	s_andn2_b64 vcc, exec, s[10:11]
	v_mov_b32_e32 v3, s9
	s_cbranch_vccz .LBB99_16
; %bb.3:
	s_and_b64 vcc, exec, s[4:5]
	v_mov_b32_e32 v4, s6
	s_cbranch_vccz .LBB99_17
.LBB99_4:
	s_and_b64 vcc, exec, s[4:5]
	v_mov_b32_e32 v5, s7
	s_cbranch_vccnz .LBB99_6
.LBB99_5:
	v_mov_b64_e32 v[6:7], s[6:7]
	flat_load_dword v5, v[6:7] offset:4
.LBB99_6:
	s_waitcnt vmcnt(0) lgkmcnt(0)
	v_and_b32_e32 v1, 0x7fffffff, v2
	v_cmp_eq_u32_e32 vcc, 0, v1
	v_cmp_eq_f32_e64 s[4:5], 0, v3
	s_and_b64 s[8:9], vcc, s[4:5]
	s_mov_b64 s[4:5], -1
	s_and_saveexec_b64 s[6:7], s[8:9]
; %bb.7:
	v_and_b32_e32 v1, 0x7fffffff, v5
	v_cmp_neq_f32_e32 vcc, 1.0, v4
	v_cmp_ne_u32_e64 s[4:5], 0, v1
	s_or_b64 s[4:5], vcc, s[4:5]
	s_orn2_b64 s[4:5], s[4:5], exec
; %bb.8:
	s_or_b64 exec, exec, s[6:7]
	s_and_saveexec_b64 s[6:7], s[4:5]
	s_cbranch_execz .LBB99_29
; %bb.9:
	s_load_dwordx2 s[14:15], s[0:1], 0x0
	v_lshrrev_b32_e32 v1, 2, v0
	v_lshl_or_b32 v6, s2, 5, v1
	s_waitcnt lgkmcnt(0)
	v_cmp_gt_i32_e32 vcc, s14, v6
	s_and_b64 exec, exec, vcc
	s_cbranch_execz .LBB99_29
; %bb.10:
	s_load_dwordx8 s[4:11], s[0:1], 0x10
	v_ashrrev_i32_e32 v7, 31, v6
	s_cmp_lg_u32 s15, 0
	s_waitcnt lgkmcnt(0)
	v_lshl_add_u64 v[8:9], v[6:7], 2, s[4:5]
	global_load_dwordx2 v[8:9], v[8:9], off
	v_and_b32_e32 v7, 3, v0
	s_waitcnt vmcnt(0)
	v_subrev_u32_e32 v0, s12, v8
	v_subrev_u32_e32 v22, s12, v9
	v_add_u32_e32 v0, v0, v7
	v_cmp_lt_i32_e64 s[2:3], v0, v22
	s_cbranch_scc0 .LBB99_18
; %bb.11:
	v_mov_b32_e32 v13, 0
	v_mov_b32_e32 v12, v13
	;; [unrolled: 1-line block ×6, first 2 shown]
	s_and_saveexec_b64 s[4:5], s[2:3]
	s_cbranch_execz .LBB99_15
; %bb.12:
	v_mad_u64_u32 v[14:15], s[14:15], v0, 21, 20
	v_mov_b32_e32 v17, 0
	s_mov_b64 s[14:15], 0
	v_mov_b32_e32 v18, v0
	v_mov_b32_e32 v8, v17
	;; [unrolled: 1-line block ×7, first 2 shown]
.LBB99_13:                              ; =>This Inner Loop Header: Depth=1
	v_ashrrev_i32_e32 v19, 31, v18
	v_lshl_add_u64 v[20:21], v[18:19], 2, s[6:7]
	global_load_dword v1, v[20:21], off
	v_subrev_u32_e32 v16, 20, v14
	v_lshl_add_u64 v[24:25], v[16:17], 3, s[8:9]
	v_subrev_u32_e32 v16, 19, v14
	v_lshl_add_u64 v[28:29], v[16:17], 3, s[8:9]
	;; [unrolled: 2-line block ×4, first 2 shown]
	global_load_dwordx2 v[24:25], v[24:25], off
	v_mov_b32_e32 v21, v17
	global_load_dwordx2 v[28:29], v[28:29], off
	s_nop 0
	global_load_dwordx2 v[34:35], v[32:33], off
	global_load_dwordx2 v[36:37], v[30:31], off
	v_mov_b32_e32 v15, v17
	v_lshl_add_u64 v[26:27], v[14:15], 3, s[8:9]
	v_add_u32_e32 v18, 4, v18
	v_cmp_ge_i32_e32 vcc, v18, v22
	s_or_b64 s[14:15], vcc, s[14:15]
	s_waitcnt vmcnt(4)
	v_subrev_u32_e32 v1, s12, v1
	v_mul_lo_u32 v20, v1, 7
	v_add_u32_e32 v16, 1, v20
	v_lshl_add_u64 v[32:33], v[16:17], 3, s[10:11]
	v_add_u32_e32 v16, -16, v14
	v_lshl_add_u64 v[38:39], v[16:17], 3, s[8:9]
	v_add_u32_e32 v16, -15, v14
	;; [unrolled: 2-line block ×3, first 2 shown]
	v_lshl_add_u64 v[42:43], v[16:17], 3, s[8:9]
	v_add_u32_e32 v16, 2, v20
	v_lshl_add_u64 v[30:31], v[20:21], 3, s[10:11]
	v_lshl_add_u64 v[44:45], v[16:17], 3, s[10:11]
	v_add_u32_e32 v16, -13, v14
	global_load_dwordx2 v[30:31], v[30:31], off
	s_nop 0
	global_load_dwordx2 v[32:33], v[32:33], off
	s_waitcnt vmcnt(1)
	v_pk_fma_f32 v[12:13], v[24:25], v[30:31], v[12:13] op_sel_hi:[1,0,1]
	global_load_dwordx2 v[38:39], v[38:39], off
	v_pk_fma_f32 v[10:11], v[28:29], v[30:31], v[10:11] op_sel_hi:[1,0,1]
	global_load_dwordx2 v[40:41], v[40:41], off
	s_nop 0
	global_load_dwordx2 v[46:47], v[42:43], off
	global_load_dwordx2 v[48:49], v[44:45], off
	v_lshl_add_u64 v[42:43], v[16:17], 3, s[8:9]
	v_add_u32_e32 v16, -12, v14
	v_lshl_add_u64 v[44:45], v[16:17], 3, s[8:9]
	v_add_u32_e32 v16, -11, v14
	v_lshl_add_u64 v[50:51], v[16:17], 3, s[8:9]
	v_add_u32_e32 v16, 3, v20
	v_lshl_add_u64 v[52:53], v[16:17], 3, s[10:11]
	v_add_u32_e32 v16, -10, v14
	global_load_dwordx2 v[42:43], v[42:43], off
	s_nop 0
	global_load_dwordx2 v[54:55], v[50:51], off
	global_load_dwordx2 v[56:57], v[44:45], off
	global_load_dwordx2 v[58:59], v[52:53], off
	v_lshl_add_u64 v[44:45], v[16:17], 3, s[8:9]
	v_add_u32_e32 v16, -9, v14
	v_lshl_add_u64 v[50:51], v[16:17], 3, s[8:9]
	v_add_u32_e32 v16, -8, v14
	v_lshl_add_u64 v[52:53], v[16:17], 3, s[8:9]
	v_add_u32_e32 v16, 4, v20
	v_lshl_add_u64 v[60:61], v[16:17], 3, s[10:11]
	v_add_u32_e32 v16, -7, v14
	global_load_dwordx2 v[44:45], v[44:45], off
	s_nop 0
	global_load_dwordx2 v[62:63], v[52:53], off
	;; [unrolled: 13-line block ×3, first 2 shown]
	global_load_dwordx2 v[72:73], v[52:53], off
	global_load_dwordx2 v[74:75], v[68:69], off
	v_lshl_add_u64 v[52:53], v[16:17], 3, s[8:9]
	v_add_u32_e32 v16, -3, v14
	v_lshl_add_u64 v[60:61], v[16:17], 3, s[8:9]
	v_add_u32_e32 v16, -2, v14
	v_lshl_add_u64 v[68:69], v[16:17], 3, s[8:9]
	v_add_u32_e32 v16, 6, v20
	global_load_dwordx2 v[52:53], v[52:53], off
	v_lshl_add_u64 v[20:21], v[16:17], 3, s[10:11]
	v_add_u32_e32 v16, -1, v14
	global_load_dwordx2 v[76:77], v[68:69], off
	global_load_dwordx2 v[78:79], v[60:61], off
	;; [unrolled: 1-line block ×3, first 2 shown]
	v_lshl_add_u64 v[20:21], v[16:17], 3, s[8:9]
	global_load_dwordx2 v[60:61], v[20:21], off
	global_load_dwordx2 v[68:69], v[26:27], off
	v_pk_fma_f32 v[8:9], v[36:37], v[30:31], v[8:9] op_sel_hi:[1,0,1]
	v_pk_fma_f32 v[12:13], v[24:25], v[30:31], v[12:13] op_sel:[1,1,0] op_sel_hi:[0,1,1] neg_lo:[1,0,0]
	v_pk_fma_f32 v[10:11], v[28:29], v[30:31], v[10:11] op_sel:[1,1,0] op_sel_hi:[0,1,1] neg_lo:[1,0,0]
	;; [unrolled: 1-line block ×3, first 2 shown]
	s_waitcnt vmcnt(22)
	v_pk_fma_f32 v[12:13], v[34:35], v[32:33], v[12:13] op_sel_hi:[1,0,1]
	v_add_u32_e32 v14, 0x54, v14
	v_pk_fma_f32 v[12:13], v[34:35], v[32:33], v[12:13] op_sel:[1,1,0] op_sel_hi:[0,1,1] neg_lo:[1,0,0]
	s_waitcnt vmcnt(21)
	v_pk_fma_f32 v[10:11], v[38:39], v[32:33], v[10:11] op_sel_hi:[1,0,1]
	s_nop 0
	v_pk_fma_f32 v[10:11], v[38:39], v[32:33], v[10:11] op_sel:[1,1,0] op_sel_hi:[0,1,1] neg_lo:[1,0,0]
	s_waitcnt vmcnt(20)
	v_pk_fma_f32 v[8:9], v[40:41], v[32:33], v[8:9] op_sel_hi:[1,0,1]
	s_waitcnt vmcnt(18)
	v_pk_fma_f32 v[12:13], v[46:47], v[48:49], v[12:13] op_sel_hi:[1,0,1]
	v_pk_fma_f32 v[8:9], v[40:41], v[32:33], v[8:9] op_sel:[1,1,0] op_sel_hi:[0,1,1] neg_lo:[1,0,0]
	v_pk_fma_f32 v[12:13], v[46:47], v[48:49], v[12:13] op_sel:[1,1,0] op_sel_hi:[0,1,1] neg_lo:[1,0,0]
	s_waitcnt vmcnt(17)
	v_pk_fma_f32 v[10:11], v[42:43], v[48:49], v[10:11] op_sel_hi:[1,0,1]
	s_waitcnt vmcnt(15)
	v_pk_fma_f32 v[8:9], v[56:57], v[48:49], v[8:9] op_sel_hi:[1,0,1]
	v_pk_fma_f32 v[10:11], v[42:43], v[48:49], v[10:11] op_sel:[1,1,0] op_sel_hi:[0,1,1] neg_lo:[1,0,0]
	v_pk_fma_f32 v[8:9], v[56:57], v[48:49], v[8:9] op_sel:[1,1,0] op_sel_hi:[0,1,1] neg_lo:[1,0,0]
	s_waitcnt vmcnt(14)
	v_pk_fma_f32 v[12:13], v[54:55], v[58:59], v[12:13] op_sel_hi:[1,0,1]
	s_waitcnt vmcnt(13)
	v_pk_fma_f32 v[10:11], v[44:45], v[58:59], v[10:11] op_sel_hi:[1,0,1]
	;; [unrolled: 2-line block ×3, first 2 shown]
	v_pk_fma_f32 v[12:13], v[54:55], v[58:59], v[12:13] op_sel:[1,1,0] op_sel_hi:[0,1,1] neg_lo:[1,0,0]
	v_pk_fma_f32 v[10:11], v[44:45], v[58:59], v[10:11] op_sel:[1,1,0] op_sel_hi:[0,1,1] neg_lo:[1,0,0]
	;; [unrolled: 1-line block ×3, first 2 shown]
	s_waitcnt vmcnt(10)
	v_pk_fma_f32 v[12:13], v[62:63], v[66:67], v[12:13] op_sel_hi:[1,0,1]
	s_waitcnt vmcnt(9)
	v_pk_fma_f32 v[10:11], v[50:51], v[66:67], v[10:11] op_sel_hi:[1,0,1]
	;; [unrolled: 2-line block ×3, first 2 shown]
	v_pk_fma_f32 v[12:13], v[62:63], v[66:67], v[12:13] op_sel:[1,1,0] op_sel_hi:[0,1,1] neg_lo:[1,0,0]
	v_pk_fma_f32 v[10:11], v[50:51], v[66:67], v[10:11] op_sel:[1,1,0] op_sel_hi:[0,1,1] neg_lo:[1,0,0]
	;; [unrolled: 1-line block ×3, first 2 shown]
	s_waitcnt vmcnt(6)
	v_pk_fma_f32 v[12:13], v[70:71], v[74:75], v[12:13] op_sel_hi:[1,0,1]
	s_waitcnt vmcnt(5)
	v_pk_fma_f32 v[10:11], v[52:53], v[74:75], v[10:11] op_sel_hi:[1,0,1]
	v_pk_fma_f32 v[12:13], v[70:71], v[74:75], v[12:13] op_sel:[1,1,0] op_sel_hi:[0,1,1] neg_lo:[1,0,0]
	s_waitcnt vmcnt(3)
	v_pk_fma_f32 v[8:9], v[78:79], v[74:75], v[8:9] op_sel_hi:[1,0,1]
	v_pk_fma_f32 v[10:11], v[52:53], v[74:75], v[10:11] op_sel:[1,1,0] op_sel_hi:[0,1,1] neg_lo:[1,0,0]
	v_pk_fma_f32 v[8:9], v[78:79], v[74:75], v[8:9] op_sel:[1,1,0] op_sel_hi:[0,1,1] neg_lo:[1,0,0]
	s_waitcnt vmcnt(2)
	v_pk_fma_f32 v[12:13], v[76:77], v[80:81], v[12:13] op_sel_hi:[1,0,1]
	s_waitcnt vmcnt(1)
	v_pk_fma_f32 v[10:11], v[60:61], v[80:81], v[10:11] op_sel_hi:[1,0,1]
	;; [unrolled: 2-line block ×3, first 2 shown]
	v_pk_fma_f32 v[12:13], v[76:77], v[80:81], v[12:13] op_sel:[1,1,0] op_sel_hi:[0,1,1] neg_lo:[1,0,0]
	v_pk_fma_f32 v[10:11], v[60:61], v[80:81], v[10:11] op_sel:[1,1,0] op_sel_hi:[0,1,1] neg_lo:[1,0,0]
	;; [unrolled: 1-line block ×3, first 2 shown]
	s_andn2_b64 exec, exec, s[14:15]
	s_cbranch_execnz .LBB99_13
; %bb.14:
	s_or_b64 exec, exec, s[14:15]
.LBB99_15:
	s_or_b64 exec, exec, s[4:5]
	s_cbranch_execz .LBB99_19
	s_branch .LBB99_24
.LBB99_16:
	v_mov_b64_e32 v[4:5], s[8:9]
	flat_load_dword v3, v[4:5] offset:4
	s_and_b64 vcc, exec, s[4:5]
	v_mov_b32_e32 v4, s6
	s_cbranch_vccnz .LBB99_4
.LBB99_17:
	v_mov_b64_e32 v[4:5], s[6:7]
	flat_load_dword v4, v[4:5]
	s_and_b64 vcc, exec, s[4:5]
	v_mov_b32_e32 v5, s7
	s_cbranch_vccz .LBB99_5
	s_branch .LBB99_6
.LBB99_18:
                                        ; implicit-def: $vgpr13
                                        ; implicit-def: $vgpr9
                                        ; implicit-def: $vgpr11
.LBB99_19:
	v_mov_b32_e32 v13, 0
	v_mov_b32_e32 v12, v13
	;; [unrolled: 1-line block ×6, first 2 shown]
	s_and_saveexec_b64 s[4:5], s[2:3]
	s_cbranch_execz .LBB99_23
; %bb.20:
	v_mad_u64_u32 v[14:15], s[2:3], v0, 21, 20
	v_mov_b32_e32 v17, 0
	s_mov_b64 s[2:3], 0
	v_mov_b32_e32 v8, v17
	v_mov_b32_e32 v9, v17
	;; [unrolled: 1-line block ×6, first 2 shown]
.LBB99_21:                              ; =>This Inner Loop Header: Depth=1
	v_ashrrev_i32_e32 v1, 31, v0
	v_lshl_add_u64 v[20:21], v[0:1], 2, s[6:7]
	global_load_dword v1, v[20:21], off
	v_subrev_u32_e32 v16, 20, v14
	v_add_u32_e32 v18, -13, v14
	v_mov_b32_e32 v19, v17
	v_add_u32_e32 v20, -6, v14
	v_mov_b32_e32 v25, v17
	v_mov_b32_e32 v21, v17
	v_lshl_add_u64 v[26:27], v[16:17], 3, s[8:9]
	v_lshl_add_u64 v[18:19], v[18:19], 3, s[8:9]
	v_subrev_u32_e32 v16, 19, v14
	v_lshl_add_u64 v[20:21], v[20:21], 3, s[8:9]
	v_lshl_add_u64 v[30:31], v[16:17], 3, s[8:9]
	global_load_dwordx2 v[32:33], v[26:27], off
	global_load_dwordx2 v[34:35], v[18:19], off
	;; [unrolled: 1-line block ×4, first 2 shown]
	v_mov_b32_e32 v15, v17
	v_lshl_add_u64 v[28:29], v[14:15], 3, s[8:9]
	v_add_u32_e32 v0, 4, v0
	v_cmp_ge_i32_e32 vcc, v0, v22
	s_or_b64 s[2:3], vcc, s[2:3]
	s_waitcnt vmcnt(4)
	v_subrev_u32_e32 v1, s12, v1
	v_mul_lo_u32 v24, v1, 7
	v_lshl_add_u64 v[18:19], v[24:25], 3, s[10:11]
	global_load_dwordx2 v[18:19], v[18:19], off
	v_add_u32_e32 v16, 1, v24
	v_lshl_add_u64 v[20:21], v[16:17], 3, s[10:11]
	global_load_dwordx2 v[20:21], v[20:21], off
	v_add_u32_e32 v16, -12, v14
	v_lshl_add_u64 v[26:27], v[16:17], 3, s[8:9]
	v_add_u32_e32 v16, -5, v14
	v_lshl_add_u64 v[30:31], v[16:17], 3, s[8:9]
	v_subrev_u32_e32 v16, 18, v14
	v_lshl_add_u64 v[40:41], v[16:17], 3, s[8:9]
	v_add_u32_e32 v16, 2, v24
	v_lshl_add_u64 v[42:43], v[16:17], 3, s[10:11]
	v_add_u32_e32 v16, -11, v14
	global_load_dwordx2 v[26:27], v[26:27], off
	s_waitcnt vmcnt(2)
	v_pk_fma_f32 v[12:13], v[32:33], v[18:19], v[12:13] op_sel_hi:[1,0,1]
	global_load_dwordx2 v[30:31], v[30:31], off
	s_nop 0
	global_load_dwordx2 v[44:45], v[40:41], off
	global_load_dwordx2 v[46:47], v[42:43], off
	v_lshl_add_u64 v[40:41], v[16:17], 3, s[8:9]
	v_add_u32_e32 v16, -4, v14
	v_lshl_add_u64 v[42:43], v[16:17], 3, s[8:9]
	v_subrev_u32_e32 v16, 17, v14
	v_lshl_add_u64 v[48:49], v[16:17], 3, s[8:9]
	v_add_u32_e32 v16, 3, v24
	v_lshl_add_u64 v[50:51], v[16:17], 3, s[10:11]
	v_add_u32_e32 v16, -10, v14
	global_load_dwordx2 v[40:41], v[40:41], off
	s_nop 0
	global_load_dwordx2 v[52:53], v[48:49], off
	global_load_dwordx2 v[54:55], v[42:43], off
	global_load_dwordx2 v[56:57], v[50:51], off
	v_lshl_add_u64 v[42:43], v[16:17], 3, s[8:9]
	v_add_u32_e32 v16, -3, v14
	v_lshl_add_u64 v[48:49], v[16:17], 3, s[8:9]
	v_add_u32_e32 v16, -16, v14
	v_lshl_add_u64 v[50:51], v[16:17], 3, s[8:9]
	v_add_u32_e32 v16, 4, v24
	v_lshl_add_u64 v[58:59], v[16:17], 3, s[10:11]
	v_add_u32_e32 v16, -9, v14
	global_load_dwordx2 v[42:43], v[42:43], off
	s_nop 0
	global_load_dwordx2 v[60:61], v[50:51], off
	global_load_dwordx2 v[62:63], v[48:49], off
	global_load_dwordx2 v[64:65], v[58:59], off
	v_lshl_add_u64 v[48:49], v[16:17], 3, s[8:9]
	v_add_u32_e32 v16, -2, v14
	v_lshl_add_u64 v[50:51], v[16:17], 3, s[8:9]
	v_add_u32_e32 v16, -15, v14
	;; [unrolled: 13-line block ×3, first 2 shown]
	v_lshl_add_u64 v[66:67], v[16:17], 3, s[8:9]
	v_add_u32_e32 v16, 6, v24
	global_load_dwordx2 v[50:51], v[50:51], off
	v_lshl_add_u64 v[24:25], v[16:17], 3, s[10:11]
	v_add_u32_e32 v16, -7, v14
	global_load_dwordx2 v[74:75], v[66:67], off
	global_load_dwordx2 v[76:77], v[58:59], off
	;; [unrolled: 1-line block ×3, first 2 shown]
	v_lshl_add_u64 v[24:25], v[16:17], 3, s[8:9]
	v_pk_fma_f32 v[12:13], v[32:33], v[18:19], v[12:13] op_sel:[1,1,0] op_sel_hi:[0,1,1] neg_lo:[1,0,0]
	global_load_dwordx2 v[32:33], v[24:25], off
	global_load_dwordx2 v[58:59], v[28:29], off
	v_pk_fma_f32 v[10:11], v[34:35], v[18:19], v[10:11] op_sel_hi:[1,0,1]
	v_pk_fma_f32 v[8:9], v[38:39], v[18:19], v[8:9] op_sel_hi:[1,0,1]
	v_pk_fma_f32 v[10:11], v[34:35], v[18:19], v[10:11] op_sel:[1,1,0] op_sel_hi:[0,1,1] neg_lo:[1,0,0]
	v_pk_fma_f32 v[8:9], v[38:39], v[18:19], v[8:9] op_sel:[1,1,0] op_sel_hi:[0,1,1] neg_lo:[1,0,0]
	s_waitcnt vmcnt(22)
	v_pk_fma_f32 v[12:13], v[36:37], v[20:21], v[12:13] op_sel_hi:[1,0,1]
	s_waitcnt vmcnt(21)
	v_pk_fma_f32 v[10:11], v[26:27], v[20:21], v[10:11] op_sel_hi:[1,0,1]
	v_pk_fma_f32 v[12:13], v[36:37], v[20:21], v[12:13] op_sel:[1,1,0] op_sel_hi:[0,1,1] neg_lo:[1,0,0]
	v_pk_fma_f32 v[10:11], v[26:27], v[20:21], v[10:11] op_sel:[1,1,0] op_sel_hi:[0,1,1] neg_lo:[1,0,0]
	v_add_u32_e32 v14, 0x54, v14
	s_waitcnt vmcnt(20)
	v_pk_fma_f32 v[8:9], v[30:31], v[20:21], v[8:9] op_sel_hi:[1,0,1]
	s_nop 0
	v_pk_fma_f32 v[8:9], v[30:31], v[20:21], v[8:9] op_sel:[1,1,0] op_sel_hi:[0,1,1] neg_lo:[1,0,0]
	s_waitcnt vmcnt(18)
	v_pk_fma_f32 v[12:13], v[44:45], v[46:47], v[12:13] op_sel_hi:[1,0,1]
	s_waitcnt vmcnt(17)
	v_pk_fma_f32 v[10:11], v[40:41], v[46:47], v[10:11] op_sel_hi:[1,0,1]
	s_waitcnt vmcnt(15)
	v_pk_fma_f32 v[8:9], v[54:55], v[46:47], v[8:9] op_sel_hi:[1,0,1]
	v_pk_fma_f32 v[12:13], v[44:45], v[46:47], v[12:13] op_sel:[1,1,0] op_sel_hi:[0,1,1] neg_lo:[1,0,0]
	v_pk_fma_f32 v[10:11], v[40:41], v[46:47], v[10:11] op_sel:[1,1,0] op_sel_hi:[0,1,1] neg_lo:[1,0,0]
	v_pk_fma_f32 v[8:9], v[54:55], v[46:47], v[8:9] op_sel:[1,1,0] op_sel_hi:[0,1,1] neg_lo:[1,0,0]
	s_waitcnt vmcnt(14)
	v_pk_fma_f32 v[12:13], v[52:53], v[56:57], v[12:13] op_sel_hi:[1,0,1]
	s_waitcnt vmcnt(13)
	v_pk_fma_f32 v[10:11], v[42:43], v[56:57], v[10:11] op_sel_hi:[1,0,1]
	s_waitcnt vmcnt(11)
	v_pk_fma_f32 v[8:9], v[62:63], v[56:57], v[8:9] op_sel_hi:[1,0,1]
	v_pk_fma_f32 v[12:13], v[52:53], v[56:57], v[12:13] op_sel:[1,1,0] op_sel_hi:[0,1,1] neg_lo:[1,0,0]
	v_pk_fma_f32 v[10:11], v[42:43], v[56:57], v[10:11] op_sel:[1,1,0] op_sel_hi:[0,1,1] neg_lo:[1,0,0]
	;; [unrolled: 9-line block ×3, first 2 shown]
	v_pk_fma_f32 v[8:9], v[70:71], v[64:65], v[8:9] op_sel:[1,1,0] op_sel_hi:[0,1,1] neg_lo:[1,0,0]
	s_waitcnt vmcnt(6)
	v_pk_fma_f32 v[12:13], v[68:69], v[72:73], v[12:13] op_sel_hi:[1,0,1]
	s_waitcnt vmcnt(5)
	v_pk_fma_f32 v[10:11], v[50:51], v[72:73], v[10:11] op_sel_hi:[1,0,1]
	v_pk_fma_f32 v[12:13], v[68:69], v[72:73], v[12:13] op_sel:[1,1,0] op_sel_hi:[0,1,1] neg_lo:[1,0,0]
	s_waitcnt vmcnt(3)
	v_pk_fma_f32 v[8:9], v[76:77], v[72:73], v[8:9] op_sel_hi:[1,0,1]
	v_pk_fma_f32 v[10:11], v[50:51], v[72:73], v[10:11] op_sel:[1,1,0] op_sel_hi:[0,1,1] neg_lo:[1,0,0]
	v_pk_fma_f32 v[8:9], v[76:77], v[72:73], v[8:9] op_sel:[1,1,0] op_sel_hi:[0,1,1] neg_lo:[1,0,0]
	s_waitcnt vmcnt(2)
	v_pk_fma_f32 v[12:13], v[74:75], v[78:79], v[12:13] op_sel_hi:[1,0,1]
	s_waitcnt vmcnt(1)
	v_pk_fma_f32 v[10:11], v[32:33], v[78:79], v[10:11] op_sel_hi:[1,0,1]
	s_waitcnt vmcnt(0)
	v_pk_fma_f32 v[8:9], v[58:59], v[78:79], v[8:9] op_sel_hi:[1,0,1]
	v_pk_fma_f32 v[12:13], v[74:75], v[78:79], v[12:13] op_sel:[1,1,0] op_sel_hi:[0,1,1] neg_lo:[1,0,0]
	v_pk_fma_f32 v[10:11], v[32:33], v[78:79], v[10:11] op_sel:[1,1,0] op_sel_hi:[0,1,1] neg_lo:[1,0,0]
	;; [unrolled: 1-line block ×3, first 2 shown]
	s_andn2_b64 exec, exec, s[2:3]
	s_cbranch_execnz .LBB99_21
; %bb.22:
	s_or_b64 exec, exec, s[2:3]
.LBB99_23:
	s_or_b64 exec, exec, s[4:5]
.LBB99_24:
	v_mov_b32_dpp v0, v12 row_shr:1 row_mask:0xf bank_mask:0xf
	v_add_f32_e32 v0, v12, v0
	v_mov_b32_dpp v12, v13 row_shr:1 row_mask:0xf bank_mask:0xf
	v_add_f32_e32 v13, v13, v12
	v_mov_b32_dpp v1, v0 row_shr:2 row_mask:0xf bank_mask:0xf
	v_mov_b32_dpp v12, v10 row_shr:1 row_mask:0xf bank_mask:0xf
	v_add_f32_e32 v10, v10, v12
	v_mov_b32_dpp v14, v13 row_shr:2 row_mask:0xf bank_mask:0xf
	;; [unrolled: 3-line block ×5, first 2 shown]
	v_cmp_eq_u32_e32 vcc, 3, v7
	v_mov_b32_dpp v19, v9 row_shr:2 row_mask:0xf bank_mask:0xf
	s_and_b64 exec, exec, vcc
	s_cbranch_execz .LBB99_29
; %bb.25:
	s_load_dwordx2 s[2:3], s[0:1], 0x38
	v_add_f32_e32 v12, v0, v1
	v_and_b32_e32 v1, 0x7fffffff, v4
	v_cmp_eq_u32_e32 vcc, 0, v1
	v_cmp_eq_f32_e64 s[0:1], 0, v5
	v_add_f32_e32 v16, v13, v14
	v_add_f32_e32 v10, v10, v15
	;; [unrolled: 1-line block ×5, first 2 shown]
	s_and_b64 s[0:1], vcc, s[0:1]
	s_and_saveexec_b64 s[4:5], s[0:1]
	s_xor_b64 s[0:1], exec, s[4:5]
	s_cbranch_execz .LBB99_27
; %bb.26:
	v_lshl_add_u32 v4, v6, 1, v6
	v_xor_b32_e32 v18, 0x80000000, v3
	v_ashrrev_i32_e32 v5, 31, v4
	v_mov_b32_e32 v19, v2
	s_waitcnt lgkmcnt(0)
	v_lshl_add_u64 v[20:21], v[4:5], 3, s[2:3]
	v_pk_mul_f32 v[4:5], v[16:17], v[18:19] op_sel_hi:[0,1]
	v_pk_mul_f32 v[6:7], v[14:15], v[18:19] op_sel_hi:[0,1]
	v_pk_fma_f32 v[4:5], v[2:3], v[12:13], v[4:5] op_sel_hi:[1,0,1]
	v_pk_fma_f32 v[6:7], v[2:3], v[10:11], v[6:7] op_sel_hi:[1,0,1]
	global_store_dwordx4 v[20:21], v[4:7], off
                                        ; implicit-def: $vgpr6
                                        ; implicit-def: $vgpr12
                                        ; implicit-def: $vgpr16
                                        ; implicit-def: $vgpr10
                                        ; implicit-def: $vgpr14
	s_nop 1
	v_pk_mul_f32 v[4:5], v[8:9], v[18:19] op_sel_hi:[0,1]
	v_pk_fma_f32 v[0:1], v[2:3], v[0:1], v[4:5] op_sel_hi:[1,0,1]
	global_store_dwordx2 v[20:21], v[0:1], off offset:16
                                        ; implicit-def: $vgpr3
                                        ; implicit-def: $vgpr4
                                        ; implicit-def: $vgpr0
                                        ; implicit-def: $vgpr8
.LBB99_27:
	s_andn2_saveexec_b64 s[0:1], s[0:1]
	s_cbranch_execz .LBB99_29
; %bb.28:
	v_lshl_add_u32 v6, v6, 1, v6
	v_ashrrev_i32_e32 v7, 31, v6
	s_waitcnt lgkmcnt(0)
	v_lshl_add_u64 v[6:7], v[6:7], 3, s[2:3]
	global_load_dwordx4 v[18:21], v[6:7], off
	global_load_dwordx2 v[22:23], v[6:7], off offset:16
	v_xor_b32_e32 v24, 0x80000000, v3
	v_mov_b32_e32 v25, v2
	v_pk_mul_f32 v[16:17], v[16:17], v[24:25] op_sel_hi:[0,1]
	v_pk_mul_f32 v[14:15], v[14:15], v[24:25] op_sel_hi:[0,1]
	;; [unrolled: 1-line block ×3, first 2 shown]
	v_pk_fma_f32 v[12:13], v[2:3], v[12:13], v[16:17] op_sel_hi:[1,0,1]
	v_pk_fma_f32 v[10:11], v[2:3], v[10:11], v[14:15] op_sel_hi:[1,0,1]
	v_xor_b32_e32 v26, 0x80000000, v5
	v_mov_b32_e32 v27, v4
	v_pk_fma_f32 v[0:1], v[2:3], v[0:1], v[8:9] op_sel_hi:[1,0,1]
	s_waitcnt vmcnt(1)
	v_pk_fma_f32 v[2:3], v[4:5], v[18:19], v[12:13] op_sel_hi:[1,0,1]
	v_pk_fma_f32 v[8:9], v[4:5], v[20:21], v[10:11] op_sel_hi:[1,0,1]
	v_mov_b32_e32 v10, v21
	s_waitcnt vmcnt(0)
	v_pk_fma_f32 v[4:5], v[4:5], v[22:23], v[0:1] op_sel_hi:[1,0,1]
	v_pk_fma_f32 v[0:1], v[26:27], v[18:19], v[2:3] op_sel:[0,1,0]
	v_pk_fma_f32 v[2:3], v[26:27], v[10:11], v[8:9] op_sel_hi:[1,0,1]
	v_pk_fma_f32 v[4:5], v[26:27], v[22:23], v[4:5] op_sel:[0,1,0]
	global_store_dwordx4 v[6:7], v[0:3], off
	global_store_dwordx2 v[6:7], v[4:5], off offset:16
.LBB99_29:
	s_endpgm
	.section	.rodata,"a",@progbits
	.p2align	6, 0x0
	.amdhsa_kernel _ZN9rocsparseL19gebsrmvn_3xn_kernelILj128ELj7ELj4E21rocsparse_complex_numIfEEEvi20rocsparse_direction_NS_24const_host_device_scalarIT2_EEPKiS8_PKS5_SA_S6_PS5_21rocsparse_index_base_b
		.amdhsa_group_segment_fixed_size 0
		.amdhsa_private_segment_fixed_size 0
		.amdhsa_kernarg_size 72
		.amdhsa_user_sgpr_count 2
		.amdhsa_user_sgpr_dispatch_ptr 0
		.amdhsa_user_sgpr_queue_ptr 0
		.amdhsa_user_sgpr_kernarg_segment_ptr 1
		.amdhsa_user_sgpr_dispatch_id 0
		.amdhsa_user_sgpr_kernarg_preload_length 0
		.amdhsa_user_sgpr_kernarg_preload_offset 0
		.amdhsa_user_sgpr_private_segment_size 0
		.amdhsa_uses_dynamic_stack 0
		.amdhsa_enable_private_segment 0
		.amdhsa_system_sgpr_workgroup_id_x 1
		.amdhsa_system_sgpr_workgroup_id_y 0
		.amdhsa_system_sgpr_workgroup_id_z 0
		.amdhsa_system_sgpr_workgroup_info 0
		.amdhsa_system_vgpr_workitem_id 0
		.amdhsa_next_free_vgpr 82
		.amdhsa_next_free_sgpr 16
		.amdhsa_accum_offset 84
		.amdhsa_reserve_vcc 1
		.amdhsa_float_round_mode_32 0
		.amdhsa_float_round_mode_16_64 0
		.amdhsa_float_denorm_mode_32 3
		.amdhsa_float_denorm_mode_16_64 3
		.amdhsa_dx10_clamp 1
		.amdhsa_ieee_mode 1
		.amdhsa_fp16_overflow 0
		.amdhsa_tg_split 0
		.amdhsa_exception_fp_ieee_invalid_op 0
		.amdhsa_exception_fp_denorm_src 0
		.amdhsa_exception_fp_ieee_div_zero 0
		.amdhsa_exception_fp_ieee_overflow 0
		.amdhsa_exception_fp_ieee_underflow 0
		.amdhsa_exception_fp_ieee_inexact 0
		.amdhsa_exception_int_div_zero 0
	.end_amdhsa_kernel
	.section	.text._ZN9rocsparseL19gebsrmvn_3xn_kernelILj128ELj7ELj4E21rocsparse_complex_numIfEEEvi20rocsparse_direction_NS_24const_host_device_scalarIT2_EEPKiS8_PKS5_SA_S6_PS5_21rocsparse_index_base_b,"axG",@progbits,_ZN9rocsparseL19gebsrmvn_3xn_kernelILj128ELj7ELj4E21rocsparse_complex_numIfEEEvi20rocsparse_direction_NS_24const_host_device_scalarIT2_EEPKiS8_PKS5_SA_S6_PS5_21rocsparse_index_base_b,comdat
.Lfunc_end99:
	.size	_ZN9rocsparseL19gebsrmvn_3xn_kernelILj128ELj7ELj4E21rocsparse_complex_numIfEEEvi20rocsparse_direction_NS_24const_host_device_scalarIT2_EEPKiS8_PKS5_SA_S6_PS5_21rocsparse_index_base_b, .Lfunc_end99-_ZN9rocsparseL19gebsrmvn_3xn_kernelILj128ELj7ELj4E21rocsparse_complex_numIfEEEvi20rocsparse_direction_NS_24const_host_device_scalarIT2_EEPKiS8_PKS5_SA_S6_PS5_21rocsparse_index_base_b
                                        ; -- End function
	.section	.AMDGPU.csdata,"",@progbits
; Kernel info:
; codeLenInByte = 3164
; NumSgprs: 22
; NumVgprs: 82
; NumAgprs: 0
; TotalNumVgprs: 82
; ScratchSize: 0
; MemoryBound: 0
; FloatMode: 240
; IeeeMode: 1
; LDSByteSize: 0 bytes/workgroup (compile time only)
; SGPRBlocks: 2
; VGPRBlocks: 10
; NumSGPRsForWavesPerEU: 22
; NumVGPRsForWavesPerEU: 82
; AccumOffset: 84
; Occupancy: 5
; WaveLimiterHint : 1
; COMPUTE_PGM_RSRC2:SCRATCH_EN: 0
; COMPUTE_PGM_RSRC2:USER_SGPR: 2
; COMPUTE_PGM_RSRC2:TRAP_HANDLER: 0
; COMPUTE_PGM_RSRC2:TGID_X_EN: 1
; COMPUTE_PGM_RSRC2:TGID_Y_EN: 0
; COMPUTE_PGM_RSRC2:TGID_Z_EN: 0
; COMPUTE_PGM_RSRC2:TIDIG_COMP_CNT: 0
; COMPUTE_PGM_RSRC3_GFX90A:ACCUM_OFFSET: 20
; COMPUTE_PGM_RSRC3_GFX90A:TG_SPLIT: 0
	.section	.text._ZN9rocsparseL19gebsrmvn_3xn_kernelILj128ELj7ELj8E21rocsparse_complex_numIfEEEvi20rocsparse_direction_NS_24const_host_device_scalarIT2_EEPKiS8_PKS5_SA_S6_PS5_21rocsparse_index_base_b,"axG",@progbits,_ZN9rocsparseL19gebsrmvn_3xn_kernelILj128ELj7ELj8E21rocsparse_complex_numIfEEEvi20rocsparse_direction_NS_24const_host_device_scalarIT2_EEPKiS8_PKS5_SA_S6_PS5_21rocsparse_index_base_b,comdat
	.globl	_ZN9rocsparseL19gebsrmvn_3xn_kernelILj128ELj7ELj8E21rocsparse_complex_numIfEEEvi20rocsparse_direction_NS_24const_host_device_scalarIT2_EEPKiS8_PKS5_SA_S6_PS5_21rocsparse_index_base_b ; -- Begin function _ZN9rocsparseL19gebsrmvn_3xn_kernelILj128ELj7ELj8E21rocsparse_complex_numIfEEEvi20rocsparse_direction_NS_24const_host_device_scalarIT2_EEPKiS8_PKS5_SA_S6_PS5_21rocsparse_index_base_b
	.p2align	8
	.type	_ZN9rocsparseL19gebsrmvn_3xn_kernelILj128ELj7ELj8E21rocsparse_complex_numIfEEEvi20rocsparse_direction_NS_24const_host_device_scalarIT2_EEPKiS8_PKS5_SA_S6_PS5_21rocsparse_index_base_b,@function
_ZN9rocsparseL19gebsrmvn_3xn_kernelILj128ELj7ELj8E21rocsparse_complex_numIfEEEvi20rocsparse_direction_NS_24const_host_device_scalarIT2_EEPKiS8_PKS5_SA_S6_PS5_21rocsparse_index_base_b: ; @_ZN9rocsparseL19gebsrmvn_3xn_kernelILj128ELj7ELj8E21rocsparse_complex_numIfEEEvi20rocsparse_direction_NS_24const_host_device_scalarIT2_EEPKiS8_PKS5_SA_S6_PS5_21rocsparse_index_base_b
; %bb.0:
	s_load_dwordx2 s[12:13], s[0:1], 0x40
	s_load_dwordx2 s[8:9], s[0:1], 0x8
	;; [unrolled: 1-line block ×3, first 2 shown]
	s_waitcnt lgkmcnt(0)
	s_bitcmp1_b32 s13, 0
	s_cselect_b64 s[4:5], -1, 0
	s_xor_b64 s[10:11], s[4:5], -1
	s_and_b64 vcc, exec, s[4:5]
	v_mov_b32_e32 v2, s8
	s_cbranch_vccnz .LBB100_2
; %bb.1:
	v_mov_b64_e32 v[2:3], s[8:9]
	flat_load_dword v2, v[2:3]
.LBB100_2:
	v_cndmask_b32_e64 v1, 0, 1, s[10:11]
	v_cmp_ne_u32_e64 s[4:5], 1, v1
	s_andn2_b64 vcc, exec, s[10:11]
	v_mov_b32_e32 v3, s9
	s_cbranch_vccz .LBB100_16
; %bb.3:
	s_and_b64 vcc, exec, s[4:5]
	v_mov_b32_e32 v4, s6
	s_cbranch_vccz .LBB100_17
.LBB100_4:
	s_and_b64 vcc, exec, s[4:5]
	v_mov_b32_e32 v5, s7
	s_cbranch_vccnz .LBB100_6
.LBB100_5:
	v_mov_b64_e32 v[6:7], s[6:7]
	flat_load_dword v5, v[6:7] offset:4
.LBB100_6:
	s_waitcnt vmcnt(0) lgkmcnt(0)
	v_and_b32_e32 v1, 0x7fffffff, v2
	v_cmp_eq_u32_e32 vcc, 0, v1
	v_cmp_eq_f32_e64 s[4:5], 0, v3
	s_and_b64 s[8:9], vcc, s[4:5]
	s_mov_b64 s[4:5], -1
	s_and_saveexec_b64 s[6:7], s[8:9]
; %bb.7:
	v_and_b32_e32 v1, 0x7fffffff, v5
	v_cmp_neq_f32_e32 vcc, 1.0, v4
	v_cmp_ne_u32_e64 s[4:5], 0, v1
	s_or_b64 s[4:5], vcc, s[4:5]
	s_orn2_b64 s[4:5], s[4:5], exec
; %bb.8:
	s_or_b64 exec, exec, s[6:7]
	s_and_saveexec_b64 s[6:7], s[4:5]
	s_cbranch_execz .LBB100_29
; %bb.9:
	s_load_dwordx2 s[14:15], s[0:1], 0x0
	v_lshrrev_b32_e32 v1, 3, v0
	v_lshl_or_b32 v6, s2, 4, v1
	s_waitcnt lgkmcnt(0)
	v_cmp_gt_i32_e32 vcc, s14, v6
	s_and_b64 exec, exec, vcc
	s_cbranch_execz .LBB100_29
; %bb.10:
	s_load_dwordx8 s[4:11], s[0:1], 0x10
	v_ashrrev_i32_e32 v7, 31, v6
	s_cmp_lg_u32 s15, 0
	s_waitcnt lgkmcnt(0)
	v_lshl_add_u64 v[8:9], v[6:7], 2, s[4:5]
	global_load_dwordx2 v[8:9], v[8:9], off
	v_and_b32_e32 v7, 7, v0
	s_waitcnt vmcnt(0)
	v_subrev_u32_e32 v0, s12, v8
	v_subrev_u32_e32 v22, s12, v9
	v_add_u32_e32 v0, v0, v7
	v_cmp_lt_i32_e64 s[2:3], v0, v22
	s_cbranch_scc0 .LBB100_18
; %bb.11:
	v_mov_b32_e32 v13, 0
	v_mov_b32_e32 v12, v13
	;; [unrolled: 1-line block ×6, first 2 shown]
	s_and_saveexec_b64 s[4:5], s[2:3]
	s_cbranch_execz .LBB100_15
; %bb.12:
	v_mad_u64_u32 v[14:15], s[14:15], v0, 21, 20
	v_mov_b32_e32 v17, 0
	s_mov_b64 s[14:15], 0
	v_mov_b32_e32 v18, v0
	v_mov_b32_e32 v8, v17
	;; [unrolled: 1-line block ×7, first 2 shown]
.LBB100_13:                             ; =>This Inner Loop Header: Depth=1
	v_ashrrev_i32_e32 v19, 31, v18
	v_lshl_add_u64 v[20:21], v[18:19], 2, s[6:7]
	global_load_dword v1, v[20:21], off
	v_subrev_u32_e32 v16, 20, v14
	v_lshl_add_u64 v[24:25], v[16:17], 3, s[8:9]
	v_subrev_u32_e32 v16, 19, v14
	v_lshl_add_u64 v[28:29], v[16:17], 3, s[8:9]
	;; [unrolled: 2-line block ×4, first 2 shown]
	global_load_dwordx2 v[24:25], v[24:25], off
	v_mov_b32_e32 v21, v17
	global_load_dwordx2 v[28:29], v[28:29], off
	s_nop 0
	global_load_dwordx2 v[34:35], v[32:33], off
	global_load_dwordx2 v[36:37], v[30:31], off
	v_mov_b32_e32 v15, v17
	v_lshl_add_u64 v[26:27], v[14:15], 3, s[8:9]
	v_add_u32_e32 v18, 8, v18
	v_cmp_ge_i32_e32 vcc, v18, v22
	s_or_b64 s[14:15], vcc, s[14:15]
	s_waitcnt vmcnt(4)
	v_subrev_u32_e32 v1, s12, v1
	v_mul_lo_u32 v20, v1, 7
	v_add_u32_e32 v16, 1, v20
	v_lshl_add_u64 v[32:33], v[16:17], 3, s[10:11]
	v_add_u32_e32 v16, -16, v14
	v_lshl_add_u64 v[38:39], v[16:17], 3, s[8:9]
	v_add_u32_e32 v16, -15, v14
	;; [unrolled: 2-line block ×3, first 2 shown]
	v_lshl_add_u64 v[42:43], v[16:17], 3, s[8:9]
	v_add_u32_e32 v16, 2, v20
	v_lshl_add_u64 v[30:31], v[20:21], 3, s[10:11]
	v_lshl_add_u64 v[44:45], v[16:17], 3, s[10:11]
	v_add_u32_e32 v16, -13, v14
	global_load_dwordx2 v[30:31], v[30:31], off
	s_nop 0
	global_load_dwordx2 v[32:33], v[32:33], off
	s_waitcnt vmcnt(1)
	v_pk_fma_f32 v[12:13], v[24:25], v[30:31], v[12:13] op_sel_hi:[1,0,1]
	global_load_dwordx2 v[38:39], v[38:39], off
	v_pk_fma_f32 v[10:11], v[28:29], v[30:31], v[10:11] op_sel_hi:[1,0,1]
	global_load_dwordx2 v[40:41], v[40:41], off
	s_nop 0
	global_load_dwordx2 v[46:47], v[42:43], off
	global_load_dwordx2 v[48:49], v[44:45], off
	v_lshl_add_u64 v[42:43], v[16:17], 3, s[8:9]
	v_add_u32_e32 v16, -12, v14
	v_lshl_add_u64 v[44:45], v[16:17], 3, s[8:9]
	v_add_u32_e32 v16, -11, v14
	v_lshl_add_u64 v[50:51], v[16:17], 3, s[8:9]
	v_add_u32_e32 v16, 3, v20
	v_lshl_add_u64 v[52:53], v[16:17], 3, s[10:11]
	v_add_u32_e32 v16, -10, v14
	global_load_dwordx2 v[42:43], v[42:43], off
	s_nop 0
	global_load_dwordx2 v[54:55], v[50:51], off
	global_load_dwordx2 v[56:57], v[44:45], off
	global_load_dwordx2 v[58:59], v[52:53], off
	v_lshl_add_u64 v[44:45], v[16:17], 3, s[8:9]
	v_add_u32_e32 v16, -9, v14
	v_lshl_add_u64 v[50:51], v[16:17], 3, s[8:9]
	v_add_u32_e32 v16, -8, v14
	v_lshl_add_u64 v[52:53], v[16:17], 3, s[8:9]
	v_add_u32_e32 v16, 4, v20
	v_lshl_add_u64 v[60:61], v[16:17], 3, s[10:11]
	v_add_u32_e32 v16, -7, v14
	global_load_dwordx2 v[44:45], v[44:45], off
	s_nop 0
	global_load_dwordx2 v[62:63], v[52:53], off
	;; [unrolled: 13-line block ×3, first 2 shown]
	global_load_dwordx2 v[72:73], v[52:53], off
	global_load_dwordx2 v[74:75], v[68:69], off
	v_lshl_add_u64 v[52:53], v[16:17], 3, s[8:9]
	v_add_u32_e32 v16, -3, v14
	v_lshl_add_u64 v[60:61], v[16:17], 3, s[8:9]
	v_add_u32_e32 v16, -2, v14
	v_lshl_add_u64 v[68:69], v[16:17], 3, s[8:9]
	v_add_u32_e32 v16, 6, v20
	global_load_dwordx2 v[52:53], v[52:53], off
	v_lshl_add_u64 v[20:21], v[16:17], 3, s[10:11]
	v_add_u32_e32 v16, -1, v14
	global_load_dwordx2 v[76:77], v[68:69], off
	global_load_dwordx2 v[78:79], v[60:61], off
	;; [unrolled: 1-line block ×3, first 2 shown]
	v_lshl_add_u64 v[20:21], v[16:17], 3, s[8:9]
	global_load_dwordx2 v[60:61], v[20:21], off
	global_load_dwordx2 v[68:69], v[26:27], off
	v_pk_fma_f32 v[8:9], v[36:37], v[30:31], v[8:9] op_sel_hi:[1,0,1]
	v_pk_fma_f32 v[12:13], v[24:25], v[30:31], v[12:13] op_sel:[1,1,0] op_sel_hi:[0,1,1] neg_lo:[1,0,0]
	v_pk_fma_f32 v[10:11], v[28:29], v[30:31], v[10:11] op_sel:[1,1,0] op_sel_hi:[0,1,1] neg_lo:[1,0,0]
	;; [unrolled: 1-line block ×3, first 2 shown]
	s_waitcnt vmcnt(22)
	v_pk_fma_f32 v[12:13], v[34:35], v[32:33], v[12:13] op_sel_hi:[1,0,1]
	v_add_u32_e32 v14, 0xa8, v14
	v_pk_fma_f32 v[12:13], v[34:35], v[32:33], v[12:13] op_sel:[1,1,0] op_sel_hi:[0,1,1] neg_lo:[1,0,0]
	s_waitcnt vmcnt(21)
	v_pk_fma_f32 v[10:11], v[38:39], v[32:33], v[10:11] op_sel_hi:[1,0,1]
	s_nop 0
	v_pk_fma_f32 v[10:11], v[38:39], v[32:33], v[10:11] op_sel:[1,1,0] op_sel_hi:[0,1,1] neg_lo:[1,0,0]
	s_waitcnt vmcnt(20)
	v_pk_fma_f32 v[8:9], v[40:41], v[32:33], v[8:9] op_sel_hi:[1,0,1]
	s_waitcnt vmcnt(18)
	v_pk_fma_f32 v[12:13], v[46:47], v[48:49], v[12:13] op_sel_hi:[1,0,1]
	v_pk_fma_f32 v[8:9], v[40:41], v[32:33], v[8:9] op_sel:[1,1,0] op_sel_hi:[0,1,1] neg_lo:[1,0,0]
	v_pk_fma_f32 v[12:13], v[46:47], v[48:49], v[12:13] op_sel:[1,1,0] op_sel_hi:[0,1,1] neg_lo:[1,0,0]
	s_waitcnt vmcnt(17)
	v_pk_fma_f32 v[10:11], v[42:43], v[48:49], v[10:11] op_sel_hi:[1,0,1]
	s_waitcnt vmcnt(15)
	v_pk_fma_f32 v[8:9], v[56:57], v[48:49], v[8:9] op_sel_hi:[1,0,1]
	v_pk_fma_f32 v[10:11], v[42:43], v[48:49], v[10:11] op_sel:[1,1,0] op_sel_hi:[0,1,1] neg_lo:[1,0,0]
	v_pk_fma_f32 v[8:9], v[56:57], v[48:49], v[8:9] op_sel:[1,1,0] op_sel_hi:[0,1,1] neg_lo:[1,0,0]
	s_waitcnt vmcnt(14)
	v_pk_fma_f32 v[12:13], v[54:55], v[58:59], v[12:13] op_sel_hi:[1,0,1]
	s_waitcnt vmcnt(13)
	v_pk_fma_f32 v[10:11], v[44:45], v[58:59], v[10:11] op_sel_hi:[1,0,1]
	;; [unrolled: 2-line block ×3, first 2 shown]
	v_pk_fma_f32 v[12:13], v[54:55], v[58:59], v[12:13] op_sel:[1,1,0] op_sel_hi:[0,1,1] neg_lo:[1,0,0]
	v_pk_fma_f32 v[10:11], v[44:45], v[58:59], v[10:11] op_sel:[1,1,0] op_sel_hi:[0,1,1] neg_lo:[1,0,0]
	;; [unrolled: 1-line block ×3, first 2 shown]
	s_waitcnt vmcnt(10)
	v_pk_fma_f32 v[12:13], v[62:63], v[66:67], v[12:13] op_sel_hi:[1,0,1]
	s_waitcnt vmcnt(9)
	v_pk_fma_f32 v[10:11], v[50:51], v[66:67], v[10:11] op_sel_hi:[1,0,1]
	;; [unrolled: 2-line block ×3, first 2 shown]
	v_pk_fma_f32 v[12:13], v[62:63], v[66:67], v[12:13] op_sel:[1,1,0] op_sel_hi:[0,1,1] neg_lo:[1,0,0]
	v_pk_fma_f32 v[10:11], v[50:51], v[66:67], v[10:11] op_sel:[1,1,0] op_sel_hi:[0,1,1] neg_lo:[1,0,0]
	v_pk_fma_f32 v[8:9], v[72:73], v[66:67], v[8:9] op_sel:[1,1,0] op_sel_hi:[0,1,1] neg_lo:[1,0,0]
	s_waitcnt vmcnt(6)
	v_pk_fma_f32 v[12:13], v[70:71], v[74:75], v[12:13] op_sel_hi:[1,0,1]
	s_waitcnt vmcnt(5)
	v_pk_fma_f32 v[10:11], v[52:53], v[74:75], v[10:11] op_sel_hi:[1,0,1]
	v_pk_fma_f32 v[12:13], v[70:71], v[74:75], v[12:13] op_sel:[1,1,0] op_sel_hi:[0,1,1] neg_lo:[1,0,0]
	s_waitcnt vmcnt(3)
	v_pk_fma_f32 v[8:9], v[78:79], v[74:75], v[8:9] op_sel_hi:[1,0,1]
	v_pk_fma_f32 v[10:11], v[52:53], v[74:75], v[10:11] op_sel:[1,1,0] op_sel_hi:[0,1,1] neg_lo:[1,0,0]
	v_pk_fma_f32 v[8:9], v[78:79], v[74:75], v[8:9] op_sel:[1,1,0] op_sel_hi:[0,1,1] neg_lo:[1,0,0]
	s_waitcnt vmcnt(2)
	v_pk_fma_f32 v[12:13], v[76:77], v[80:81], v[12:13] op_sel_hi:[1,0,1]
	s_waitcnt vmcnt(1)
	v_pk_fma_f32 v[10:11], v[60:61], v[80:81], v[10:11] op_sel_hi:[1,0,1]
	;; [unrolled: 2-line block ×3, first 2 shown]
	v_pk_fma_f32 v[12:13], v[76:77], v[80:81], v[12:13] op_sel:[1,1,0] op_sel_hi:[0,1,1] neg_lo:[1,0,0]
	v_pk_fma_f32 v[10:11], v[60:61], v[80:81], v[10:11] op_sel:[1,1,0] op_sel_hi:[0,1,1] neg_lo:[1,0,0]
	v_pk_fma_f32 v[8:9], v[68:69], v[80:81], v[8:9] op_sel:[1,1,0] op_sel_hi:[0,1,1] neg_lo:[1,0,0]
	s_andn2_b64 exec, exec, s[14:15]
	s_cbranch_execnz .LBB100_13
; %bb.14:
	s_or_b64 exec, exec, s[14:15]
.LBB100_15:
	s_or_b64 exec, exec, s[4:5]
	s_cbranch_execz .LBB100_19
	s_branch .LBB100_24
.LBB100_16:
	v_mov_b64_e32 v[4:5], s[8:9]
	flat_load_dword v3, v[4:5] offset:4
	s_and_b64 vcc, exec, s[4:5]
	v_mov_b32_e32 v4, s6
	s_cbranch_vccnz .LBB100_4
.LBB100_17:
	v_mov_b64_e32 v[4:5], s[6:7]
	flat_load_dword v4, v[4:5]
	s_and_b64 vcc, exec, s[4:5]
	v_mov_b32_e32 v5, s7
	s_cbranch_vccz .LBB100_5
	s_branch .LBB100_6
.LBB100_18:
                                        ; implicit-def: $vgpr13
                                        ; implicit-def: $vgpr9
                                        ; implicit-def: $vgpr11
.LBB100_19:
	v_mov_b32_e32 v13, 0
	v_mov_b32_e32 v12, v13
	;; [unrolled: 1-line block ×6, first 2 shown]
	s_and_saveexec_b64 s[4:5], s[2:3]
	s_cbranch_execz .LBB100_23
; %bb.20:
	v_mad_u64_u32 v[14:15], s[2:3], v0, 21, 20
	v_mov_b32_e32 v17, 0
	s_mov_b64 s[2:3], 0
	v_mov_b32_e32 v8, v17
	v_mov_b32_e32 v9, v17
	;; [unrolled: 1-line block ×6, first 2 shown]
.LBB100_21:                             ; =>This Inner Loop Header: Depth=1
	v_ashrrev_i32_e32 v1, 31, v0
	v_lshl_add_u64 v[20:21], v[0:1], 2, s[6:7]
	global_load_dword v1, v[20:21], off
	v_subrev_u32_e32 v16, 20, v14
	v_add_u32_e32 v18, -13, v14
	v_mov_b32_e32 v19, v17
	v_add_u32_e32 v20, -6, v14
	v_mov_b32_e32 v25, v17
	v_mov_b32_e32 v21, v17
	v_lshl_add_u64 v[26:27], v[16:17], 3, s[8:9]
	v_lshl_add_u64 v[18:19], v[18:19], 3, s[8:9]
	v_subrev_u32_e32 v16, 19, v14
	v_lshl_add_u64 v[20:21], v[20:21], 3, s[8:9]
	v_lshl_add_u64 v[30:31], v[16:17], 3, s[8:9]
	global_load_dwordx2 v[32:33], v[26:27], off
	global_load_dwordx2 v[34:35], v[18:19], off
	;; [unrolled: 1-line block ×4, first 2 shown]
	v_mov_b32_e32 v15, v17
	v_lshl_add_u64 v[28:29], v[14:15], 3, s[8:9]
	v_add_u32_e32 v0, 8, v0
	v_cmp_ge_i32_e32 vcc, v0, v22
	s_or_b64 s[2:3], vcc, s[2:3]
	s_waitcnt vmcnt(4)
	v_subrev_u32_e32 v1, s12, v1
	v_mul_lo_u32 v24, v1, 7
	v_lshl_add_u64 v[18:19], v[24:25], 3, s[10:11]
	global_load_dwordx2 v[18:19], v[18:19], off
	v_add_u32_e32 v16, 1, v24
	v_lshl_add_u64 v[20:21], v[16:17], 3, s[10:11]
	global_load_dwordx2 v[20:21], v[20:21], off
	v_add_u32_e32 v16, -12, v14
	v_lshl_add_u64 v[26:27], v[16:17], 3, s[8:9]
	v_add_u32_e32 v16, -5, v14
	v_lshl_add_u64 v[30:31], v[16:17], 3, s[8:9]
	v_subrev_u32_e32 v16, 18, v14
	v_lshl_add_u64 v[40:41], v[16:17], 3, s[8:9]
	v_add_u32_e32 v16, 2, v24
	v_lshl_add_u64 v[42:43], v[16:17], 3, s[10:11]
	v_add_u32_e32 v16, -11, v14
	global_load_dwordx2 v[26:27], v[26:27], off
	s_waitcnt vmcnt(2)
	v_pk_fma_f32 v[12:13], v[32:33], v[18:19], v[12:13] op_sel_hi:[1,0,1]
	global_load_dwordx2 v[30:31], v[30:31], off
	s_nop 0
	global_load_dwordx2 v[44:45], v[40:41], off
	global_load_dwordx2 v[46:47], v[42:43], off
	v_lshl_add_u64 v[40:41], v[16:17], 3, s[8:9]
	v_add_u32_e32 v16, -4, v14
	v_lshl_add_u64 v[42:43], v[16:17], 3, s[8:9]
	v_subrev_u32_e32 v16, 17, v14
	v_lshl_add_u64 v[48:49], v[16:17], 3, s[8:9]
	v_add_u32_e32 v16, 3, v24
	v_lshl_add_u64 v[50:51], v[16:17], 3, s[10:11]
	v_add_u32_e32 v16, -10, v14
	global_load_dwordx2 v[40:41], v[40:41], off
	s_nop 0
	global_load_dwordx2 v[52:53], v[48:49], off
	global_load_dwordx2 v[54:55], v[42:43], off
	global_load_dwordx2 v[56:57], v[50:51], off
	v_lshl_add_u64 v[42:43], v[16:17], 3, s[8:9]
	v_add_u32_e32 v16, -3, v14
	v_lshl_add_u64 v[48:49], v[16:17], 3, s[8:9]
	v_add_u32_e32 v16, -16, v14
	v_lshl_add_u64 v[50:51], v[16:17], 3, s[8:9]
	v_add_u32_e32 v16, 4, v24
	v_lshl_add_u64 v[58:59], v[16:17], 3, s[10:11]
	v_add_u32_e32 v16, -9, v14
	global_load_dwordx2 v[42:43], v[42:43], off
	s_nop 0
	global_load_dwordx2 v[60:61], v[50:51], off
	global_load_dwordx2 v[62:63], v[48:49], off
	global_load_dwordx2 v[64:65], v[58:59], off
	v_lshl_add_u64 v[48:49], v[16:17], 3, s[8:9]
	v_add_u32_e32 v16, -2, v14
	v_lshl_add_u64 v[50:51], v[16:17], 3, s[8:9]
	v_add_u32_e32 v16, -15, v14
	;; [unrolled: 13-line block ×3, first 2 shown]
	v_lshl_add_u64 v[66:67], v[16:17], 3, s[8:9]
	v_add_u32_e32 v16, 6, v24
	global_load_dwordx2 v[50:51], v[50:51], off
	v_lshl_add_u64 v[24:25], v[16:17], 3, s[10:11]
	v_add_u32_e32 v16, -7, v14
	global_load_dwordx2 v[74:75], v[66:67], off
	global_load_dwordx2 v[76:77], v[58:59], off
	;; [unrolled: 1-line block ×3, first 2 shown]
	v_lshl_add_u64 v[24:25], v[16:17], 3, s[8:9]
	v_pk_fma_f32 v[12:13], v[32:33], v[18:19], v[12:13] op_sel:[1,1,0] op_sel_hi:[0,1,1] neg_lo:[1,0,0]
	global_load_dwordx2 v[32:33], v[24:25], off
	global_load_dwordx2 v[58:59], v[28:29], off
	v_pk_fma_f32 v[10:11], v[34:35], v[18:19], v[10:11] op_sel_hi:[1,0,1]
	v_pk_fma_f32 v[8:9], v[38:39], v[18:19], v[8:9] op_sel_hi:[1,0,1]
	v_pk_fma_f32 v[10:11], v[34:35], v[18:19], v[10:11] op_sel:[1,1,0] op_sel_hi:[0,1,1] neg_lo:[1,0,0]
	v_pk_fma_f32 v[8:9], v[38:39], v[18:19], v[8:9] op_sel:[1,1,0] op_sel_hi:[0,1,1] neg_lo:[1,0,0]
	s_waitcnt vmcnt(22)
	v_pk_fma_f32 v[12:13], v[36:37], v[20:21], v[12:13] op_sel_hi:[1,0,1]
	s_waitcnt vmcnt(21)
	v_pk_fma_f32 v[10:11], v[26:27], v[20:21], v[10:11] op_sel_hi:[1,0,1]
	v_pk_fma_f32 v[12:13], v[36:37], v[20:21], v[12:13] op_sel:[1,1,0] op_sel_hi:[0,1,1] neg_lo:[1,0,0]
	v_pk_fma_f32 v[10:11], v[26:27], v[20:21], v[10:11] op_sel:[1,1,0] op_sel_hi:[0,1,1] neg_lo:[1,0,0]
	v_add_u32_e32 v14, 0xa8, v14
	s_waitcnt vmcnt(20)
	v_pk_fma_f32 v[8:9], v[30:31], v[20:21], v[8:9] op_sel_hi:[1,0,1]
	s_nop 0
	v_pk_fma_f32 v[8:9], v[30:31], v[20:21], v[8:9] op_sel:[1,1,0] op_sel_hi:[0,1,1] neg_lo:[1,0,0]
	s_waitcnt vmcnt(18)
	v_pk_fma_f32 v[12:13], v[44:45], v[46:47], v[12:13] op_sel_hi:[1,0,1]
	s_waitcnt vmcnt(17)
	v_pk_fma_f32 v[10:11], v[40:41], v[46:47], v[10:11] op_sel_hi:[1,0,1]
	s_waitcnt vmcnt(15)
	v_pk_fma_f32 v[8:9], v[54:55], v[46:47], v[8:9] op_sel_hi:[1,0,1]
	v_pk_fma_f32 v[12:13], v[44:45], v[46:47], v[12:13] op_sel:[1,1,0] op_sel_hi:[0,1,1] neg_lo:[1,0,0]
	v_pk_fma_f32 v[10:11], v[40:41], v[46:47], v[10:11] op_sel:[1,1,0] op_sel_hi:[0,1,1] neg_lo:[1,0,0]
	v_pk_fma_f32 v[8:9], v[54:55], v[46:47], v[8:9] op_sel:[1,1,0] op_sel_hi:[0,1,1] neg_lo:[1,0,0]
	s_waitcnt vmcnt(14)
	v_pk_fma_f32 v[12:13], v[52:53], v[56:57], v[12:13] op_sel_hi:[1,0,1]
	s_waitcnt vmcnt(13)
	v_pk_fma_f32 v[10:11], v[42:43], v[56:57], v[10:11] op_sel_hi:[1,0,1]
	s_waitcnt vmcnt(11)
	v_pk_fma_f32 v[8:9], v[62:63], v[56:57], v[8:9] op_sel_hi:[1,0,1]
	v_pk_fma_f32 v[12:13], v[52:53], v[56:57], v[12:13] op_sel:[1,1,0] op_sel_hi:[0,1,1] neg_lo:[1,0,0]
	v_pk_fma_f32 v[10:11], v[42:43], v[56:57], v[10:11] op_sel:[1,1,0] op_sel_hi:[0,1,1] neg_lo:[1,0,0]
	;; [unrolled: 9-line block ×3, first 2 shown]
	v_pk_fma_f32 v[8:9], v[70:71], v[64:65], v[8:9] op_sel:[1,1,0] op_sel_hi:[0,1,1] neg_lo:[1,0,0]
	s_waitcnt vmcnt(6)
	v_pk_fma_f32 v[12:13], v[68:69], v[72:73], v[12:13] op_sel_hi:[1,0,1]
	s_waitcnt vmcnt(5)
	v_pk_fma_f32 v[10:11], v[50:51], v[72:73], v[10:11] op_sel_hi:[1,0,1]
	v_pk_fma_f32 v[12:13], v[68:69], v[72:73], v[12:13] op_sel:[1,1,0] op_sel_hi:[0,1,1] neg_lo:[1,0,0]
	s_waitcnt vmcnt(3)
	v_pk_fma_f32 v[8:9], v[76:77], v[72:73], v[8:9] op_sel_hi:[1,0,1]
	v_pk_fma_f32 v[10:11], v[50:51], v[72:73], v[10:11] op_sel:[1,1,0] op_sel_hi:[0,1,1] neg_lo:[1,0,0]
	v_pk_fma_f32 v[8:9], v[76:77], v[72:73], v[8:9] op_sel:[1,1,0] op_sel_hi:[0,1,1] neg_lo:[1,0,0]
	s_waitcnt vmcnt(2)
	v_pk_fma_f32 v[12:13], v[74:75], v[78:79], v[12:13] op_sel_hi:[1,0,1]
	s_waitcnt vmcnt(1)
	v_pk_fma_f32 v[10:11], v[32:33], v[78:79], v[10:11] op_sel_hi:[1,0,1]
	s_waitcnt vmcnt(0)
	v_pk_fma_f32 v[8:9], v[58:59], v[78:79], v[8:9] op_sel_hi:[1,0,1]
	v_pk_fma_f32 v[12:13], v[74:75], v[78:79], v[12:13] op_sel:[1,1,0] op_sel_hi:[0,1,1] neg_lo:[1,0,0]
	v_pk_fma_f32 v[10:11], v[32:33], v[78:79], v[10:11] op_sel:[1,1,0] op_sel_hi:[0,1,1] neg_lo:[1,0,0]
	;; [unrolled: 1-line block ×3, first 2 shown]
	s_andn2_b64 exec, exec, s[2:3]
	s_cbranch_execnz .LBB100_21
; %bb.22:
	s_or_b64 exec, exec, s[2:3]
.LBB100_23:
	s_or_b64 exec, exec, s[4:5]
.LBB100_24:
	v_mov_b32_dpp v0, v12 row_shr:1 row_mask:0xf bank_mask:0xf
	v_add_f32_e32 v0, v12, v0
	v_mov_b32_dpp v12, v13 row_shr:1 row_mask:0xf bank_mask:0xf
	v_add_f32_e32 v12, v13, v12
	;; [unrolled: 2-line block ×5, first 2 shown]
	v_mov_b32_dpp v1, v0 row_shr:4 row_mask:0xf bank_mask:0xe
	v_mov_b32_dpp v14, v13 row_shr:4 row_mask:0xf bank_mask:0xe
	v_mov_b32_dpp v12, v10 row_shr:2 row_mask:0xf bank_mask:0xf
	v_add_f32_e32 v10, v10, v12
	v_cmp_eq_u32_e32 vcc, 7, v7
	v_mov_b32_dpp v12, v11 row_shr:1 row_mask:0xf bank_mask:0xf
	v_add_f32_e32 v11, v11, v12
	v_mov_b32_dpp v15, v10 row_shr:4 row_mask:0xf bank_mask:0xe
	s_nop 0
	v_mov_b32_dpp v12, v11 row_shr:2 row_mask:0xf bank_mask:0xf
	v_add_f32_e32 v11, v11, v12
	s_nop 0
	v_mov_b32_dpp v12, v8 row_shr:1 row_mask:0xf bank_mask:0xf
	v_add_f32_e32 v8, v8, v12
	v_mov_b32_dpp v17, v11 row_shr:4 row_mask:0xf bank_mask:0xe
	s_nop 0
	v_mov_b32_dpp v12, v8 row_shr:2 row_mask:0xf bank_mask:0xf
	v_add_f32_e32 v8, v8, v12
	s_nop 0
	;; [unrolled: 7-line block ×3, first 2 shown]
	v_mov_b32_dpp v19, v9 row_shr:4 row_mask:0xf bank_mask:0xe
	s_and_b64 exec, exec, vcc
	s_cbranch_execz .LBB100_29
; %bb.25:
	s_load_dwordx2 s[2:3], s[0:1], 0x38
	v_add_f32_e32 v12, v0, v1
	v_and_b32_e32 v1, 0x7fffffff, v4
	v_cmp_eq_u32_e32 vcc, 0, v1
	v_cmp_eq_f32_e64 s[0:1], 0, v5
	v_add_f32_e32 v16, v13, v14
	v_add_f32_e32 v10, v10, v15
	;; [unrolled: 1-line block ×5, first 2 shown]
	s_and_b64 s[0:1], vcc, s[0:1]
	s_and_saveexec_b64 s[4:5], s[0:1]
	s_xor_b64 s[0:1], exec, s[4:5]
	s_cbranch_execz .LBB100_27
; %bb.26:
	v_lshl_add_u32 v4, v6, 1, v6
	v_xor_b32_e32 v18, 0x80000000, v3
	v_ashrrev_i32_e32 v5, 31, v4
	v_mov_b32_e32 v19, v2
	s_waitcnt lgkmcnt(0)
	v_lshl_add_u64 v[20:21], v[4:5], 3, s[2:3]
	v_pk_mul_f32 v[4:5], v[16:17], v[18:19] op_sel_hi:[0,1]
	v_pk_mul_f32 v[6:7], v[14:15], v[18:19] op_sel_hi:[0,1]
	v_pk_fma_f32 v[4:5], v[2:3], v[12:13], v[4:5] op_sel_hi:[1,0,1]
	v_pk_fma_f32 v[6:7], v[2:3], v[10:11], v[6:7] op_sel_hi:[1,0,1]
	global_store_dwordx4 v[20:21], v[4:7], off
                                        ; implicit-def: $vgpr6
                                        ; implicit-def: $vgpr12
                                        ; implicit-def: $vgpr16
                                        ; implicit-def: $vgpr10
                                        ; implicit-def: $vgpr14
	s_nop 1
	v_pk_mul_f32 v[4:5], v[8:9], v[18:19] op_sel_hi:[0,1]
	v_pk_fma_f32 v[0:1], v[2:3], v[0:1], v[4:5] op_sel_hi:[1,0,1]
	global_store_dwordx2 v[20:21], v[0:1], off offset:16
                                        ; implicit-def: $vgpr3
                                        ; implicit-def: $vgpr4
                                        ; implicit-def: $vgpr0
                                        ; implicit-def: $vgpr8
.LBB100_27:
	s_andn2_saveexec_b64 s[0:1], s[0:1]
	s_cbranch_execz .LBB100_29
; %bb.28:
	v_lshl_add_u32 v6, v6, 1, v6
	v_ashrrev_i32_e32 v7, 31, v6
	s_waitcnt lgkmcnt(0)
	v_lshl_add_u64 v[6:7], v[6:7], 3, s[2:3]
	global_load_dwordx4 v[18:21], v[6:7], off
	global_load_dwordx2 v[22:23], v[6:7], off offset:16
	v_xor_b32_e32 v24, 0x80000000, v3
	v_mov_b32_e32 v25, v2
	v_pk_mul_f32 v[16:17], v[16:17], v[24:25] op_sel_hi:[0,1]
	v_pk_mul_f32 v[14:15], v[14:15], v[24:25] op_sel_hi:[0,1]
	;; [unrolled: 1-line block ×3, first 2 shown]
	v_pk_fma_f32 v[12:13], v[2:3], v[12:13], v[16:17] op_sel_hi:[1,0,1]
	v_pk_fma_f32 v[10:11], v[2:3], v[10:11], v[14:15] op_sel_hi:[1,0,1]
	v_xor_b32_e32 v26, 0x80000000, v5
	v_mov_b32_e32 v27, v4
	v_pk_fma_f32 v[0:1], v[2:3], v[0:1], v[8:9] op_sel_hi:[1,0,1]
	s_waitcnt vmcnt(1)
	v_pk_fma_f32 v[2:3], v[4:5], v[18:19], v[12:13] op_sel_hi:[1,0,1]
	v_pk_fma_f32 v[8:9], v[4:5], v[20:21], v[10:11] op_sel_hi:[1,0,1]
	v_mov_b32_e32 v10, v21
	s_waitcnt vmcnt(0)
	v_pk_fma_f32 v[4:5], v[4:5], v[22:23], v[0:1] op_sel_hi:[1,0,1]
	v_pk_fma_f32 v[0:1], v[26:27], v[18:19], v[2:3] op_sel:[0,1,0]
	v_pk_fma_f32 v[2:3], v[26:27], v[10:11], v[8:9] op_sel_hi:[1,0,1]
	v_pk_fma_f32 v[4:5], v[26:27], v[22:23], v[4:5] op_sel:[0,1,0]
	global_store_dwordx4 v[6:7], v[0:3], off
	global_store_dwordx2 v[6:7], v[4:5], off offset:16
.LBB100_29:
	s_endpgm
	.section	.rodata,"a",@progbits
	.p2align	6, 0x0
	.amdhsa_kernel _ZN9rocsparseL19gebsrmvn_3xn_kernelILj128ELj7ELj8E21rocsparse_complex_numIfEEEvi20rocsparse_direction_NS_24const_host_device_scalarIT2_EEPKiS8_PKS5_SA_S6_PS5_21rocsparse_index_base_b
		.amdhsa_group_segment_fixed_size 0
		.amdhsa_private_segment_fixed_size 0
		.amdhsa_kernarg_size 72
		.amdhsa_user_sgpr_count 2
		.amdhsa_user_sgpr_dispatch_ptr 0
		.amdhsa_user_sgpr_queue_ptr 0
		.amdhsa_user_sgpr_kernarg_segment_ptr 1
		.amdhsa_user_sgpr_dispatch_id 0
		.amdhsa_user_sgpr_kernarg_preload_length 0
		.amdhsa_user_sgpr_kernarg_preload_offset 0
		.amdhsa_user_sgpr_private_segment_size 0
		.amdhsa_uses_dynamic_stack 0
		.amdhsa_enable_private_segment 0
		.amdhsa_system_sgpr_workgroup_id_x 1
		.amdhsa_system_sgpr_workgroup_id_y 0
		.amdhsa_system_sgpr_workgroup_id_z 0
		.amdhsa_system_sgpr_workgroup_info 0
		.amdhsa_system_vgpr_workitem_id 0
		.amdhsa_next_free_vgpr 82
		.amdhsa_next_free_sgpr 16
		.amdhsa_accum_offset 84
		.amdhsa_reserve_vcc 1
		.amdhsa_float_round_mode_32 0
		.amdhsa_float_round_mode_16_64 0
		.amdhsa_float_denorm_mode_32 3
		.amdhsa_float_denorm_mode_16_64 3
		.amdhsa_dx10_clamp 1
		.amdhsa_ieee_mode 1
		.amdhsa_fp16_overflow 0
		.amdhsa_tg_split 0
		.amdhsa_exception_fp_ieee_invalid_op 0
		.amdhsa_exception_fp_denorm_src 0
		.amdhsa_exception_fp_ieee_div_zero 0
		.amdhsa_exception_fp_ieee_overflow 0
		.amdhsa_exception_fp_ieee_underflow 0
		.amdhsa_exception_fp_ieee_inexact 0
		.amdhsa_exception_int_div_zero 0
	.end_amdhsa_kernel
	.section	.text._ZN9rocsparseL19gebsrmvn_3xn_kernelILj128ELj7ELj8E21rocsparse_complex_numIfEEEvi20rocsparse_direction_NS_24const_host_device_scalarIT2_EEPKiS8_PKS5_SA_S6_PS5_21rocsparse_index_base_b,"axG",@progbits,_ZN9rocsparseL19gebsrmvn_3xn_kernelILj128ELj7ELj8E21rocsparse_complex_numIfEEEvi20rocsparse_direction_NS_24const_host_device_scalarIT2_EEPKiS8_PKS5_SA_S6_PS5_21rocsparse_index_base_b,comdat
.Lfunc_end100:
	.size	_ZN9rocsparseL19gebsrmvn_3xn_kernelILj128ELj7ELj8E21rocsparse_complex_numIfEEEvi20rocsparse_direction_NS_24const_host_device_scalarIT2_EEPKiS8_PKS5_SA_S6_PS5_21rocsparse_index_base_b, .Lfunc_end100-_ZN9rocsparseL19gebsrmvn_3xn_kernelILj128ELj7ELj8E21rocsparse_complex_numIfEEEvi20rocsparse_direction_NS_24const_host_device_scalarIT2_EEPKiS8_PKS5_SA_S6_PS5_21rocsparse_index_base_b
                                        ; -- End function
	.section	.AMDGPU.csdata,"",@progbits
; Kernel info:
; codeLenInByte = 3260
; NumSgprs: 22
; NumVgprs: 82
; NumAgprs: 0
; TotalNumVgprs: 82
; ScratchSize: 0
; MemoryBound: 0
; FloatMode: 240
; IeeeMode: 1
; LDSByteSize: 0 bytes/workgroup (compile time only)
; SGPRBlocks: 2
; VGPRBlocks: 10
; NumSGPRsForWavesPerEU: 22
; NumVGPRsForWavesPerEU: 82
; AccumOffset: 84
; Occupancy: 5
; WaveLimiterHint : 1
; COMPUTE_PGM_RSRC2:SCRATCH_EN: 0
; COMPUTE_PGM_RSRC2:USER_SGPR: 2
; COMPUTE_PGM_RSRC2:TRAP_HANDLER: 0
; COMPUTE_PGM_RSRC2:TGID_X_EN: 1
; COMPUTE_PGM_RSRC2:TGID_Y_EN: 0
; COMPUTE_PGM_RSRC2:TGID_Z_EN: 0
; COMPUTE_PGM_RSRC2:TIDIG_COMP_CNT: 0
; COMPUTE_PGM_RSRC3_GFX90A:ACCUM_OFFSET: 20
; COMPUTE_PGM_RSRC3_GFX90A:TG_SPLIT: 0
	.section	.text._ZN9rocsparseL19gebsrmvn_3xn_kernelILj128ELj7ELj16E21rocsparse_complex_numIfEEEvi20rocsparse_direction_NS_24const_host_device_scalarIT2_EEPKiS8_PKS5_SA_S6_PS5_21rocsparse_index_base_b,"axG",@progbits,_ZN9rocsparseL19gebsrmvn_3xn_kernelILj128ELj7ELj16E21rocsparse_complex_numIfEEEvi20rocsparse_direction_NS_24const_host_device_scalarIT2_EEPKiS8_PKS5_SA_S6_PS5_21rocsparse_index_base_b,comdat
	.globl	_ZN9rocsparseL19gebsrmvn_3xn_kernelILj128ELj7ELj16E21rocsparse_complex_numIfEEEvi20rocsparse_direction_NS_24const_host_device_scalarIT2_EEPKiS8_PKS5_SA_S6_PS5_21rocsparse_index_base_b ; -- Begin function _ZN9rocsparseL19gebsrmvn_3xn_kernelILj128ELj7ELj16E21rocsparse_complex_numIfEEEvi20rocsparse_direction_NS_24const_host_device_scalarIT2_EEPKiS8_PKS5_SA_S6_PS5_21rocsparse_index_base_b
	.p2align	8
	.type	_ZN9rocsparseL19gebsrmvn_3xn_kernelILj128ELj7ELj16E21rocsparse_complex_numIfEEEvi20rocsparse_direction_NS_24const_host_device_scalarIT2_EEPKiS8_PKS5_SA_S6_PS5_21rocsparse_index_base_b,@function
_ZN9rocsparseL19gebsrmvn_3xn_kernelILj128ELj7ELj16E21rocsparse_complex_numIfEEEvi20rocsparse_direction_NS_24const_host_device_scalarIT2_EEPKiS8_PKS5_SA_S6_PS5_21rocsparse_index_base_b: ; @_ZN9rocsparseL19gebsrmvn_3xn_kernelILj128ELj7ELj16E21rocsparse_complex_numIfEEEvi20rocsparse_direction_NS_24const_host_device_scalarIT2_EEPKiS8_PKS5_SA_S6_PS5_21rocsparse_index_base_b
; %bb.0:
	s_load_dwordx2 s[12:13], s[0:1], 0x40
	s_load_dwordx2 s[8:9], s[0:1], 0x8
	;; [unrolled: 1-line block ×3, first 2 shown]
	s_waitcnt lgkmcnt(0)
	s_bitcmp1_b32 s13, 0
	s_cselect_b64 s[4:5], -1, 0
	s_xor_b64 s[10:11], s[4:5], -1
	s_and_b64 vcc, exec, s[4:5]
	v_mov_b32_e32 v2, s8
	s_cbranch_vccnz .LBB101_2
; %bb.1:
	v_mov_b64_e32 v[2:3], s[8:9]
	flat_load_dword v2, v[2:3]
.LBB101_2:
	v_cndmask_b32_e64 v1, 0, 1, s[10:11]
	v_cmp_ne_u32_e64 s[4:5], 1, v1
	s_andn2_b64 vcc, exec, s[10:11]
	v_mov_b32_e32 v3, s9
	s_cbranch_vccz .LBB101_16
; %bb.3:
	s_and_b64 vcc, exec, s[4:5]
	v_mov_b32_e32 v4, s6
	s_cbranch_vccz .LBB101_17
.LBB101_4:
	s_and_b64 vcc, exec, s[4:5]
	v_mov_b32_e32 v5, s7
	s_cbranch_vccnz .LBB101_6
.LBB101_5:
	v_mov_b64_e32 v[6:7], s[6:7]
	flat_load_dword v5, v[6:7] offset:4
.LBB101_6:
	s_waitcnt vmcnt(0) lgkmcnt(0)
	v_and_b32_e32 v1, 0x7fffffff, v2
	v_cmp_eq_u32_e32 vcc, 0, v1
	v_cmp_eq_f32_e64 s[4:5], 0, v3
	s_and_b64 s[8:9], vcc, s[4:5]
	s_mov_b64 s[4:5], -1
	s_and_saveexec_b64 s[6:7], s[8:9]
; %bb.7:
	v_and_b32_e32 v1, 0x7fffffff, v5
	v_cmp_neq_f32_e32 vcc, 1.0, v4
	v_cmp_ne_u32_e64 s[4:5], 0, v1
	s_or_b64 s[4:5], vcc, s[4:5]
	s_orn2_b64 s[4:5], s[4:5], exec
; %bb.8:
	s_or_b64 exec, exec, s[6:7]
	s_and_saveexec_b64 s[6:7], s[4:5]
	s_cbranch_execz .LBB101_29
; %bb.9:
	s_load_dwordx2 s[14:15], s[0:1], 0x0
	v_lshrrev_b32_e32 v1, 4, v0
	v_lshl_or_b32 v6, s2, 3, v1
	s_waitcnt lgkmcnt(0)
	v_cmp_gt_i32_e32 vcc, s14, v6
	s_and_b64 exec, exec, vcc
	s_cbranch_execz .LBB101_29
; %bb.10:
	s_load_dwordx8 s[4:11], s[0:1], 0x10
	v_ashrrev_i32_e32 v7, 31, v6
	s_cmp_lg_u32 s15, 0
	s_waitcnt lgkmcnt(0)
	v_lshl_add_u64 v[8:9], v[6:7], 2, s[4:5]
	global_load_dwordx2 v[8:9], v[8:9], off
	v_and_b32_e32 v7, 15, v0
	s_waitcnt vmcnt(0)
	v_subrev_u32_e32 v0, s12, v8
	v_subrev_u32_e32 v22, s12, v9
	v_add_u32_e32 v0, v0, v7
	v_cmp_lt_i32_e64 s[2:3], v0, v22
	s_cbranch_scc0 .LBB101_18
; %bb.11:
	v_mov_b32_e32 v13, 0
	v_mov_b32_e32 v12, v13
	;; [unrolled: 1-line block ×6, first 2 shown]
	s_and_saveexec_b64 s[4:5], s[2:3]
	s_cbranch_execz .LBB101_15
; %bb.12:
	v_mad_u64_u32 v[14:15], s[14:15], v0, 21, 20
	v_mov_b32_e32 v17, 0
	s_mov_b64 s[14:15], 0
	v_mov_b32_e32 v18, v0
	v_mov_b32_e32 v8, v17
	;; [unrolled: 1-line block ×7, first 2 shown]
.LBB101_13:                             ; =>This Inner Loop Header: Depth=1
	v_ashrrev_i32_e32 v19, 31, v18
	v_lshl_add_u64 v[20:21], v[18:19], 2, s[6:7]
	global_load_dword v1, v[20:21], off
	v_subrev_u32_e32 v16, 20, v14
	v_lshl_add_u64 v[24:25], v[16:17], 3, s[8:9]
	v_subrev_u32_e32 v16, 19, v14
	v_lshl_add_u64 v[28:29], v[16:17], 3, s[8:9]
	;; [unrolled: 2-line block ×4, first 2 shown]
	global_load_dwordx2 v[24:25], v[24:25], off
	v_mov_b32_e32 v21, v17
	global_load_dwordx2 v[28:29], v[28:29], off
	s_nop 0
	global_load_dwordx2 v[34:35], v[32:33], off
	global_load_dwordx2 v[36:37], v[30:31], off
	v_mov_b32_e32 v15, v17
	v_lshl_add_u64 v[26:27], v[14:15], 3, s[8:9]
	v_add_u32_e32 v18, 16, v18
	v_cmp_ge_i32_e32 vcc, v18, v22
	s_or_b64 s[14:15], vcc, s[14:15]
	s_waitcnt vmcnt(4)
	v_subrev_u32_e32 v1, s12, v1
	v_mul_lo_u32 v20, v1, 7
	v_add_u32_e32 v16, 1, v20
	v_lshl_add_u64 v[32:33], v[16:17], 3, s[10:11]
	v_add_u32_e32 v16, -16, v14
	v_lshl_add_u64 v[38:39], v[16:17], 3, s[8:9]
	v_add_u32_e32 v16, -15, v14
	;; [unrolled: 2-line block ×3, first 2 shown]
	v_lshl_add_u64 v[42:43], v[16:17], 3, s[8:9]
	v_add_u32_e32 v16, 2, v20
	v_lshl_add_u64 v[30:31], v[20:21], 3, s[10:11]
	v_lshl_add_u64 v[44:45], v[16:17], 3, s[10:11]
	v_add_u32_e32 v16, -13, v14
	global_load_dwordx2 v[30:31], v[30:31], off
	s_nop 0
	global_load_dwordx2 v[32:33], v[32:33], off
	s_waitcnt vmcnt(1)
	v_pk_fma_f32 v[12:13], v[24:25], v[30:31], v[12:13] op_sel_hi:[1,0,1]
	global_load_dwordx2 v[38:39], v[38:39], off
	v_pk_fma_f32 v[10:11], v[28:29], v[30:31], v[10:11] op_sel_hi:[1,0,1]
	global_load_dwordx2 v[40:41], v[40:41], off
	s_nop 0
	global_load_dwordx2 v[46:47], v[42:43], off
	global_load_dwordx2 v[48:49], v[44:45], off
	v_lshl_add_u64 v[42:43], v[16:17], 3, s[8:9]
	v_add_u32_e32 v16, -12, v14
	v_lshl_add_u64 v[44:45], v[16:17], 3, s[8:9]
	v_add_u32_e32 v16, -11, v14
	v_lshl_add_u64 v[50:51], v[16:17], 3, s[8:9]
	v_add_u32_e32 v16, 3, v20
	v_lshl_add_u64 v[52:53], v[16:17], 3, s[10:11]
	v_add_u32_e32 v16, -10, v14
	global_load_dwordx2 v[42:43], v[42:43], off
	s_nop 0
	global_load_dwordx2 v[54:55], v[50:51], off
	global_load_dwordx2 v[56:57], v[44:45], off
	global_load_dwordx2 v[58:59], v[52:53], off
	v_lshl_add_u64 v[44:45], v[16:17], 3, s[8:9]
	v_add_u32_e32 v16, -9, v14
	v_lshl_add_u64 v[50:51], v[16:17], 3, s[8:9]
	v_add_u32_e32 v16, -8, v14
	v_lshl_add_u64 v[52:53], v[16:17], 3, s[8:9]
	v_add_u32_e32 v16, 4, v20
	v_lshl_add_u64 v[60:61], v[16:17], 3, s[10:11]
	v_add_u32_e32 v16, -7, v14
	global_load_dwordx2 v[44:45], v[44:45], off
	s_nop 0
	global_load_dwordx2 v[62:63], v[52:53], off
	;; [unrolled: 13-line block ×3, first 2 shown]
	global_load_dwordx2 v[72:73], v[52:53], off
	global_load_dwordx2 v[74:75], v[68:69], off
	v_lshl_add_u64 v[52:53], v[16:17], 3, s[8:9]
	v_add_u32_e32 v16, -3, v14
	v_lshl_add_u64 v[60:61], v[16:17], 3, s[8:9]
	v_add_u32_e32 v16, -2, v14
	v_lshl_add_u64 v[68:69], v[16:17], 3, s[8:9]
	v_add_u32_e32 v16, 6, v20
	global_load_dwordx2 v[52:53], v[52:53], off
	v_lshl_add_u64 v[20:21], v[16:17], 3, s[10:11]
	v_add_u32_e32 v16, -1, v14
	global_load_dwordx2 v[76:77], v[68:69], off
	global_load_dwordx2 v[78:79], v[60:61], off
	;; [unrolled: 1-line block ×3, first 2 shown]
	v_lshl_add_u64 v[20:21], v[16:17], 3, s[8:9]
	global_load_dwordx2 v[60:61], v[20:21], off
	global_load_dwordx2 v[68:69], v[26:27], off
	v_pk_fma_f32 v[8:9], v[36:37], v[30:31], v[8:9] op_sel_hi:[1,0,1]
	v_pk_fma_f32 v[12:13], v[24:25], v[30:31], v[12:13] op_sel:[1,1,0] op_sel_hi:[0,1,1] neg_lo:[1,0,0]
	v_pk_fma_f32 v[10:11], v[28:29], v[30:31], v[10:11] op_sel:[1,1,0] op_sel_hi:[0,1,1] neg_lo:[1,0,0]
	;; [unrolled: 1-line block ×3, first 2 shown]
	s_waitcnt vmcnt(22)
	v_pk_fma_f32 v[12:13], v[34:35], v[32:33], v[12:13] op_sel_hi:[1,0,1]
	v_add_u32_e32 v14, 0x150, v14
	v_pk_fma_f32 v[12:13], v[34:35], v[32:33], v[12:13] op_sel:[1,1,0] op_sel_hi:[0,1,1] neg_lo:[1,0,0]
	s_waitcnt vmcnt(21)
	v_pk_fma_f32 v[10:11], v[38:39], v[32:33], v[10:11] op_sel_hi:[1,0,1]
	s_nop 0
	v_pk_fma_f32 v[10:11], v[38:39], v[32:33], v[10:11] op_sel:[1,1,0] op_sel_hi:[0,1,1] neg_lo:[1,0,0]
	s_waitcnt vmcnt(20)
	v_pk_fma_f32 v[8:9], v[40:41], v[32:33], v[8:9] op_sel_hi:[1,0,1]
	s_waitcnt vmcnt(18)
	v_pk_fma_f32 v[12:13], v[46:47], v[48:49], v[12:13] op_sel_hi:[1,0,1]
	v_pk_fma_f32 v[8:9], v[40:41], v[32:33], v[8:9] op_sel:[1,1,0] op_sel_hi:[0,1,1] neg_lo:[1,0,0]
	v_pk_fma_f32 v[12:13], v[46:47], v[48:49], v[12:13] op_sel:[1,1,0] op_sel_hi:[0,1,1] neg_lo:[1,0,0]
	s_waitcnt vmcnt(17)
	v_pk_fma_f32 v[10:11], v[42:43], v[48:49], v[10:11] op_sel_hi:[1,0,1]
	s_waitcnt vmcnt(15)
	v_pk_fma_f32 v[8:9], v[56:57], v[48:49], v[8:9] op_sel_hi:[1,0,1]
	v_pk_fma_f32 v[10:11], v[42:43], v[48:49], v[10:11] op_sel:[1,1,0] op_sel_hi:[0,1,1] neg_lo:[1,0,0]
	v_pk_fma_f32 v[8:9], v[56:57], v[48:49], v[8:9] op_sel:[1,1,0] op_sel_hi:[0,1,1] neg_lo:[1,0,0]
	s_waitcnt vmcnt(14)
	v_pk_fma_f32 v[12:13], v[54:55], v[58:59], v[12:13] op_sel_hi:[1,0,1]
	s_waitcnt vmcnt(13)
	v_pk_fma_f32 v[10:11], v[44:45], v[58:59], v[10:11] op_sel_hi:[1,0,1]
	;; [unrolled: 2-line block ×3, first 2 shown]
	v_pk_fma_f32 v[12:13], v[54:55], v[58:59], v[12:13] op_sel:[1,1,0] op_sel_hi:[0,1,1] neg_lo:[1,0,0]
	v_pk_fma_f32 v[10:11], v[44:45], v[58:59], v[10:11] op_sel:[1,1,0] op_sel_hi:[0,1,1] neg_lo:[1,0,0]
	;; [unrolled: 1-line block ×3, first 2 shown]
	s_waitcnt vmcnt(10)
	v_pk_fma_f32 v[12:13], v[62:63], v[66:67], v[12:13] op_sel_hi:[1,0,1]
	s_waitcnt vmcnt(9)
	v_pk_fma_f32 v[10:11], v[50:51], v[66:67], v[10:11] op_sel_hi:[1,0,1]
	;; [unrolled: 2-line block ×3, first 2 shown]
	v_pk_fma_f32 v[12:13], v[62:63], v[66:67], v[12:13] op_sel:[1,1,0] op_sel_hi:[0,1,1] neg_lo:[1,0,0]
	v_pk_fma_f32 v[10:11], v[50:51], v[66:67], v[10:11] op_sel:[1,1,0] op_sel_hi:[0,1,1] neg_lo:[1,0,0]
	;; [unrolled: 1-line block ×3, first 2 shown]
	s_waitcnt vmcnt(6)
	v_pk_fma_f32 v[12:13], v[70:71], v[74:75], v[12:13] op_sel_hi:[1,0,1]
	s_waitcnt vmcnt(5)
	v_pk_fma_f32 v[10:11], v[52:53], v[74:75], v[10:11] op_sel_hi:[1,0,1]
	v_pk_fma_f32 v[12:13], v[70:71], v[74:75], v[12:13] op_sel:[1,1,0] op_sel_hi:[0,1,1] neg_lo:[1,0,0]
	s_waitcnt vmcnt(3)
	v_pk_fma_f32 v[8:9], v[78:79], v[74:75], v[8:9] op_sel_hi:[1,0,1]
	v_pk_fma_f32 v[10:11], v[52:53], v[74:75], v[10:11] op_sel:[1,1,0] op_sel_hi:[0,1,1] neg_lo:[1,0,0]
	v_pk_fma_f32 v[8:9], v[78:79], v[74:75], v[8:9] op_sel:[1,1,0] op_sel_hi:[0,1,1] neg_lo:[1,0,0]
	s_waitcnt vmcnt(2)
	v_pk_fma_f32 v[12:13], v[76:77], v[80:81], v[12:13] op_sel_hi:[1,0,1]
	s_waitcnt vmcnt(1)
	v_pk_fma_f32 v[10:11], v[60:61], v[80:81], v[10:11] op_sel_hi:[1,0,1]
	;; [unrolled: 2-line block ×3, first 2 shown]
	v_pk_fma_f32 v[12:13], v[76:77], v[80:81], v[12:13] op_sel:[1,1,0] op_sel_hi:[0,1,1] neg_lo:[1,0,0]
	v_pk_fma_f32 v[10:11], v[60:61], v[80:81], v[10:11] op_sel:[1,1,0] op_sel_hi:[0,1,1] neg_lo:[1,0,0]
	v_pk_fma_f32 v[8:9], v[68:69], v[80:81], v[8:9] op_sel:[1,1,0] op_sel_hi:[0,1,1] neg_lo:[1,0,0]
	s_andn2_b64 exec, exec, s[14:15]
	s_cbranch_execnz .LBB101_13
; %bb.14:
	s_or_b64 exec, exec, s[14:15]
.LBB101_15:
	s_or_b64 exec, exec, s[4:5]
	s_cbranch_execz .LBB101_19
	s_branch .LBB101_24
.LBB101_16:
	v_mov_b64_e32 v[4:5], s[8:9]
	flat_load_dword v3, v[4:5] offset:4
	s_and_b64 vcc, exec, s[4:5]
	v_mov_b32_e32 v4, s6
	s_cbranch_vccnz .LBB101_4
.LBB101_17:
	v_mov_b64_e32 v[4:5], s[6:7]
	flat_load_dword v4, v[4:5]
	s_and_b64 vcc, exec, s[4:5]
	v_mov_b32_e32 v5, s7
	s_cbranch_vccz .LBB101_5
	s_branch .LBB101_6
.LBB101_18:
                                        ; implicit-def: $vgpr13
                                        ; implicit-def: $vgpr9
                                        ; implicit-def: $vgpr11
.LBB101_19:
	v_mov_b32_e32 v13, 0
	v_mov_b32_e32 v12, v13
	;; [unrolled: 1-line block ×6, first 2 shown]
	s_and_saveexec_b64 s[4:5], s[2:3]
	s_cbranch_execz .LBB101_23
; %bb.20:
	v_mad_u64_u32 v[14:15], s[2:3], v0, 21, 20
	v_mov_b32_e32 v17, 0
	s_mov_b64 s[2:3], 0
	v_mov_b32_e32 v8, v17
	v_mov_b32_e32 v9, v17
	;; [unrolled: 1-line block ×6, first 2 shown]
.LBB101_21:                             ; =>This Inner Loop Header: Depth=1
	v_ashrrev_i32_e32 v1, 31, v0
	v_lshl_add_u64 v[20:21], v[0:1], 2, s[6:7]
	global_load_dword v1, v[20:21], off
	v_subrev_u32_e32 v16, 20, v14
	v_add_u32_e32 v18, -13, v14
	v_mov_b32_e32 v19, v17
	v_add_u32_e32 v20, -6, v14
	v_mov_b32_e32 v25, v17
	v_mov_b32_e32 v21, v17
	v_lshl_add_u64 v[26:27], v[16:17], 3, s[8:9]
	v_lshl_add_u64 v[18:19], v[18:19], 3, s[8:9]
	v_subrev_u32_e32 v16, 19, v14
	v_lshl_add_u64 v[20:21], v[20:21], 3, s[8:9]
	v_lshl_add_u64 v[30:31], v[16:17], 3, s[8:9]
	global_load_dwordx2 v[32:33], v[26:27], off
	global_load_dwordx2 v[34:35], v[18:19], off
	;; [unrolled: 1-line block ×4, first 2 shown]
	v_mov_b32_e32 v15, v17
	v_lshl_add_u64 v[28:29], v[14:15], 3, s[8:9]
	v_add_u32_e32 v0, 16, v0
	v_cmp_ge_i32_e32 vcc, v0, v22
	s_or_b64 s[2:3], vcc, s[2:3]
	s_waitcnt vmcnt(4)
	v_subrev_u32_e32 v1, s12, v1
	v_mul_lo_u32 v24, v1, 7
	v_lshl_add_u64 v[18:19], v[24:25], 3, s[10:11]
	global_load_dwordx2 v[18:19], v[18:19], off
	v_add_u32_e32 v16, 1, v24
	v_lshl_add_u64 v[20:21], v[16:17], 3, s[10:11]
	global_load_dwordx2 v[20:21], v[20:21], off
	v_add_u32_e32 v16, -12, v14
	v_lshl_add_u64 v[26:27], v[16:17], 3, s[8:9]
	v_add_u32_e32 v16, -5, v14
	v_lshl_add_u64 v[30:31], v[16:17], 3, s[8:9]
	v_subrev_u32_e32 v16, 18, v14
	v_lshl_add_u64 v[40:41], v[16:17], 3, s[8:9]
	v_add_u32_e32 v16, 2, v24
	v_lshl_add_u64 v[42:43], v[16:17], 3, s[10:11]
	v_add_u32_e32 v16, -11, v14
	global_load_dwordx2 v[26:27], v[26:27], off
	s_waitcnt vmcnt(2)
	v_pk_fma_f32 v[12:13], v[32:33], v[18:19], v[12:13] op_sel_hi:[1,0,1]
	global_load_dwordx2 v[30:31], v[30:31], off
	s_nop 0
	global_load_dwordx2 v[44:45], v[40:41], off
	global_load_dwordx2 v[46:47], v[42:43], off
	v_lshl_add_u64 v[40:41], v[16:17], 3, s[8:9]
	v_add_u32_e32 v16, -4, v14
	v_lshl_add_u64 v[42:43], v[16:17], 3, s[8:9]
	v_subrev_u32_e32 v16, 17, v14
	v_lshl_add_u64 v[48:49], v[16:17], 3, s[8:9]
	v_add_u32_e32 v16, 3, v24
	v_lshl_add_u64 v[50:51], v[16:17], 3, s[10:11]
	v_add_u32_e32 v16, -10, v14
	global_load_dwordx2 v[40:41], v[40:41], off
	s_nop 0
	global_load_dwordx2 v[52:53], v[48:49], off
	global_load_dwordx2 v[54:55], v[42:43], off
	global_load_dwordx2 v[56:57], v[50:51], off
	v_lshl_add_u64 v[42:43], v[16:17], 3, s[8:9]
	v_add_u32_e32 v16, -3, v14
	v_lshl_add_u64 v[48:49], v[16:17], 3, s[8:9]
	v_add_u32_e32 v16, -16, v14
	v_lshl_add_u64 v[50:51], v[16:17], 3, s[8:9]
	v_add_u32_e32 v16, 4, v24
	v_lshl_add_u64 v[58:59], v[16:17], 3, s[10:11]
	v_add_u32_e32 v16, -9, v14
	global_load_dwordx2 v[42:43], v[42:43], off
	s_nop 0
	global_load_dwordx2 v[60:61], v[50:51], off
	global_load_dwordx2 v[62:63], v[48:49], off
	global_load_dwordx2 v[64:65], v[58:59], off
	v_lshl_add_u64 v[48:49], v[16:17], 3, s[8:9]
	v_add_u32_e32 v16, -2, v14
	v_lshl_add_u64 v[50:51], v[16:17], 3, s[8:9]
	v_add_u32_e32 v16, -15, v14
	;; [unrolled: 13-line block ×3, first 2 shown]
	v_lshl_add_u64 v[66:67], v[16:17], 3, s[8:9]
	v_add_u32_e32 v16, 6, v24
	global_load_dwordx2 v[50:51], v[50:51], off
	v_lshl_add_u64 v[24:25], v[16:17], 3, s[10:11]
	v_add_u32_e32 v16, -7, v14
	global_load_dwordx2 v[74:75], v[66:67], off
	global_load_dwordx2 v[76:77], v[58:59], off
	;; [unrolled: 1-line block ×3, first 2 shown]
	v_lshl_add_u64 v[24:25], v[16:17], 3, s[8:9]
	v_pk_fma_f32 v[12:13], v[32:33], v[18:19], v[12:13] op_sel:[1,1,0] op_sel_hi:[0,1,1] neg_lo:[1,0,0]
	global_load_dwordx2 v[32:33], v[24:25], off
	global_load_dwordx2 v[58:59], v[28:29], off
	v_pk_fma_f32 v[10:11], v[34:35], v[18:19], v[10:11] op_sel_hi:[1,0,1]
	v_pk_fma_f32 v[8:9], v[38:39], v[18:19], v[8:9] op_sel_hi:[1,0,1]
	v_pk_fma_f32 v[10:11], v[34:35], v[18:19], v[10:11] op_sel:[1,1,0] op_sel_hi:[0,1,1] neg_lo:[1,0,0]
	v_pk_fma_f32 v[8:9], v[38:39], v[18:19], v[8:9] op_sel:[1,1,0] op_sel_hi:[0,1,1] neg_lo:[1,0,0]
	s_waitcnt vmcnt(22)
	v_pk_fma_f32 v[12:13], v[36:37], v[20:21], v[12:13] op_sel_hi:[1,0,1]
	s_waitcnt vmcnt(21)
	v_pk_fma_f32 v[10:11], v[26:27], v[20:21], v[10:11] op_sel_hi:[1,0,1]
	v_pk_fma_f32 v[12:13], v[36:37], v[20:21], v[12:13] op_sel:[1,1,0] op_sel_hi:[0,1,1] neg_lo:[1,0,0]
	v_pk_fma_f32 v[10:11], v[26:27], v[20:21], v[10:11] op_sel:[1,1,0] op_sel_hi:[0,1,1] neg_lo:[1,0,0]
	v_add_u32_e32 v14, 0x150, v14
	s_waitcnt vmcnt(20)
	v_pk_fma_f32 v[8:9], v[30:31], v[20:21], v[8:9] op_sel_hi:[1,0,1]
	s_nop 0
	v_pk_fma_f32 v[8:9], v[30:31], v[20:21], v[8:9] op_sel:[1,1,0] op_sel_hi:[0,1,1] neg_lo:[1,0,0]
	s_waitcnt vmcnt(18)
	v_pk_fma_f32 v[12:13], v[44:45], v[46:47], v[12:13] op_sel_hi:[1,0,1]
	s_waitcnt vmcnt(17)
	v_pk_fma_f32 v[10:11], v[40:41], v[46:47], v[10:11] op_sel_hi:[1,0,1]
	s_waitcnt vmcnt(15)
	v_pk_fma_f32 v[8:9], v[54:55], v[46:47], v[8:9] op_sel_hi:[1,0,1]
	v_pk_fma_f32 v[12:13], v[44:45], v[46:47], v[12:13] op_sel:[1,1,0] op_sel_hi:[0,1,1] neg_lo:[1,0,0]
	v_pk_fma_f32 v[10:11], v[40:41], v[46:47], v[10:11] op_sel:[1,1,0] op_sel_hi:[0,1,1] neg_lo:[1,0,0]
	v_pk_fma_f32 v[8:9], v[54:55], v[46:47], v[8:9] op_sel:[1,1,0] op_sel_hi:[0,1,1] neg_lo:[1,0,0]
	s_waitcnt vmcnt(14)
	v_pk_fma_f32 v[12:13], v[52:53], v[56:57], v[12:13] op_sel_hi:[1,0,1]
	s_waitcnt vmcnt(13)
	v_pk_fma_f32 v[10:11], v[42:43], v[56:57], v[10:11] op_sel_hi:[1,0,1]
	s_waitcnt vmcnt(11)
	v_pk_fma_f32 v[8:9], v[62:63], v[56:57], v[8:9] op_sel_hi:[1,0,1]
	v_pk_fma_f32 v[12:13], v[52:53], v[56:57], v[12:13] op_sel:[1,1,0] op_sel_hi:[0,1,1] neg_lo:[1,0,0]
	v_pk_fma_f32 v[10:11], v[42:43], v[56:57], v[10:11] op_sel:[1,1,0] op_sel_hi:[0,1,1] neg_lo:[1,0,0]
	;; [unrolled: 9-line block ×3, first 2 shown]
	v_pk_fma_f32 v[8:9], v[70:71], v[64:65], v[8:9] op_sel:[1,1,0] op_sel_hi:[0,1,1] neg_lo:[1,0,0]
	s_waitcnt vmcnt(6)
	v_pk_fma_f32 v[12:13], v[68:69], v[72:73], v[12:13] op_sel_hi:[1,0,1]
	s_waitcnt vmcnt(5)
	v_pk_fma_f32 v[10:11], v[50:51], v[72:73], v[10:11] op_sel_hi:[1,0,1]
	v_pk_fma_f32 v[12:13], v[68:69], v[72:73], v[12:13] op_sel:[1,1,0] op_sel_hi:[0,1,1] neg_lo:[1,0,0]
	s_waitcnt vmcnt(3)
	v_pk_fma_f32 v[8:9], v[76:77], v[72:73], v[8:9] op_sel_hi:[1,0,1]
	v_pk_fma_f32 v[10:11], v[50:51], v[72:73], v[10:11] op_sel:[1,1,0] op_sel_hi:[0,1,1] neg_lo:[1,0,0]
	v_pk_fma_f32 v[8:9], v[76:77], v[72:73], v[8:9] op_sel:[1,1,0] op_sel_hi:[0,1,1] neg_lo:[1,0,0]
	s_waitcnt vmcnt(2)
	v_pk_fma_f32 v[12:13], v[74:75], v[78:79], v[12:13] op_sel_hi:[1,0,1]
	s_waitcnt vmcnt(1)
	v_pk_fma_f32 v[10:11], v[32:33], v[78:79], v[10:11] op_sel_hi:[1,0,1]
	;; [unrolled: 2-line block ×3, first 2 shown]
	v_pk_fma_f32 v[12:13], v[74:75], v[78:79], v[12:13] op_sel:[1,1,0] op_sel_hi:[0,1,1] neg_lo:[1,0,0]
	v_pk_fma_f32 v[10:11], v[32:33], v[78:79], v[10:11] op_sel:[1,1,0] op_sel_hi:[0,1,1] neg_lo:[1,0,0]
	;; [unrolled: 1-line block ×3, first 2 shown]
	s_andn2_b64 exec, exec, s[2:3]
	s_cbranch_execnz .LBB101_21
; %bb.22:
	s_or_b64 exec, exec, s[2:3]
.LBB101_23:
	s_or_b64 exec, exec, s[4:5]
.LBB101_24:
	v_mov_b32_dpp v0, v12 row_shr:1 row_mask:0xf bank_mask:0xf
	v_add_f32_e32 v0, v12, v0
	v_mov_b32_dpp v12, v13 row_shr:1 row_mask:0xf bank_mask:0xf
	v_add_f32_e32 v12, v13, v12
	v_mov_b32_dpp v1, v0 row_shr:2 row_mask:0xf bank_mask:0xf
	v_add_f32_e32 v0, v0, v1
	v_mov_b32_dpp v13, v12 row_shr:2 row_mask:0xf bank_mask:0xf
	v_add_f32_e32 v12, v12, v13
	v_mov_b32_dpp v1, v0 row_shr:4 row_mask:0xf bank_mask:0xe
	v_add_f32_e32 v0, v0, v1
	v_mov_b32_dpp v13, v12 row_shr:4 row_mask:0xf bank_mask:0xe
	v_add_f32_e32 v13, v12, v13
	v_mov_b32_dpp v12, v10 row_shr:1 row_mask:0xf bank_mask:0xf
	v_add_f32_e32 v10, v10, v12
	v_mov_b32_dpp v1, v0 row_shr:8 row_mask:0xf bank_mask:0xc
	v_mov_b32_dpp v14, v13 row_shr:8 row_mask:0xf bank_mask:0xc
	;; [unrolled: 1-line block ×3, first 2 shown]
	v_add_f32_e32 v10, v10, v12
	v_cmp_eq_u32_e32 vcc, 15, v7
	s_nop 0
	v_mov_b32_dpp v12, v10 row_shr:4 row_mask:0xf bank_mask:0xe
	v_add_f32_e32 v10, v10, v12
	s_nop 0
	v_mov_b32_dpp v12, v11 row_shr:1 row_mask:0xf bank_mask:0xf
	v_add_f32_e32 v11, v11, v12
	v_mov_b32_dpp v15, v10 row_shr:8 row_mask:0xf bank_mask:0xc
	s_nop 0
	v_mov_b32_dpp v12, v11 row_shr:2 row_mask:0xf bank_mask:0xf
	v_add_f32_e32 v11, v11, v12
	s_nop 1
	v_mov_b32_dpp v12, v11 row_shr:4 row_mask:0xf bank_mask:0xe
	v_add_f32_e32 v11, v11, v12
	s_nop 0
	v_mov_b32_dpp v12, v8 row_shr:1 row_mask:0xf bank_mask:0xf
	v_add_f32_e32 v8, v8, v12
	v_mov_b32_dpp v17, v11 row_shr:8 row_mask:0xf bank_mask:0xc
	s_nop 0
	v_mov_b32_dpp v12, v8 row_shr:2 row_mask:0xf bank_mask:0xf
	v_add_f32_e32 v8, v8, v12
	;; [unrolled: 10-line block ×3, first 2 shown]
	s_nop 1
	v_mov_b32_dpp v12, v9 row_shr:4 row_mask:0xf bank_mask:0xe
	v_add_f32_e32 v9, v9, v12
	s_nop 1
	v_mov_b32_dpp v19, v9 row_shr:8 row_mask:0xf bank_mask:0xc
	s_and_b64 exec, exec, vcc
	s_cbranch_execz .LBB101_29
; %bb.25:
	s_load_dwordx2 s[2:3], s[0:1], 0x38
	v_add_f32_e32 v12, v0, v1
	v_and_b32_e32 v1, 0x7fffffff, v4
	v_cmp_eq_u32_e32 vcc, 0, v1
	v_cmp_eq_f32_e64 s[0:1], 0, v5
	v_add_f32_e32 v16, v13, v14
	v_add_f32_e32 v10, v10, v15
	;; [unrolled: 1-line block ×5, first 2 shown]
	s_and_b64 s[0:1], vcc, s[0:1]
	s_and_saveexec_b64 s[4:5], s[0:1]
	s_xor_b64 s[0:1], exec, s[4:5]
	s_cbranch_execz .LBB101_27
; %bb.26:
	v_lshl_add_u32 v4, v6, 1, v6
	v_xor_b32_e32 v18, 0x80000000, v3
	v_ashrrev_i32_e32 v5, 31, v4
	v_mov_b32_e32 v19, v2
	s_waitcnt lgkmcnt(0)
	v_lshl_add_u64 v[20:21], v[4:5], 3, s[2:3]
	v_pk_mul_f32 v[4:5], v[16:17], v[18:19] op_sel_hi:[0,1]
	v_pk_mul_f32 v[6:7], v[14:15], v[18:19] op_sel_hi:[0,1]
	v_pk_fma_f32 v[4:5], v[2:3], v[12:13], v[4:5] op_sel_hi:[1,0,1]
	v_pk_fma_f32 v[6:7], v[2:3], v[10:11], v[6:7] op_sel_hi:[1,0,1]
	global_store_dwordx4 v[20:21], v[4:7], off
                                        ; implicit-def: $vgpr6
                                        ; implicit-def: $vgpr12
                                        ; implicit-def: $vgpr16
                                        ; implicit-def: $vgpr10
                                        ; implicit-def: $vgpr14
	s_nop 1
	v_pk_mul_f32 v[4:5], v[8:9], v[18:19] op_sel_hi:[0,1]
	v_pk_fma_f32 v[0:1], v[2:3], v[0:1], v[4:5] op_sel_hi:[1,0,1]
	global_store_dwordx2 v[20:21], v[0:1], off offset:16
                                        ; implicit-def: $vgpr3
                                        ; implicit-def: $vgpr4
                                        ; implicit-def: $vgpr0
                                        ; implicit-def: $vgpr8
.LBB101_27:
	s_andn2_saveexec_b64 s[0:1], s[0:1]
	s_cbranch_execz .LBB101_29
; %bb.28:
	v_lshl_add_u32 v6, v6, 1, v6
	v_ashrrev_i32_e32 v7, 31, v6
	s_waitcnt lgkmcnt(0)
	v_lshl_add_u64 v[6:7], v[6:7], 3, s[2:3]
	global_load_dwordx4 v[18:21], v[6:7], off
	global_load_dwordx2 v[22:23], v[6:7], off offset:16
	v_xor_b32_e32 v24, 0x80000000, v3
	v_mov_b32_e32 v25, v2
	v_pk_mul_f32 v[16:17], v[16:17], v[24:25] op_sel_hi:[0,1]
	v_pk_mul_f32 v[14:15], v[14:15], v[24:25] op_sel_hi:[0,1]
	;; [unrolled: 1-line block ×3, first 2 shown]
	v_pk_fma_f32 v[12:13], v[2:3], v[12:13], v[16:17] op_sel_hi:[1,0,1]
	v_pk_fma_f32 v[10:11], v[2:3], v[10:11], v[14:15] op_sel_hi:[1,0,1]
	v_xor_b32_e32 v26, 0x80000000, v5
	v_mov_b32_e32 v27, v4
	v_pk_fma_f32 v[0:1], v[2:3], v[0:1], v[8:9] op_sel_hi:[1,0,1]
	s_waitcnt vmcnt(1)
	v_pk_fma_f32 v[2:3], v[4:5], v[18:19], v[12:13] op_sel_hi:[1,0,1]
	v_pk_fma_f32 v[8:9], v[4:5], v[20:21], v[10:11] op_sel_hi:[1,0,1]
	v_mov_b32_e32 v10, v21
	s_waitcnt vmcnt(0)
	v_pk_fma_f32 v[4:5], v[4:5], v[22:23], v[0:1] op_sel_hi:[1,0,1]
	v_pk_fma_f32 v[0:1], v[26:27], v[18:19], v[2:3] op_sel:[0,1,0]
	v_pk_fma_f32 v[2:3], v[26:27], v[10:11], v[8:9] op_sel_hi:[1,0,1]
	v_pk_fma_f32 v[4:5], v[26:27], v[22:23], v[4:5] op_sel:[0,1,0]
	global_store_dwordx4 v[6:7], v[0:3], off
	global_store_dwordx2 v[6:7], v[4:5], off offset:16
.LBB101_29:
	s_endpgm
	.section	.rodata,"a",@progbits
	.p2align	6, 0x0
	.amdhsa_kernel _ZN9rocsparseL19gebsrmvn_3xn_kernelILj128ELj7ELj16E21rocsparse_complex_numIfEEEvi20rocsparse_direction_NS_24const_host_device_scalarIT2_EEPKiS8_PKS5_SA_S6_PS5_21rocsparse_index_base_b
		.amdhsa_group_segment_fixed_size 0
		.amdhsa_private_segment_fixed_size 0
		.amdhsa_kernarg_size 72
		.amdhsa_user_sgpr_count 2
		.amdhsa_user_sgpr_dispatch_ptr 0
		.amdhsa_user_sgpr_queue_ptr 0
		.amdhsa_user_sgpr_kernarg_segment_ptr 1
		.amdhsa_user_sgpr_dispatch_id 0
		.amdhsa_user_sgpr_kernarg_preload_length 0
		.amdhsa_user_sgpr_kernarg_preload_offset 0
		.amdhsa_user_sgpr_private_segment_size 0
		.amdhsa_uses_dynamic_stack 0
		.amdhsa_enable_private_segment 0
		.amdhsa_system_sgpr_workgroup_id_x 1
		.amdhsa_system_sgpr_workgroup_id_y 0
		.amdhsa_system_sgpr_workgroup_id_z 0
		.amdhsa_system_sgpr_workgroup_info 0
		.amdhsa_system_vgpr_workitem_id 0
		.amdhsa_next_free_vgpr 82
		.amdhsa_next_free_sgpr 16
		.amdhsa_accum_offset 84
		.amdhsa_reserve_vcc 1
		.amdhsa_float_round_mode_32 0
		.amdhsa_float_round_mode_16_64 0
		.amdhsa_float_denorm_mode_32 3
		.amdhsa_float_denorm_mode_16_64 3
		.amdhsa_dx10_clamp 1
		.amdhsa_ieee_mode 1
		.amdhsa_fp16_overflow 0
		.amdhsa_tg_split 0
		.amdhsa_exception_fp_ieee_invalid_op 0
		.amdhsa_exception_fp_denorm_src 0
		.amdhsa_exception_fp_ieee_div_zero 0
		.amdhsa_exception_fp_ieee_overflow 0
		.amdhsa_exception_fp_ieee_underflow 0
		.amdhsa_exception_fp_ieee_inexact 0
		.amdhsa_exception_int_div_zero 0
	.end_amdhsa_kernel
	.section	.text._ZN9rocsparseL19gebsrmvn_3xn_kernelILj128ELj7ELj16E21rocsparse_complex_numIfEEEvi20rocsparse_direction_NS_24const_host_device_scalarIT2_EEPKiS8_PKS5_SA_S6_PS5_21rocsparse_index_base_b,"axG",@progbits,_ZN9rocsparseL19gebsrmvn_3xn_kernelILj128ELj7ELj16E21rocsparse_complex_numIfEEEvi20rocsparse_direction_NS_24const_host_device_scalarIT2_EEPKiS8_PKS5_SA_S6_PS5_21rocsparse_index_base_b,comdat
.Lfunc_end101:
	.size	_ZN9rocsparseL19gebsrmvn_3xn_kernelILj128ELj7ELj16E21rocsparse_complex_numIfEEEvi20rocsparse_direction_NS_24const_host_device_scalarIT2_EEPKiS8_PKS5_SA_S6_PS5_21rocsparse_index_base_b, .Lfunc_end101-_ZN9rocsparseL19gebsrmvn_3xn_kernelILj128ELj7ELj16E21rocsparse_complex_numIfEEEvi20rocsparse_direction_NS_24const_host_device_scalarIT2_EEPKiS8_PKS5_SA_S6_PS5_21rocsparse_index_base_b
                                        ; -- End function
	.section	.AMDGPU.csdata,"",@progbits
; Kernel info:
; codeLenInByte = 3352
; NumSgprs: 22
; NumVgprs: 82
; NumAgprs: 0
; TotalNumVgprs: 82
; ScratchSize: 0
; MemoryBound: 0
; FloatMode: 240
; IeeeMode: 1
; LDSByteSize: 0 bytes/workgroup (compile time only)
; SGPRBlocks: 2
; VGPRBlocks: 10
; NumSGPRsForWavesPerEU: 22
; NumVGPRsForWavesPerEU: 82
; AccumOffset: 84
; Occupancy: 5
; WaveLimiterHint : 1
; COMPUTE_PGM_RSRC2:SCRATCH_EN: 0
; COMPUTE_PGM_RSRC2:USER_SGPR: 2
; COMPUTE_PGM_RSRC2:TRAP_HANDLER: 0
; COMPUTE_PGM_RSRC2:TGID_X_EN: 1
; COMPUTE_PGM_RSRC2:TGID_Y_EN: 0
; COMPUTE_PGM_RSRC2:TGID_Z_EN: 0
; COMPUTE_PGM_RSRC2:TIDIG_COMP_CNT: 0
; COMPUTE_PGM_RSRC3_GFX90A:ACCUM_OFFSET: 20
; COMPUTE_PGM_RSRC3_GFX90A:TG_SPLIT: 0
	.section	.text._ZN9rocsparseL19gebsrmvn_3xn_kernelILj128ELj7ELj32E21rocsparse_complex_numIfEEEvi20rocsparse_direction_NS_24const_host_device_scalarIT2_EEPKiS8_PKS5_SA_S6_PS5_21rocsparse_index_base_b,"axG",@progbits,_ZN9rocsparseL19gebsrmvn_3xn_kernelILj128ELj7ELj32E21rocsparse_complex_numIfEEEvi20rocsparse_direction_NS_24const_host_device_scalarIT2_EEPKiS8_PKS5_SA_S6_PS5_21rocsparse_index_base_b,comdat
	.globl	_ZN9rocsparseL19gebsrmvn_3xn_kernelILj128ELj7ELj32E21rocsparse_complex_numIfEEEvi20rocsparse_direction_NS_24const_host_device_scalarIT2_EEPKiS8_PKS5_SA_S6_PS5_21rocsparse_index_base_b ; -- Begin function _ZN9rocsparseL19gebsrmvn_3xn_kernelILj128ELj7ELj32E21rocsparse_complex_numIfEEEvi20rocsparse_direction_NS_24const_host_device_scalarIT2_EEPKiS8_PKS5_SA_S6_PS5_21rocsparse_index_base_b
	.p2align	8
	.type	_ZN9rocsparseL19gebsrmvn_3xn_kernelILj128ELj7ELj32E21rocsparse_complex_numIfEEEvi20rocsparse_direction_NS_24const_host_device_scalarIT2_EEPKiS8_PKS5_SA_S6_PS5_21rocsparse_index_base_b,@function
_ZN9rocsparseL19gebsrmvn_3xn_kernelILj128ELj7ELj32E21rocsparse_complex_numIfEEEvi20rocsparse_direction_NS_24const_host_device_scalarIT2_EEPKiS8_PKS5_SA_S6_PS5_21rocsparse_index_base_b: ; @_ZN9rocsparseL19gebsrmvn_3xn_kernelILj128ELj7ELj32E21rocsparse_complex_numIfEEEvi20rocsparse_direction_NS_24const_host_device_scalarIT2_EEPKiS8_PKS5_SA_S6_PS5_21rocsparse_index_base_b
; %bb.0:
	s_load_dwordx2 s[12:13], s[0:1], 0x40
	s_load_dwordx2 s[8:9], s[0:1], 0x8
	;; [unrolled: 1-line block ×3, first 2 shown]
	s_waitcnt lgkmcnt(0)
	s_bitcmp1_b32 s13, 0
	s_cselect_b64 s[4:5], -1, 0
	s_xor_b64 s[10:11], s[4:5], -1
	s_and_b64 vcc, exec, s[4:5]
	v_mov_b32_e32 v2, s8
	s_cbranch_vccnz .LBB102_2
; %bb.1:
	v_mov_b64_e32 v[2:3], s[8:9]
	flat_load_dword v2, v[2:3]
.LBB102_2:
	v_cndmask_b32_e64 v1, 0, 1, s[10:11]
	v_cmp_ne_u32_e64 s[4:5], 1, v1
	s_andn2_b64 vcc, exec, s[10:11]
	v_mov_b32_e32 v3, s9
	s_cbranch_vccz .LBB102_16
; %bb.3:
	s_and_b64 vcc, exec, s[4:5]
	v_mov_b32_e32 v4, s6
	s_cbranch_vccz .LBB102_17
.LBB102_4:
	s_and_b64 vcc, exec, s[4:5]
	v_mov_b32_e32 v5, s7
	s_cbranch_vccnz .LBB102_6
.LBB102_5:
	v_mov_b64_e32 v[6:7], s[6:7]
	flat_load_dword v5, v[6:7] offset:4
.LBB102_6:
	s_waitcnt vmcnt(0) lgkmcnt(0)
	v_and_b32_e32 v1, 0x7fffffff, v2
	v_cmp_eq_u32_e32 vcc, 0, v1
	v_cmp_eq_f32_e64 s[4:5], 0, v3
	s_and_b64 s[8:9], vcc, s[4:5]
	s_mov_b64 s[4:5], -1
	s_and_saveexec_b64 s[6:7], s[8:9]
; %bb.7:
	v_and_b32_e32 v1, 0x7fffffff, v5
	v_cmp_neq_f32_e32 vcc, 1.0, v4
	v_cmp_ne_u32_e64 s[4:5], 0, v1
	s_or_b64 s[4:5], vcc, s[4:5]
	s_orn2_b64 s[4:5], s[4:5], exec
; %bb.8:
	s_or_b64 exec, exec, s[6:7]
	s_and_saveexec_b64 s[6:7], s[4:5]
	s_cbranch_execz .LBB102_29
; %bb.9:
	s_load_dwordx2 s[14:15], s[0:1], 0x0
	v_lshrrev_b32_e32 v1, 5, v0
	v_lshl_or_b32 v6, s2, 2, v1
	s_waitcnt lgkmcnt(0)
	v_cmp_gt_i32_e32 vcc, s14, v6
	s_and_b64 exec, exec, vcc
	s_cbranch_execz .LBB102_29
; %bb.10:
	s_load_dwordx8 s[4:11], s[0:1], 0x10
	v_ashrrev_i32_e32 v7, 31, v6
	s_cmp_lg_u32 s15, 0
	s_waitcnt lgkmcnt(0)
	v_lshl_add_u64 v[8:9], v[6:7], 2, s[4:5]
	global_load_dwordx2 v[8:9], v[8:9], off
	v_and_b32_e32 v7, 31, v0
	s_waitcnt vmcnt(0)
	v_subrev_u32_e32 v0, s12, v8
	v_subrev_u32_e32 v22, s12, v9
	v_add_u32_e32 v0, v0, v7
	v_cmp_lt_i32_e64 s[2:3], v0, v22
	s_cbranch_scc0 .LBB102_18
; %bb.11:
	v_mov_b32_e32 v13, 0
	v_mov_b32_e32 v12, v13
	;; [unrolled: 1-line block ×6, first 2 shown]
	s_and_saveexec_b64 s[4:5], s[2:3]
	s_cbranch_execz .LBB102_15
; %bb.12:
	v_mad_u64_u32 v[14:15], s[14:15], v0, 21, 20
	v_mov_b32_e32 v17, 0
	s_mov_b64 s[14:15], 0
	v_mov_b32_e32 v18, v0
	v_mov_b32_e32 v8, v17
	;; [unrolled: 1-line block ×7, first 2 shown]
.LBB102_13:                             ; =>This Inner Loop Header: Depth=1
	v_ashrrev_i32_e32 v19, 31, v18
	v_lshl_add_u64 v[20:21], v[18:19], 2, s[6:7]
	global_load_dword v1, v[20:21], off
	v_subrev_u32_e32 v16, 20, v14
	v_lshl_add_u64 v[24:25], v[16:17], 3, s[8:9]
	v_subrev_u32_e32 v16, 19, v14
	v_lshl_add_u64 v[28:29], v[16:17], 3, s[8:9]
	;; [unrolled: 2-line block ×4, first 2 shown]
	global_load_dwordx2 v[24:25], v[24:25], off
	v_mov_b32_e32 v21, v17
	global_load_dwordx2 v[28:29], v[28:29], off
	s_nop 0
	global_load_dwordx2 v[34:35], v[32:33], off
	global_load_dwordx2 v[36:37], v[30:31], off
	v_mov_b32_e32 v15, v17
	v_lshl_add_u64 v[26:27], v[14:15], 3, s[8:9]
	v_add_u32_e32 v18, 32, v18
	v_cmp_ge_i32_e32 vcc, v18, v22
	s_or_b64 s[14:15], vcc, s[14:15]
	s_waitcnt vmcnt(4)
	v_subrev_u32_e32 v1, s12, v1
	v_mul_lo_u32 v20, v1, 7
	v_add_u32_e32 v16, 1, v20
	v_lshl_add_u64 v[32:33], v[16:17], 3, s[10:11]
	v_add_u32_e32 v16, -16, v14
	v_lshl_add_u64 v[38:39], v[16:17], 3, s[8:9]
	v_add_u32_e32 v16, -15, v14
	;; [unrolled: 2-line block ×3, first 2 shown]
	v_lshl_add_u64 v[42:43], v[16:17], 3, s[8:9]
	v_add_u32_e32 v16, 2, v20
	v_lshl_add_u64 v[30:31], v[20:21], 3, s[10:11]
	v_lshl_add_u64 v[44:45], v[16:17], 3, s[10:11]
	v_add_u32_e32 v16, -13, v14
	global_load_dwordx2 v[30:31], v[30:31], off
	s_nop 0
	global_load_dwordx2 v[32:33], v[32:33], off
	s_waitcnt vmcnt(1)
	v_pk_fma_f32 v[12:13], v[24:25], v[30:31], v[12:13] op_sel_hi:[1,0,1]
	global_load_dwordx2 v[38:39], v[38:39], off
	v_pk_fma_f32 v[10:11], v[28:29], v[30:31], v[10:11] op_sel_hi:[1,0,1]
	global_load_dwordx2 v[40:41], v[40:41], off
	s_nop 0
	global_load_dwordx2 v[46:47], v[42:43], off
	global_load_dwordx2 v[48:49], v[44:45], off
	v_lshl_add_u64 v[42:43], v[16:17], 3, s[8:9]
	v_add_u32_e32 v16, -12, v14
	v_lshl_add_u64 v[44:45], v[16:17], 3, s[8:9]
	v_add_u32_e32 v16, -11, v14
	v_lshl_add_u64 v[50:51], v[16:17], 3, s[8:9]
	v_add_u32_e32 v16, 3, v20
	v_lshl_add_u64 v[52:53], v[16:17], 3, s[10:11]
	v_add_u32_e32 v16, -10, v14
	global_load_dwordx2 v[42:43], v[42:43], off
	s_nop 0
	global_load_dwordx2 v[54:55], v[50:51], off
	global_load_dwordx2 v[56:57], v[44:45], off
	global_load_dwordx2 v[58:59], v[52:53], off
	v_lshl_add_u64 v[44:45], v[16:17], 3, s[8:9]
	v_add_u32_e32 v16, -9, v14
	v_lshl_add_u64 v[50:51], v[16:17], 3, s[8:9]
	v_add_u32_e32 v16, -8, v14
	v_lshl_add_u64 v[52:53], v[16:17], 3, s[8:9]
	v_add_u32_e32 v16, 4, v20
	v_lshl_add_u64 v[60:61], v[16:17], 3, s[10:11]
	v_add_u32_e32 v16, -7, v14
	global_load_dwordx2 v[44:45], v[44:45], off
	s_nop 0
	global_load_dwordx2 v[62:63], v[52:53], off
	;; [unrolled: 13-line block ×3, first 2 shown]
	global_load_dwordx2 v[72:73], v[52:53], off
	global_load_dwordx2 v[74:75], v[68:69], off
	v_lshl_add_u64 v[52:53], v[16:17], 3, s[8:9]
	v_add_u32_e32 v16, -3, v14
	v_lshl_add_u64 v[60:61], v[16:17], 3, s[8:9]
	v_add_u32_e32 v16, -2, v14
	v_lshl_add_u64 v[68:69], v[16:17], 3, s[8:9]
	v_add_u32_e32 v16, 6, v20
	global_load_dwordx2 v[52:53], v[52:53], off
	v_lshl_add_u64 v[20:21], v[16:17], 3, s[10:11]
	v_add_u32_e32 v16, -1, v14
	global_load_dwordx2 v[76:77], v[68:69], off
	global_load_dwordx2 v[78:79], v[60:61], off
	;; [unrolled: 1-line block ×3, first 2 shown]
	v_lshl_add_u64 v[20:21], v[16:17], 3, s[8:9]
	global_load_dwordx2 v[60:61], v[20:21], off
	global_load_dwordx2 v[68:69], v[26:27], off
	v_pk_fma_f32 v[8:9], v[36:37], v[30:31], v[8:9] op_sel_hi:[1,0,1]
	v_pk_fma_f32 v[12:13], v[24:25], v[30:31], v[12:13] op_sel:[1,1,0] op_sel_hi:[0,1,1] neg_lo:[1,0,0]
	v_pk_fma_f32 v[10:11], v[28:29], v[30:31], v[10:11] op_sel:[1,1,0] op_sel_hi:[0,1,1] neg_lo:[1,0,0]
	;; [unrolled: 1-line block ×3, first 2 shown]
	s_waitcnt vmcnt(22)
	v_pk_fma_f32 v[12:13], v[34:35], v[32:33], v[12:13] op_sel_hi:[1,0,1]
	v_add_u32_e32 v14, 0x2a0, v14
	v_pk_fma_f32 v[12:13], v[34:35], v[32:33], v[12:13] op_sel:[1,1,0] op_sel_hi:[0,1,1] neg_lo:[1,0,0]
	s_waitcnt vmcnt(21)
	v_pk_fma_f32 v[10:11], v[38:39], v[32:33], v[10:11] op_sel_hi:[1,0,1]
	s_nop 0
	v_pk_fma_f32 v[10:11], v[38:39], v[32:33], v[10:11] op_sel:[1,1,0] op_sel_hi:[0,1,1] neg_lo:[1,0,0]
	s_waitcnt vmcnt(20)
	v_pk_fma_f32 v[8:9], v[40:41], v[32:33], v[8:9] op_sel_hi:[1,0,1]
	s_waitcnt vmcnt(18)
	v_pk_fma_f32 v[12:13], v[46:47], v[48:49], v[12:13] op_sel_hi:[1,0,1]
	v_pk_fma_f32 v[8:9], v[40:41], v[32:33], v[8:9] op_sel:[1,1,0] op_sel_hi:[0,1,1] neg_lo:[1,0,0]
	v_pk_fma_f32 v[12:13], v[46:47], v[48:49], v[12:13] op_sel:[1,1,0] op_sel_hi:[0,1,1] neg_lo:[1,0,0]
	s_waitcnt vmcnt(17)
	v_pk_fma_f32 v[10:11], v[42:43], v[48:49], v[10:11] op_sel_hi:[1,0,1]
	s_waitcnt vmcnt(15)
	v_pk_fma_f32 v[8:9], v[56:57], v[48:49], v[8:9] op_sel_hi:[1,0,1]
	v_pk_fma_f32 v[10:11], v[42:43], v[48:49], v[10:11] op_sel:[1,1,0] op_sel_hi:[0,1,1] neg_lo:[1,0,0]
	v_pk_fma_f32 v[8:9], v[56:57], v[48:49], v[8:9] op_sel:[1,1,0] op_sel_hi:[0,1,1] neg_lo:[1,0,0]
	s_waitcnt vmcnt(14)
	v_pk_fma_f32 v[12:13], v[54:55], v[58:59], v[12:13] op_sel_hi:[1,0,1]
	s_waitcnt vmcnt(13)
	v_pk_fma_f32 v[10:11], v[44:45], v[58:59], v[10:11] op_sel_hi:[1,0,1]
	;; [unrolled: 2-line block ×3, first 2 shown]
	v_pk_fma_f32 v[12:13], v[54:55], v[58:59], v[12:13] op_sel:[1,1,0] op_sel_hi:[0,1,1] neg_lo:[1,0,0]
	v_pk_fma_f32 v[10:11], v[44:45], v[58:59], v[10:11] op_sel:[1,1,0] op_sel_hi:[0,1,1] neg_lo:[1,0,0]
	v_pk_fma_f32 v[8:9], v[64:65], v[58:59], v[8:9] op_sel:[1,1,0] op_sel_hi:[0,1,1] neg_lo:[1,0,0]
	s_waitcnt vmcnt(10)
	v_pk_fma_f32 v[12:13], v[62:63], v[66:67], v[12:13] op_sel_hi:[1,0,1]
	s_waitcnt vmcnt(9)
	v_pk_fma_f32 v[10:11], v[50:51], v[66:67], v[10:11] op_sel_hi:[1,0,1]
	;; [unrolled: 2-line block ×3, first 2 shown]
	v_pk_fma_f32 v[12:13], v[62:63], v[66:67], v[12:13] op_sel:[1,1,0] op_sel_hi:[0,1,1] neg_lo:[1,0,0]
	v_pk_fma_f32 v[10:11], v[50:51], v[66:67], v[10:11] op_sel:[1,1,0] op_sel_hi:[0,1,1] neg_lo:[1,0,0]
	;; [unrolled: 1-line block ×3, first 2 shown]
	s_waitcnt vmcnt(6)
	v_pk_fma_f32 v[12:13], v[70:71], v[74:75], v[12:13] op_sel_hi:[1,0,1]
	s_waitcnt vmcnt(5)
	v_pk_fma_f32 v[10:11], v[52:53], v[74:75], v[10:11] op_sel_hi:[1,0,1]
	v_pk_fma_f32 v[12:13], v[70:71], v[74:75], v[12:13] op_sel:[1,1,0] op_sel_hi:[0,1,1] neg_lo:[1,0,0]
	s_waitcnt vmcnt(3)
	v_pk_fma_f32 v[8:9], v[78:79], v[74:75], v[8:9] op_sel_hi:[1,0,1]
	v_pk_fma_f32 v[10:11], v[52:53], v[74:75], v[10:11] op_sel:[1,1,0] op_sel_hi:[0,1,1] neg_lo:[1,0,0]
	v_pk_fma_f32 v[8:9], v[78:79], v[74:75], v[8:9] op_sel:[1,1,0] op_sel_hi:[0,1,1] neg_lo:[1,0,0]
	s_waitcnt vmcnt(2)
	v_pk_fma_f32 v[12:13], v[76:77], v[80:81], v[12:13] op_sel_hi:[1,0,1]
	s_waitcnt vmcnt(1)
	v_pk_fma_f32 v[10:11], v[60:61], v[80:81], v[10:11] op_sel_hi:[1,0,1]
	;; [unrolled: 2-line block ×3, first 2 shown]
	v_pk_fma_f32 v[12:13], v[76:77], v[80:81], v[12:13] op_sel:[1,1,0] op_sel_hi:[0,1,1] neg_lo:[1,0,0]
	v_pk_fma_f32 v[10:11], v[60:61], v[80:81], v[10:11] op_sel:[1,1,0] op_sel_hi:[0,1,1] neg_lo:[1,0,0]
	;; [unrolled: 1-line block ×3, first 2 shown]
	s_andn2_b64 exec, exec, s[14:15]
	s_cbranch_execnz .LBB102_13
; %bb.14:
	s_or_b64 exec, exec, s[14:15]
.LBB102_15:
	s_or_b64 exec, exec, s[4:5]
	s_cbranch_execz .LBB102_19
	s_branch .LBB102_24
.LBB102_16:
	v_mov_b64_e32 v[4:5], s[8:9]
	flat_load_dword v3, v[4:5] offset:4
	s_and_b64 vcc, exec, s[4:5]
	v_mov_b32_e32 v4, s6
	s_cbranch_vccnz .LBB102_4
.LBB102_17:
	v_mov_b64_e32 v[4:5], s[6:7]
	flat_load_dword v4, v[4:5]
	s_and_b64 vcc, exec, s[4:5]
	v_mov_b32_e32 v5, s7
	s_cbranch_vccz .LBB102_5
	s_branch .LBB102_6
.LBB102_18:
                                        ; implicit-def: $vgpr13
                                        ; implicit-def: $vgpr9
                                        ; implicit-def: $vgpr11
.LBB102_19:
	v_mov_b32_e32 v13, 0
	v_mov_b32_e32 v12, v13
	;; [unrolled: 1-line block ×6, first 2 shown]
	s_and_saveexec_b64 s[4:5], s[2:3]
	s_cbranch_execz .LBB102_23
; %bb.20:
	v_mad_u64_u32 v[14:15], s[2:3], v0, 21, 20
	v_mov_b32_e32 v17, 0
	s_mov_b64 s[2:3], 0
	v_mov_b32_e32 v8, v17
	v_mov_b32_e32 v9, v17
	v_mov_b32_e32 v10, v17
	v_mov_b32_e32 v11, v17
	v_mov_b32_e32 v12, v17
	v_mov_b32_e32 v13, v17
.LBB102_21:                             ; =>This Inner Loop Header: Depth=1
	v_ashrrev_i32_e32 v1, 31, v0
	v_lshl_add_u64 v[20:21], v[0:1], 2, s[6:7]
	global_load_dword v1, v[20:21], off
	v_subrev_u32_e32 v16, 20, v14
	v_add_u32_e32 v18, -13, v14
	v_mov_b32_e32 v19, v17
	v_add_u32_e32 v20, -6, v14
	v_mov_b32_e32 v25, v17
	v_mov_b32_e32 v21, v17
	v_lshl_add_u64 v[26:27], v[16:17], 3, s[8:9]
	v_lshl_add_u64 v[18:19], v[18:19], 3, s[8:9]
	v_subrev_u32_e32 v16, 19, v14
	v_lshl_add_u64 v[20:21], v[20:21], 3, s[8:9]
	v_lshl_add_u64 v[30:31], v[16:17], 3, s[8:9]
	global_load_dwordx2 v[32:33], v[26:27], off
	global_load_dwordx2 v[34:35], v[18:19], off
	;; [unrolled: 1-line block ×4, first 2 shown]
	v_mov_b32_e32 v15, v17
	v_lshl_add_u64 v[28:29], v[14:15], 3, s[8:9]
	v_add_u32_e32 v0, 32, v0
	v_cmp_ge_i32_e32 vcc, v0, v22
	s_or_b64 s[2:3], vcc, s[2:3]
	s_waitcnt vmcnt(4)
	v_subrev_u32_e32 v1, s12, v1
	v_mul_lo_u32 v24, v1, 7
	v_lshl_add_u64 v[18:19], v[24:25], 3, s[10:11]
	global_load_dwordx2 v[18:19], v[18:19], off
	v_add_u32_e32 v16, 1, v24
	v_lshl_add_u64 v[20:21], v[16:17], 3, s[10:11]
	global_load_dwordx2 v[20:21], v[20:21], off
	v_add_u32_e32 v16, -12, v14
	v_lshl_add_u64 v[26:27], v[16:17], 3, s[8:9]
	v_add_u32_e32 v16, -5, v14
	v_lshl_add_u64 v[30:31], v[16:17], 3, s[8:9]
	v_subrev_u32_e32 v16, 18, v14
	v_lshl_add_u64 v[40:41], v[16:17], 3, s[8:9]
	v_add_u32_e32 v16, 2, v24
	v_lshl_add_u64 v[42:43], v[16:17], 3, s[10:11]
	v_add_u32_e32 v16, -11, v14
	global_load_dwordx2 v[26:27], v[26:27], off
	s_waitcnt vmcnt(2)
	v_pk_fma_f32 v[12:13], v[32:33], v[18:19], v[12:13] op_sel_hi:[1,0,1]
	global_load_dwordx2 v[30:31], v[30:31], off
	s_nop 0
	global_load_dwordx2 v[44:45], v[40:41], off
	global_load_dwordx2 v[46:47], v[42:43], off
	v_lshl_add_u64 v[40:41], v[16:17], 3, s[8:9]
	v_add_u32_e32 v16, -4, v14
	v_lshl_add_u64 v[42:43], v[16:17], 3, s[8:9]
	v_subrev_u32_e32 v16, 17, v14
	v_lshl_add_u64 v[48:49], v[16:17], 3, s[8:9]
	v_add_u32_e32 v16, 3, v24
	v_lshl_add_u64 v[50:51], v[16:17], 3, s[10:11]
	v_add_u32_e32 v16, -10, v14
	global_load_dwordx2 v[40:41], v[40:41], off
	s_nop 0
	global_load_dwordx2 v[52:53], v[48:49], off
	global_load_dwordx2 v[54:55], v[42:43], off
	global_load_dwordx2 v[56:57], v[50:51], off
	v_lshl_add_u64 v[42:43], v[16:17], 3, s[8:9]
	v_add_u32_e32 v16, -3, v14
	v_lshl_add_u64 v[48:49], v[16:17], 3, s[8:9]
	v_add_u32_e32 v16, -16, v14
	v_lshl_add_u64 v[50:51], v[16:17], 3, s[8:9]
	v_add_u32_e32 v16, 4, v24
	v_lshl_add_u64 v[58:59], v[16:17], 3, s[10:11]
	v_add_u32_e32 v16, -9, v14
	global_load_dwordx2 v[42:43], v[42:43], off
	s_nop 0
	global_load_dwordx2 v[60:61], v[50:51], off
	global_load_dwordx2 v[62:63], v[48:49], off
	global_load_dwordx2 v[64:65], v[58:59], off
	v_lshl_add_u64 v[48:49], v[16:17], 3, s[8:9]
	v_add_u32_e32 v16, -2, v14
	v_lshl_add_u64 v[50:51], v[16:17], 3, s[8:9]
	v_add_u32_e32 v16, -15, v14
	v_lshl_add_u64 v[58:59], v[16:17], 3, s[8:9]
	v_add_u32_e32 v16, 5, v24
	v_lshl_add_u64 v[66:67], v[16:17], 3, s[10:11]
	v_add_u32_e32 v16, -8, v14
	global_load_dwordx2 v[48:49], v[48:49], off
	s_nop 0
	global_load_dwordx2 v[68:69], v[58:59], off
	global_load_dwordx2 v[70:71], v[50:51], off
	global_load_dwordx2 v[72:73], v[66:67], off
	v_lshl_add_u64 v[50:51], v[16:17], 3, s[8:9]
	v_add_u32_e32 v16, -1, v14
	v_lshl_add_u64 v[58:59], v[16:17], 3, s[8:9]
	v_add_u32_e32 v16, -14, v14
	v_lshl_add_u64 v[66:67], v[16:17], 3, s[8:9]
	v_add_u32_e32 v16, 6, v24
	global_load_dwordx2 v[50:51], v[50:51], off
	v_lshl_add_u64 v[24:25], v[16:17], 3, s[10:11]
	v_add_u32_e32 v16, -7, v14
	global_load_dwordx2 v[74:75], v[66:67], off
	global_load_dwordx2 v[76:77], v[58:59], off
	;; [unrolled: 1-line block ×3, first 2 shown]
	v_lshl_add_u64 v[24:25], v[16:17], 3, s[8:9]
	v_pk_fma_f32 v[12:13], v[32:33], v[18:19], v[12:13] op_sel:[1,1,0] op_sel_hi:[0,1,1] neg_lo:[1,0,0]
	global_load_dwordx2 v[32:33], v[24:25], off
	global_load_dwordx2 v[58:59], v[28:29], off
	v_pk_fma_f32 v[10:11], v[34:35], v[18:19], v[10:11] op_sel_hi:[1,0,1]
	v_pk_fma_f32 v[8:9], v[38:39], v[18:19], v[8:9] op_sel_hi:[1,0,1]
	v_pk_fma_f32 v[10:11], v[34:35], v[18:19], v[10:11] op_sel:[1,1,0] op_sel_hi:[0,1,1] neg_lo:[1,0,0]
	v_pk_fma_f32 v[8:9], v[38:39], v[18:19], v[8:9] op_sel:[1,1,0] op_sel_hi:[0,1,1] neg_lo:[1,0,0]
	s_waitcnt vmcnt(22)
	v_pk_fma_f32 v[12:13], v[36:37], v[20:21], v[12:13] op_sel_hi:[1,0,1]
	s_waitcnt vmcnt(21)
	v_pk_fma_f32 v[10:11], v[26:27], v[20:21], v[10:11] op_sel_hi:[1,0,1]
	v_pk_fma_f32 v[12:13], v[36:37], v[20:21], v[12:13] op_sel:[1,1,0] op_sel_hi:[0,1,1] neg_lo:[1,0,0]
	v_pk_fma_f32 v[10:11], v[26:27], v[20:21], v[10:11] op_sel:[1,1,0] op_sel_hi:[0,1,1] neg_lo:[1,0,0]
	v_add_u32_e32 v14, 0x2a0, v14
	s_waitcnt vmcnt(20)
	v_pk_fma_f32 v[8:9], v[30:31], v[20:21], v[8:9] op_sel_hi:[1,0,1]
	s_nop 0
	v_pk_fma_f32 v[8:9], v[30:31], v[20:21], v[8:9] op_sel:[1,1,0] op_sel_hi:[0,1,1] neg_lo:[1,0,0]
	s_waitcnt vmcnt(18)
	v_pk_fma_f32 v[12:13], v[44:45], v[46:47], v[12:13] op_sel_hi:[1,0,1]
	s_waitcnt vmcnt(17)
	v_pk_fma_f32 v[10:11], v[40:41], v[46:47], v[10:11] op_sel_hi:[1,0,1]
	s_waitcnt vmcnt(15)
	v_pk_fma_f32 v[8:9], v[54:55], v[46:47], v[8:9] op_sel_hi:[1,0,1]
	v_pk_fma_f32 v[12:13], v[44:45], v[46:47], v[12:13] op_sel:[1,1,0] op_sel_hi:[0,1,1] neg_lo:[1,0,0]
	v_pk_fma_f32 v[10:11], v[40:41], v[46:47], v[10:11] op_sel:[1,1,0] op_sel_hi:[0,1,1] neg_lo:[1,0,0]
	v_pk_fma_f32 v[8:9], v[54:55], v[46:47], v[8:9] op_sel:[1,1,0] op_sel_hi:[0,1,1] neg_lo:[1,0,0]
	s_waitcnt vmcnt(14)
	v_pk_fma_f32 v[12:13], v[52:53], v[56:57], v[12:13] op_sel_hi:[1,0,1]
	s_waitcnt vmcnt(13)
	v_pk_fma_f32 v[10:11], v[42:43], v[56:57], v[10:11] op_sel_hi:[1,0,1]
	s_waitcnt vmcnt(11)
	v_pk_fma_f32 v[8:9], v[62:63], v[56:57], v[8:9] op_sel_hi:[1,0,1]
	v_pk_fma_f32 v[12:13], v[52:53], v[56:57], v[12:13] op_sel:[1,1,0] op_sel_hi:[0,1,1] neg_lo:[1,0,0]
	v_pk_fma_f32 v[10:11], v[42:43], v[56:57], v[10:11] op_sel:[1,1,0] op_sel_hi:[0,1,1] neg_lo:[1,0,0]
	v_pk_fma_f32 v[8:9], v[62:63], v[56:57], v[8:9] op_sel:[1,1,0] op_sel_hi:[0,1,1] neg_lo:[1,0,0]
	s_waitcnt vmcnt(10)
	v_pk_fma_f32 v[12:13], v[60:61], v[64:65], v[12:13] op_sel_hi:[1,0,1]
	s_waitcnt vmcnt(9)
	v_pk_fma_f32 v[10:11], v[48:49], v[64:65], v[10:11] op_sel_hi:[1,0,1]
	s_waitcnt vmcnt(7)
	v_pk_fma_f32 v[8:9], v[70:71], v[64:65], v[8:9] op_sel_hi:[1,0,1]
	v_pk_fma_f32 v[12:13], v[60:61], v[64:65], v[12:13] op_sel:[1,1,0] op_sel_hi:[0,1,1] neg_lo:[1,0,0]
	v_pk_fma_f32 v[10:11], v[48:49], v[64:65], v[10:11] op_sel:[1,1,0] op_sel_hi:[0,1,1] neg_lo:[1,0,0]
	v_pk_fma_f32 v[8:9], v[70:71], v[64:65], v[8:9] op_sel:[1,1,0] op_sel_hi:[0,1,1] neg_lo:[1,0,0]
	s_waitcnt vmcnt(6)
	v_pk_fma_f32 v[12:13], v[68:69], v[72:73], v[12:13] op_sel_hi:[1,0,1]
	s_waitcnt vmcnt(5)
	v_pk_fma_f32 v[10:11], v[50:51], v[72:73], v[10:11] op_sel_hi:[1,0,1]
	v_pk_fma_f32 v[12:13], v[68:69], v[72:73], v[12:13] op_sel:[1,1,0] op_sel_hi:[0,1,1] neg_lo:[1,0,0]
	s_waitcnt vmcnt(3)
	v_pk_fma_f32 v[8:9], v[76:77], v[72:73], v[8:9] op_sel_hi:[1,0,1]
	v_pk_fma_f32 v[10:11], v[50:51], v[72:73], v[10:11] op_sel:[1,1,0] op_sel_hi:[0,1,1] neg_lo:[1,0,0]
	v_pk_fma_f32 v[8:9], v[76:77], v[72:73], v[8:9] op_sel:[1,1,0] op_sel_hi:[0,1,1] neg_lo:[1,0,0]
	s_waitcnt vmcnt(2)
	v_pk_fma_f32 v[12:13], v[74:75], v[78:79], v[12:13] op_sel_hi:[1,0,1]
	s_waitcnt vmcnt(1)
	v_pk_fma_f32 v[10:11], v[32:33], v[78:79], v[10:11] op_sel_hi:[1,0,1]
	;; [unrolled: 2-line block ×3, first 2 shown]
	v_pk_fma_f32 v[12:13], v[74:75], v[78:79], v[12:13] op_sel:[1,1,0] op_sel_hi:[0,1,1] neg_lo:[1,0,0]
	v_pk_fma_f32 v[10:11], v[32:33], v[78:79], v[10:11] op_sel:[1,1,0] op_sel_hi:[0,1,1] neg_lo:[1,0,0]
	v_pk_fma_f32 v[8:9], v[58:59], v[78:79], v[8:9] op_sel:[1,1,0] op_sel_hi:[0,1,1] neg_lo:[1,0,0]
	s_andn2_b64 exec, exec, s[2:3]
	s_cbranch_execnz .LBB102_21
; %bb.22:
	s_or_b64 exec, exec, s[2:3]
.LBB102_23:
	s_or_b64 exec, exec, s[4:5]
.LBB102_24:
	v_mov_b32_dpp v0, v12 row_shr:1 row_mask:0xf bank_mask:0xf
	v_add_f32_e32 v0, v12, v0
	v_mov_b32_dpp v12, v13 row_shr:1 row_mask:0xf bank_mask:0xf
	v_add_f32_e32 v12, v13, v12
	;; [unrolled: 2-line block ×9, first 2 shown]
	v_mov_b32_dpp v1, v0 row_bcast:15 row_mask:0xa bank_mask:0xf
	v_mov_b32_dpp v14, v13 row_bcast:15 row_mask:0xa bank_mask:0xf
	v_mov_b32_dpp v12, v10 row_shr:2 row_mask:0xf bank_mask:0xf
	v_add_f32_e32 v10, v10, v12
	v_cmp_eq_u32_e32 vcc, 31, v7
	s_nop 0
	v_mov_b32_dpp v12, v10 row_shr:4 row_mask:0xf bank_mask:0xe
	v_add_f32_e32 v10, v10, v12
	s_nop 1
	v_mov_b32_dpp v12, v10 row_shr:8 row_mask:0xf bank_mask:0xc
	v_add_f32_e32 v10, v10, v12
	s_nop 0
	v_mov_b32_dpp v12, v11 row_shr:1 row_mask:0xf bank_mask:0xf
	v_add_f32_e32 v11, v11, v12
	v_mov_b32_dpp v15, v10 row_bcast:15 row_mask:0xa bank_mask:0xf
	s_nop 0
	v_mov_b32_dpp v12, v11 row_shr:2 row_mask:0xf bank_mask:0xf
	v_add_f32_e32 v11, v11, v12
	s_nop 1
	v_mov_b32_dpp v12, v11 row_shr:4 row_mask:0xf bank_mask:0xe
	v_add_f32_e32 v11, v11, v12
	s_nop 1
	v_mov_b32_dpp v12, v11 row_shr:8 row_mask:0xf bank_mask:0xc
	v_add_f32_e32 v11, v11, v12
	s_nop 0
	v_mov_b32_dpp v12, v8 row_shr:1 row_mask:0xf bank_mask:0xf
	v_add_f32_e32 v8, v8, v12
	v_mov_b32_dpp v17, v11 row_bcast:15 row_mask:0xa bank_mask:0xf
	s_nop 0
	v_mov_b32_dpp v12, v8 row_shr:2 row_mask:0xf bank_mask:0xf
	v_add_f32_e32 v8, v8, v12
	;; [unrolled: 13-line block ×3, first 2 shown]
	s_nop 1
	v_mov_b32_dpp v12, v9 row_shr:4 row_mask:0xf bank_mask:0xe
	v_add_f32_e32 v9, v9, v12
	s_nop 1
	v_mov_b32_dpp v12, v9 row_shr:8 row_mask:0xf bank_mask:0xc
	v_add_f32_e32 v9, v9, v12
	s_nop 1
	v_mov_b32_dpp v19, v9 row_bcast:15 row_mask:0xa bank_mask:0xf
	s_and_b64 exec, exec, vcc
	s_cbranch_execz .LBB102_29
; %bb.25:
	s_load_dwordx2 s[2:3], s[0:1], 0x38
	v_add_f32_e32 v12, v0, v1
	v_and_b32_e32 v1, 0x7fffffff, v4
	v_cmp_eq_u32_e32 vcc, 0, v1
	v_cmp_eq_f32_e64 s[0:1], 0, v5
	v_add_f32_e32 v16, v13, v14
	v_add_f32_e32 v10, v10, v15
	;; [unrolled: 1-line block ×5, first 2 shown]
	s_and_b64 s[0:1], vcc, s[0:1]
	s_and_saveexec_b64 s[4:5], s[0:1]
	s_xor_b64 s[0:1], exec, s[4:5]
	s_cbranch_execz .LBB102_27
; %bb.26:
	v_lshl_add_u32 v4, v6, 1, v6
	v_xor_b32_e32 v18, 0x80000000, v3
	v_ashrrev_i32_e32 v5, 31, v4
	v_mov_b32_e32 v19, v2
	s_waitcnt lgkmcnt(0)
	v_lshl_add_u64 v[20:21], v[4:5], 3, s[2:3]
	v_pk_mul_f32 v[4:5], v[16:17], v[18:19] op_sel_hi:[0,1]
	v_pk_mul_f32 v[6:7], v[14:15], v[18:19] op_sel_hi:[0,1]
	v_pk_fma_f32 v[4:5], v[2:3], v[12:13], v[4:5] op_sel_hi:[1,0,1]
	v_pk_fma_f32 v[6:7], v[2:3], v[10:11], v[6:7] op_sel_hi:[1,0,1]
	global_store_dwordx4 v[20:21], v[4:7], off
                                        ; implicit-def: $vgpr6
                                        ; implicit-def: $vgpr12
                                        ; implicit-def: $vgpr16
                                        ; implicit-def: $vgpr10
                                        ; implicit-def: $vgpr14
	s_nop 1
	v_pk_mul_f32 v[4:5], v[8:9], v[18:19] op_sel_hi:[0,1]
	v_pk_fma_f32 v[0:1], v[2:3], v[0:1], v[4:5] op_sel_hi:[1,0,1]
	global_store_dwordx2 v[20:21], v[0:1], off offset:16
                                        ; implicit-def: $vgpr3
                                        ; implicit-def: $vgpr4
                                        ; implicit-def: $vgpr0
                                        ; implicit-def: $vgpr8
.LBB102_27:
	s_andn2_saveexec_b64 s[0:1], s[0:1]
	s_cbranch_execz .LBB102_29
; %bb.28:
	v_lshl_add_u32 v6, v6, 1, v6
	v_ashrrev_i32_e32 v7, 31, v6
	s_waitcnt lgkmcnt(0)
	v_lshl_add_u64 v[6:7], v[6:7], 3, s[2:3]
	global_load_dwordx4 v[18:21], v[6:7], off
	global_load_dwordx2 v[22:23], v[6:7], off offset:16
	v_xor_b32_e32 v24, 0x80000000, v3
	v_mov_b32_e32 v25, v2
	v_pk_mul_f32 v[16:17], v[16:17], v[24:25] op_sel_hi:[0,1]
	v_pk_mul_f32 v[14:15], v[14:15], v[24:25] op_sel_hi:[0,1]
	;; [unrolled: 1-line block ×3, first 2 shown]
	v_pk_fma_f32 v[12:13], v[2:3], v[12:13], v[16:17] op_sel_hi:[1,0,1]
	v_pk_fma_f32 v[10:11], v[2:3], v[10:11], v[14:15] op_sel_hi:[1,0,1]
	v_xor_b32_e32 v26, 0x80000000, v5
	v_mov_b32_e32 v27, v4
	v_pk_fma_f32 v[0:1], v[2:3], v[0:1], v[8:9] op_sel_hi:[1,0,1]
	s_waitcnt vmcnt(1)
	v_pk_fma_f32 v[2:3], v[4:5], v[18:19], v[12:13] op_sel_hi:[1,0,1]
	v_pk_fma_f32 v[8:9], v[4:5], v[20:21], v[10:11] op_sel_hi:[1,0,1]
	v_mov_b32_e32 v10, v21
	s_waitcnt vmcnt(0)
	v_pk_fma_f32 v[4:5], v[4:5], v[22:23], v[0:1] op_sel_hi:[1,0,1]
	v_pk_fma_f32 v[0:1], v[26:27], v[18:19], v[2:3] op_sel:[0,1,0]
	v_pk_fma_f32 v[2:3], v[26:27], v[10:11], v[8:9] op_sel_hi:[1,0,1]
	v_pk_fma_f32 v[4:5], v[26:27], v[22:23], v[4:5] op_sel:[0,1,0]
	global_store_dwordx4 v[6:7], v[0:3], off
	global_store_dwordx2 v[6:7], v[4:5], off offset:16
.LBB102_29:
	s_endpgm
	.section	.rodata,"a",@progbits
	.p2align	6, 0x0
	.amdhsa_kernel _ZN9rocsparseL19gebsrmvn_3xn_kernelILj128ELj7ELj32E21rocsparse_complex_numIfEEEvi20rocsparse_direction_NS_24const_host_device_scalarIT2_EEPKiS8_PKS5_SA_S6_PS5_21rocsparse_index_base_b
		.amdhsa_group_segment_fixed_size 0
		.amdhsa_private_segment_fixed_size 0
		.amdhsa_kernarg_size 72
		.amdhsa_user_sgpr_count 2
		.amdhsa_user_sgpr_dispatch_ptr 0
		.amdhsa_user_sgpr_queue_ptr 0
		.amdhsa_user_sgpr_kernarg_segment_ptr 1
		.amdhsa_user_sgpr_dispatch_id 0
		.amdhsa_user_sgpr_kernarg_preload_length 0
		.amdhsa_user_sgpr_kernarg_preload_offset 0
		.amdhsa_user_sgpr_private_segment_size 0
		.amdhsa_uses_dynamic_stack 0
		.amdhsa_enable_private_segment 0
		.amdhsa_system_sgpr_workgroup_id_x 1
		.amdhsa_system_sgpr_workgroup_id_y 0
		.amdhsa_system_sgpr_workgroup_id_z 0
		.amdhsa_system_sgpr_workgroup_info 0
		.amdhsa_system_vgpr_workitem_id 0
		.amdhsa_next_free_vgpr 82
		.amdhsa_next_free_sgpr 16
		.amdhsa_accum_offset 84
		.amdhsa_reserve_vcc 1
		.amdhsa_float_round_mode_32 0
		.amdhsa_float_round_mode_16_64 0
		.amdhsa_float_denorm_mode_32 3
		.amdhsa_float_denorm_mode_16_64 3
		.amdhsa_dx10_clamp 1
		.amdhsa_ieee_mode 1
		.amdhsa_fp16_overflow 0
		.amdhsa_tg_split 0
		.amdhsa_exception_fp_ieee_invalid_op 0
		.amdhsa_exception_fp_denorm_src 0
		.amdhsa_exception_fp_ieee_div_zero 0
		.amdhsa_exception_fp_ieee_overflow 0
		.amdhsa_exception_fp_ieee_underflow 0
		.amdhsa_exception_fp_ieee_inexact 0
		.amdhsa_exception_int_div_zero 0
	.end_amdhsa_kernel
	.section	.text._ZN9rocsparseL19gebsrmvn_3xn_kernelILj128ELj7ELj32E21rocsparse_complex_numIfEEEvi20rocsparse_direction_NS_24const_host_device_scalarIT2_EEPKiS8_PKS5_SA_S6_PS5_21rocsparse_index_base_b,"axG",@progbits,_ZN9rocsparseL19gebsrmvn_3xn_kernelILj128ELj7ELj32E21rocsparse_complex_numIfEEEvi20rocsparse_direction_NS_24const_host_device_scalarIT2_EEPKiS8_PKS5_SA_S6_PS5_21rocsparse_index_base_b,comdat
.Lfunc_end102:
	.size	_ZN9rocsparseL19gebsrmvn_3xn_kernelILj128ELj7ELj32E21rocsparse_complex_numIfEEEvi20rocsparse_direction_NS_24const_host_device_scalarIT2_EEPKiS8_PKS5_SA_S6_PS5_21rocsparse_index_base_b, .Lfunc_end102-_ZN9rocsparseL19gebsrmvn_3xn_kernelILj128ELj7ELj32E21rocsparse_complex_numIfEEEvi20rocsparse_direction_NS_24const_host_device_scalarIT2_EEPKiS8_PKS5_SA_S6_PS5_21rocsparse_index_base_b
                                        ; -- End function
	.section	.AMDGPU.csdata,"",@progbits
; Kernel info:
; codeLenInByte = 3440
; NumSgprs: 22
; NumVgprs: 82
; NumAgprs: 0
; TotalNumVgprs: 82
; ScratchSize: 0
; MemoryBound: 0
; FloatMode: 240
; IeeeMode: 1
; LDSByteSize: 0 bytes/workgroup (compile time only)
; SGPRBlocks: 2
; VGPRBlocks: 10
; NumSGPRsForWavesPerEU: 22
; NumVGPRsForWavesPerEU: 82
; AccumOffset: 84
; Occupancy: 5
; WaveLimiterHint : 1
; COMPUTE_PGM_RSRC2:SCRATCH_EN: 0
; COMPUTE_PGM_RSRC2:USER_SGPR: 2
; COMPUTE_PGM_RSRC2:TRAP_HANDLER: 0
; COMPUTE_PGM_RSRC2:TGID_X_EN: 1
; COMPUTE_PGM_RSRC2:TGID_Y_EN: 0
; COMPUTE_PGM_RSRC2:TGID_Z_EN: 0
; COMPUTE_PGM_RSRC2:TIDIG_COMP_CNT: 0
; COMPUTE_PGM_RSRC3_GFX90A:ACCUM_OFFSET: 20
; COMPUTE_PGM_RSRC3_GFX90A:TG_SPLIT: 0
	.section	.text._ZN9rocsparseL19gebsrmvn_3xn_kernelILj128ELj7ELj64E21rocsparse_complex_numIfEEEvi20rocsparse_direction_NS_24const_host_device_scalarIT2_EEPKiS8_PKS5_SA_S6_PS5_21rocsparse_index_base_b,"axG",@progbits,_ZN9rocsparseL19gebsrmvn_3xn_kernelILj128ELj7ELj64E21rocsparse_complex_numIfEEEvi20rocsparse_direction_NS_24const_host_device_scalarIT2_EEPKiS8_PKS5_SA_S6_PS5_21rocsparse_index_base_b,comdat
	.globl	_ZN9rocsparseL19gebsrmvn_3xn_kernelILj128ELj7ELj64E21rocsparse_complex_numIfEEEvi20rocsparse_direction_NS_24const_host_device_scalarIT2_EEPKiS8_PKS5_SA_S6_PS5_21rocsparse_index_base_b ; -- Begin function _ZN9rocsparseL19gebsrmvn_3xn_kernelILj128ELj7ELj64E21rocsparse_complex_numIfEEEvi20rocsparse_direction_NS_24const_host_device_scalarIT2_EEPKiS8_PKS5_SA_S6_PS5_21rocsparse_index_base_b
	.p2align	8
	.type	_ZN9rocsparseL19gebsrmvn_3xn_kernelILj128ELj7ELj64E21rocsparse_complex_numIfEEEvi20rocsparse_direction_NS_24const_host_device_scalarIT2_EEPKiS8_PKS5_SA_S6_PS5_21rocsparse_index_base_b,@function
_ZN9rocsparseL19gebsrmvn_3xn_kernelILj128ELj7ELj64E21rocsparse_complex_numIfEEEvi20rocsparse_direction_NS_24const_host_device_scalarIT2_EEPKiS8_PKS5_SA_S6_PS5_21rocsparse_index_base_b: ; @_ZN9rocsparseL19gebsrmvn_3xn_kernelILj128ELj7ELj64E21rocsparse_complex_numIfEEEvi20rocsparse_direction_NS_24const_host_device_scalarIT2_EEPKiS8_PKS5_SA_S6_PS5_21rocsparse_index_base_b
; %bb.0:
	s_load_dwordx2 s[12:13], s[0:1], 0x40
	s_load_dwordx2 s[8:9], s[0:1], 0x8
	;; [unrolled: 1-line block ×3, first 2 shown]
	s_waitcnt lgkmcnt(0)
	s_bitcmp1_b32 s13, 0
	s_cselect_b64 s[4:5], -1, 0
	s_xor_b64 s[10:11], s[4:5], -1
	s_and_b64 vcc, exec, s[4:5]
	v_mov_b32_e32 v2, s8
	s_cbranch_vccnz .LBB103_2
; %bb.1:
	v_mov_b64_e32 v[2:3], s[8:9]
	flat_load_dword v2, v[2:3]
.LBB103_2:
	v_cndmask_b32_e64 v1, 0, 1, s[10:11]
	v_cmp_ne_u32_e64 s[4:5], 1, v1
	s_andn2_b64 vcc, exec, s[10:11]
	v_mov_b32_e32 v3, s9
	s_cbranch_vccz .LBB103_16
; %bb.3:
	s_and_b64 vcc, exec, s[4:5]
	v_mov_b32_e32 v4, s6
	s_cbranch_vccz .LBB103_17
.LBB103_4:
	s_and_b64 vcc, exec, s[4:5]
	v_mov_b32_e32 v5, s7
	s_cbranch_vccnz .LBB103_6
.LBB103_5:
	v_mov_b64_e32 v[6:7], s[6:7]
	flat_load_dword v5, v[6:7] offset:4
.LBB103_6:
	s_waitcnt vmcnt(0) lgkmcnt(0)
	v_and_b32_e32 v1, 0x7fffffff, v2
	v_cmp_eq_u32_e32 vcc, 0, v1
	v_cmp_eq_f32_e64 s[4:5], 0, v3
	s_and_b64 s[8:9], vcc, s[4:5]
	s_mov_b64 s[4:5], -1
	s_and_saveexec_b64 s[6:7], s[8:9]
; %bb.7:
	v_and_b32_e32 v1, 0x7fffffff, v5
	v_cmp_neq_f32_e32 vcc, 1.0, v4
	v_cmp_ne_u32_e64 s[4:5], 0, v1
	s_or_b64 s[4:5], vcc, s[4:5]
	s_orn2_b64 s[4:5], s[4:5], exec
; %bb.8:
	s_or_b64 exec, exec, s[6:7]
	s_and_saveexec_b64 s[6:7], s[4:5]
	s_cbranch_execz .LBB103_29
; %bb.9:
	s_load_dwordx2 s[14:15], s[0:1], 0x0
	v_lshrrev_b32_e32 v1, 6, v0
	v_lshl_or_b32 v6, s2, 1, v1
	s_waitcnt lgkmcnt(0)
	v_cmp_gt_i32_e32 vcc, s14, v6
	s_and_b64 exec, exec, vcc
	s_cbranch_execz .LBB103_29
; %bb.10:
	s_load_dwordx8 s[4:11], s[0:1], 0x10
	v_ashrrev_i32_e32 v7, 31, v6
	s_cmp_lg_u32 s15, 0
	s_waitcnt lgkmcnt(0)
	v_lshl_add_u64 v[8:9], v[6:7], 2, s[4:5]
	global_load_dwordx2 v[8:9], v[8:9], off
	v_and_b32_e32 v7, 63, v0
	s_waitcnt vmcnt(0)
	v_subrev_u32_e32 v0, s12, v8
	v_subrev_u32_e32 v22, s12, v9
	v_add_u32_e32 v0, v0, v7
	v_cmp_lt_i32_e64 s[2:3], v0, v22
	s_cbranch_scc0 .LBB103_18
; %bb.11:
	v_mov_b32_e32 v13, 0
	v_mov_b32_e32 v12, v13
	;; [unrolled: 1-line block ×6, first 2 shown]
	s_and_saveexec_b64 s[4:5], s[2:3]
	s_cbranch_execz .LBB103_15
; %bb.12:
	v_mad_u64_u32 v[14:15], s[14:15], v0, 21, 20
	v_mov_b32_e32 v17, 0
	s_mov_b64 s[14:15], 0
	v_mov_b32_e32 v18, v0
	v_mov_b32_e32 v8, v17
	;; [unrolled: 1-line block ×7, first 2 shown]
.LBB103_13:                             ; =>This Inner Loop Header: Depth=1
	v_ashrrev_i32_e32 v19, 31, v18
	v_lshl_add_u64 v[20:21], v[18:19], 2, s[6:7]
	global_load_dword v1, v[20:21], off
	v_subrev_u32_e32 v16, 20, v14
	v_lshl_add_u64 v[24:25], v[16:17], 3, s[8:9]
	v_subrev_u32_e32 v16, 19, v14
	v_lshl_add_u64 v[28:29], v[16:17], 3, s[8:9]
	;; [unrolled: 2-line block ×4, first 2 shown]
	global_load_dwordx2 v[24:25], v[24:25], off
	v_mov_b32_e32 v21, v17
	global_load_dwordx2 v[28:29], v[28:29], off
	s_nop 0
	global_load_dwordx2 v[34:35], v[32:33], off
	global_load_dwordx2 v[36:37], v[30:31], off
	v_mov_b32_e32 v15, v17
	v_lshl_add_u64 v[26:27], v[14:15], 3, s[8:9]
	v_add_u32_e32 v18, 64, v18
	v_cmp_ge_i32_e32 vcc, v18, v22
	s_or_b64 s[14:15], vcc, s[14:15]
	s_waitcnt vmcnt(4)
	v_subrev_u32_e32 v1, s12, v1
	v_mul_lo_u32 v20, v1, 7
	v_add_u32_e32 v16, 1, v20
	v_lshl_add_u64 v[32:33], v[16:17], 3, s[10:11]
	v_add_u32_e32 v16, -16, v14
	v_lshl_add_u64 v[38:39], v[16:17], 3, s[8:9]
	v_add_u32_e32 v16, -15, v14
	v_lshl_add_u64 v[40:41], v[16:17], 3, s[8:9]
	v_add_u32_e32 v16, -14, v14
	v_lshl_add_u64 v[42:43], v[16:17], 3, s[8:9]
	v_add_u32_e32 v16, 2, v20
	v_lshl_add_u64 v[30:31], v[20:21], 3, s[10:11]
	v_lshl_add_u64 v[44:45], v[16:17], 3, s[10:11]
	v_add_u32_e32 v16, -13, v14
	global_load_dwordx2 v[30:31], v[30:31], off
	s_nop 0
	global_load_dwordx2 v[32:33], v[32:33], off
	s_waitcnt vmcnt(1)
	v_pk_fma_f32 v[12:13], v[24:25], v[30:31], v[12:13] op_sel_hi:[1,0,1]
	global_load_dwordx2 v[38:39], v[38:39], off
	v_pk_fma_f32 v[10:11], v[28:29], v[30:31], v[10:11] op_sel_hi:[1,0,1]
	global_load_dwordx2 v[40:41], v[40:41], off
	s_nop 0
	global_load_dwordx2 v[46:47], v[42:43], off
	global_load_dwordx2 v[48:49], v[44:45], off
	v_lshl_add_u64 v[42:43], v[16:17], 3, s[8:9]
	v_add_u32_e32 v16, -12, v14
	v_lshl_add_u64 v[44:45], v[16:17], 3, s[8:9]
	v_add_u32_e32 v16, -11, v14
	v_lshl_add_u64 v[50:51], v[16:17], 3, s[8:9]
	v_add_u32_e32 v16, 3, v20
	v_lshl_add_u64 v[52:53], v[16:17], 3, s[10:11]
	v_add_u32_e32 v16, -10, v14
	global_load_dwordx2 v[42:43], v[42:43], off
	s_nop 0
	global_load_dwordx2 v[54:55], v[50:51], off
	global_load_dwordx2 v[56:57], v[44:45], off
	global_load_dwordx2 v[58:59], v[52:53], off
	v_lshl_add_u64 v[44:45], v[16:17], 3, s[8:9]
	v_add_u32_e32 v16, -9, v14
	v_lshl_add_u64 v[50:51], v[16:17], 3, s[8:9]
	v_add_u32_e32 v16, -8, v14
	v_lshl_add_u64 v[52:53], v[16:17], 3, s[8:9]
	v_add_u32_e32 v16, 4, v20
	v_lshl_add_u64 v[60:61], v[16:17], 3, s[10:11]
	v_add_u32_e32 v16, -7, v14
	global_load_dwordx2 v[44:45], v[44:45], off
	s_nop 0
	global_load_dwordx2 v[62:63], v[52:53], off
	;; [unrolled: 13-line block ×3, first 2 shown]
	global_load_dwordx2 v[72:73], v[52:53], off
	global_load_dwordx2 v[74:75], v[68:69], off
	v_lshl_add_u64 v[52:53], v[16:17], 3, s[8:9]
	v_add_u32_e32 v16, -3, v14
	v_lshl_add_u64 v[60:61], v[16:17], 3, s[8:9]
	v_add_u32_e32 v16, -2, v14
	v_lshl_add_u64 v[68:69], v[16:17], 3, s[8:9]
	v_add_u32_e32 v16, 6, v20
	global_load_dwordx2 v[52:53], v[52:53], off
	v_lshl_add_u64 v[20:21], v[16:17], 3, s[10:11]
	v_add_u32_e32 v16, -1, v14
	global_load_dwordx2 v[76:77], v[68:69], off
	global_load_dwordx2 v[78:79], v[60:61], off
	;; [unrolled: 1-line block ×3, first 2 shown]
	v_lshl_add_u64 v[20:21], v[16:17], 3, s[8:9]
	global_load_dwordx2 v[60:61], v[20:21], off
	global_load_dwordx2 v[68:69], v[26:27], off
	v_pk_fma_f32 v[8:9], v[36:37], v[30:31], v[8:9] op_sel_hi:[1,0,1]
	v_pk_fma_f32 v[12:13], v[24:25], v[30:31], v[12:13] op_sel:[1,1,0] op_sel_hi:[0,1,1] neg_lo:[1,0,0]
	v_pk_fma_f32 v[10:11], v[28:29], v[30:31], v[10:11] op_sel:[1,1,0] op_sel_hi:[0,1,1] neg_lo:[1,0,0]
	;; [unrolled: 1-line block ×3, first 2 shown]
	s_waitcnt vmcnt(22)
	v_pk_fma_f32 v[12:13], v[34:35], v[32:33], v[12:13] op_sel_hi:[1,0,1]
	v_add_u32_e32 v14, 0x540, v14
	v_pk_fma_f32 v[12:13], v[34:35], v[32:33], v[12:13] op_sel:[1,1,0] op_sel_hi:[0,1,1] neg_lo:[1,0,0]
	s_waitcnt vmcnt(21)
	v_pk_fma_f32 v[10:11], v[38:39], v[32:33], v[10:11] op_sel_hi:[1,0,1]
	s_nop 0
	v_pk_fma_f32 v[10:11], v[38:39], v[32:33], v[10:11] op_sel:[1,1,0] op_sel_hi:[0,1,1] neg_lo:[1,0,0]
	s_waitcnt vmcnt(20)
	v_pk_fma_f32 v[8:9], v[40:41], v[32:33], v[8:9] op_sel_hi:[1,0,1]
	s_waitcnt vmcnt(18)
	v_pk_fma_f32 v[12:13], v[46:47], v[48:49], v[12:13] op_sel_hi:[1,0,1]
	v_pk_fma_f32 v[8:9], v[40:41], v[32:33], v[8:9] op_sel:[1,1,0] op_sel_hi:[0,1,1] neg_lo:[1,0,0]
	v_pk_fma_f32 v[12:13], v[46:47], v[48:49], v[12:13] op_sel:[1,1,0] op_sel_hi:[0,1,1] neg_lo:[1,0,0]
	s_waitcnt vmcnt(17)
	v_pk_fma_f32 v[10:11], v[42:43], v[48:49], v[10:11] op_sel_hi:[1,0,1]
	s_waitcnt vmcnt(15)
	v_pk_fma_f32 v[8:9], v[56:57], v[48:49], v[8:9] op_sel_hi:[1,0,1]
	v_pk_fma_f32 v[10:11], v[42:43], v[48:49], v[10:11] op_sel:[1,1,0] op_sel_hi:[0,1,1] neg_lo:[1,0,0]
	v_pk_fma_f32 v[8:9], v[56:57], v[48:49], v[8:9] op_sel:[1,1,0] op_sel_hi:[0,1,1] neg_lo:[1,0,0]
	s_waitcnt vmcnt(14)
	v_pk_fma_f32 v[12:13], v[54:55], v[58:59], v[12:13] op_sel_hi:[1,0,1]
	s_waitcnt vmcnt(13)
	v_pk_fma_f32 v[10:11], v[44:45], v[58:59], v[10:11] op_sel_hi:[1,0,1]
	s_waitcnt vmcnt(11)
	v_pk_fma_f32 v[8:9], v[64:65], v[58:59], v[8:9] op_sel_hi:[1,0,1]
	v_pk_fma_f32 v[12:13], v[54:55], v[58:59], v[12:13] op_sel:[1,1,0] op_sel_hi:[0,1,1] neg_lo:[1,0,0]
	v_pk_fma_f32 v[10:11], v[44:45], v[58:59], v[10:11] op_sel:[1,1,0] op_sel_hi:[0,1,1] neg_lo:[1,0,0]
	;; [unrolled: 1-line block ×3, first 2 shown]
	s_waitcnt vmcnt(10)
	v_pk_fma_f32 v[12:13], v[62:63], v[66:67], v[12:13] op_sel_hi:[1,0,1]
	s_waitcnt vmcnt(9)
	v_pk_fma_f32 v[10:11], v[50:51], v[66:67], v[10:11] op_sel_hi:[1,0,1]
	;; [unrolled: 2-line block ×3, first 2 shown]
	v_pk_fma_f32 v[12:13], v[62:63], v[66:67], v[12:13] op_sel:[1,1,0] op_sel_hi:[0,1,1] neg_lo:[1,0,0]
	v_pk_fma_f32 v[10:11], v[50:51], v[66:67], v[10:11] op_sel:[1,1,0] op_sel_hi:[0,1,1] neg_lo:[1,0,0]
	;; [unrolled: 1-line block ×3, first 2 shown]
	s_waitcnt vmcnt(6)
	v_pk_fma_f32 v[12:13], v[70:71], v[74:75], v[12:13] op_sel_hi:[1,0,1]
	s_waitcnt vmcnt(5)
	v_pk_fma_f32 v[10:11], v[52:53], v[74:75], v[10:11] op_sel_hi:[1,0,1]
	v_pk_fma_f32 v[12:13], v[70:71], v[74:75], v[12:13] op_sel:[1,1,0] op_sel_hi:[0,1,1] neg_lo:[1,0,0]
	s_waitcnt vmcnt(3)
	v_pk_fma_f32 v[8:9], v[78:79], v[74:75], v[8:9] op_sel_hi:[1,0,1]
	v_pk_fma_f32 v[10:11], v[52:53], v[74:75], v[10:11] op_sel:[1,1,0] op_sel_hi:[0,1,1] neg_lo:[1,0,0]
	v_pk_fma_f32 v[8:9], v[78:79], v[74:75], v[8:9] op_sel:[1,1,0] op_sel_hi:[0,1,1] neg_lo:[1,0,0]
	s_waitcnt vmcnt(2)
	v_pk_fma_f32 v[12:13], v[76:77], v[80:81], v[12:13] op_sel_hi:[1,0,1]
	s_waitcnt vmcnt(1)
	v_pk_fma_f32 v[10:11], v[60:61], v[80:81], v[10:11] op_sel_hi:[1,0,1]
	;; [unrolled: 2-line block ×3, first 2 shown]
	v_pk_fma_f32 v[12:13], v[76:77], v[80:81], v[12:13] op_sel:[1,1,0] op_sel_hi:[0,1,1] neg_lo:[1,0,0]
	v_pk_fma_f32 v[10:11], v[60:61], v[80:81], v[10:11] op_sel:[1,1,0] op_sel_hi:[0,1,1] neg_lo:[1,0,0]
	;; [unrolled: 1-line block ×3, first 2 shown]
	s_andn2_b64 exec, exec, s[14:15]
	s_cbranch_execnz .LBB103_13
; %bb.14:
	s_or_b64 exec, exec, s[14:15]
.LBB103_15:
	s_or_b64 exec, exec, s[4:5]
	s_cbranch_execz .LBB103_19
	s_branch .LBB103_24
.LBB103_16:
	v_mov_b64_e32 v[4:5], s[8:9]
	flat_load_dword v3, v[4:5] offset:4
	s_and_b64 vcc, exec, s[4:5]
	v_mov_b32_e32 v4, s6
	s_cbranch_vccnz .LBB103_4
.LBB103_17:
	v_mov_b64_e32 v[4:5], s[6:7]
	flat_load_dword v4, v[4:5]
	s_and_b64 vcc, exec, s[4:5]
	v_mov_b32_e32 v5, s7
	s_cbranch_vccz .LBB103_5
	s_branch .LBB103_6
.LBB103_18:
                                        ; implicit-def: $vgpr13
                                        ; implicit-def: $vgpr9
                                        ; implicit-def: $vgpr11
.LBB103_19:
	v_mov_b32_e32 v13, 0
	v_mov_b32_e32 v12, v13
	;; [unrolled: 1-line block ×6, first 2 shown]
	s_and_saveexec_b64 s[4:5], s[2:3]
	s_cbranch_execz .LBB103_23
; %bb.20:
	v_mad_u64_u32 v[14:15], s[2:3], v0, 21, 20
	v_mov_b32_e32 v17, 0
	s_mov_b64 s[2:3], 0
	v_mov_b32_e32 v8, v17
	v_mov_b32_e32 v9, v17
	;; [unrolled: 1-line block ×6, first 2 shown]
.LBB103_21:                             ; =>This Inner Loop Header: Depth=1
	v_ashrrev_i32_e32 v1, 31, v0
	v_lshl_add_u64 v[20:21], v[0:1], 2, s[6:7]
	global_load_dword v1, v[20:21], off
	v_subrev_u32_e32 v16, 20, v14
	v_add_u32_e32 v18, -13, v14
	v_mov_b32_e32 v19, v17
	v_add_u32_e32 v20, -6, v14
	v_mov_b32_e32 v25, v17
	v_mov_b32_e32 v21, v17
	v_lshl_add_u64 v[26:27], v[16:17], 3, s[8:9]
	v_lshl_add_u64 v[18:19], v[18:19], 3, s[8:9]
	v_subrev_u32_e32 v16, 19, v14
	v_lshl_add_u64 v[20:21], v[20:21], 3, s[8:9]
	v_lshl_add_u64 v[30:31], v[16:17], 3, s[8:9]
	global_load_dwordx2 v[32:33], v[26:27], off
	global_load_dwordx2 v[34:35], v[18:19], off
	;; [unrolled: 1-line block ×4, first 2 shown]
	v_mov_b32_e32 v15, v17
	v_lshl_add_u64 v[28:29], v[14:15], 3, s[8:9]
	v_add_u32_e32 v0, 64, v0
	v_cmp_ge_i32_e32 vcc, v0, v22
	s_or_b64 s[2:3], vcc, s[2:3]
	s_waitcnt vmcnt(4)
	v_subrev_u32_e32 v1, s12, v1
	v_mul_lo_u32 v24, v1, 7
	v_lshl_add_u64 v[18:19], v[24:25], 3, s[10:11]
	global_load_dwordx2 v[18:19], v[18:19], off
	v_add_u32_e32 v16, 1, v24
	v_lshl_add_u64 v[20:21], v[16:17], 3, s[10:11]
	global_load_dwordx2 v[20:21], v[20:21], off
	v_add_u32_e32 v16, -12, v14
	v_lshl_add_u64 v[26:27], v[16:17], 3, s[8:9]
	v_add_u32_e32 v16, -5, v14
	v_lshl_add_u64 v[30:31], v[16:17], 3, s[8:9]
	v_subrev_u32_e32 v16, 18, v14
	v_lshl_add_u64 v[40:41], v[16:17], 3, s[8:9]
	v_add_u32_e32 v16, 2, v24
	v_lshl_add_u64 v[42:43], v[16:17], 3, s[10:11]
	v_add_u32_e32 v16, -11, v14
	global_load_dwordx2 v[26:27], v[26:27], off
	s_waitcnt vmcnt(2)
	v_pk_fma_f32 v[12:13], v[32:33], v[18:19], v[12:13] op_sel_hi:[1,0,1]
	global_load_dwordx2 v[30:31], v[30:31], off
	s_nop 0
	global_load_dwordx2 v[44:45], v[40:41], off
	global_load_dwordx2 v[46:47], v[42:43], off
	v_lshl_add_u64 v[40:41], v[16:17], 3, s[8:9]
	v_add_u32_e32 v16, -4, v14
	v_lshl_add_u64 v[42:43], v[16:17], 3, s[8:9]
	v_subrev_u32_e32 v16, 17, v14
	v_lshl_add_u64 v[48:49], v[16:17], 3, s[8:9]
	v_add_u32_e32 v16, 3, v24
	v_lshl_add_u64 v[50:51], v[16:17], 3, s[10:11]
	v_add_u32_e32 v16, -10, v14
	global_load_dwordx2 v[40:41], v[40:41], off
	s_nop 0
	global_load_dwordx2 v[52:53], v[48:49], off
	global_load_dwordx2 v[54:55], v[42:43], off
	global_load_dwordx2 v[56:57], v[50:51], off
	v_lshl_add_u64 v[42:43], v[16:17], 3, s[8:9]
	v_add_u32_e32 v16, -3, v14
	v_lshl_add_u64 v[48:49], v[16:17], 3, s[8:9]
	v_add_u32_e32 v16, -16, v14
	v_lshl_add_u64 v[50:51], v[16:17], 3, s[8:9]
	v_add_u32_e32 v16, 4, v24
	v_lshl_add_u64 v[58:59], v[16:17], 3, s[10:11]
	v_add_u32_e32 v16, -9, v14
	global_load_dwordx2 v[42:43], v[42:43], off
	s_nop 0
	global_load_dwordx2 v[60:61], v[50:51], off
	global_load_dwordx2 v[62:63], v[48:49], off
	global_load_dwordx2 v[64:65], v[58:59], off
	v_lshl_add_u64 v[48:49], v[16:17], 3, s[8:9]
	v_add_u32_e32 v16, -2, v14
	v_lshl_add_u64 v[50:51], v[16:17], 3, s[8:9]
	v_add_u32_e32 v16, -15, v14
	;; [unrolled: 13-line block ×3, first 2 shown]
	v_lshl_add_u64 v[66:67], v[16:17], 3, s[8:9]
	v_add_u32_e32 v16, 6, v24
	global_load_dwordx2 v[50:51], v[50:51], off
	v_lshl_add_u64 v[24:25], v[16:17], 3, s[10:11]
	v_add_u32_e32 v16, -7, v14
	global_load_dwordx2 v[74:75], v[66:67], off
	global_load_dwordx2 v[76:77], v[58:59], off
	;; [unrolled: 1-line block ×3, first 2 shown]
	v_lshl_add_u64 v[24:25], v[16:17], 3, s[8:9]
	v_pk_fma_f32 v[12:13], v[32:33], v[18:19], v[12:13] op_sel:[1,1,0] op_sel_hi:[0,1,1] neg_lo:[1,0,0]
	global_load_dwordx2 v[32:33], v[24:25], off
	global_load_dwordx2 v[58:59], v[28:29], off
	v_pk_fma_f32 v[10:11], v[34:35], v[18:19], v[10:11] op_sel_hi:[1,0,1]
	v_pk_fma_f32 v[8:9], v[38:39], v[18:19], v[8:9] op_sel_hi:[1,0,1]
	v_pk_fma_f32 v[10:11], v[34:35], v[18:19], v[10:11] op_sel:[1,1,0] op_sel_hi:[0,1,1] neg_lo:[1,0,0]
	v_pk_fma_f32 v[8:9], v[38:39], v[18:19], v[8:9] op_sel:[1,1,0] op_sel_hi:[0,1,1] neg_lo:[1,0,0]
	s_waitcnt vmcnt(22)
	v_pk_fma_f32 v[12:13], v[36:37], v[20:21], v[12:13] op_sel_hi:[1,0,1]
	s_waitcnt vmcnt(21)
	v_pk_fma_f32 v[10:11], v[26:27], v[20:21], v[10:11] op_sel_hi:[1,0,1]
	v_pk_fma_f32 v[12:13], v[36:37], v[20:21], v[12:13] op_sel:[1,1,0] op_sel_hi:[0,1,1] neg_lo:[1,0,0]
	v_pk_fma_f32 v[10:11], v[26:27], v[20:21], v[10:11] op_sel:[1,1,0] op_sel_hi:[0,1,1] neg_lo:[1,0,0]
	v_add_u32_e32 v14, 0x540, v14
	s_waitcnt vmcnt(20)
	v_pk_fma_f32 v[8:9], v[30:31], v[20:21], v[8:9] op_sel_hi:[1,0,1]
	s_nop 0
	v_pk_fma_f32 v[8:9], v[30:31], v[20:21], v[8:9] op_sel:[1,1,0] op_sel_hi:[0,1,1] neg_lo:[1,0,0]
	s_waitcnt vmcnt(18)
	v_pk_fma_f32 v[12:13], v[44:45], v[46:47], v[12:13] op_sel_hi:[1,0,1]
	s_waitcnt vmcnt(17)
	v_pk_fma_f32 v[10:11], v[40:41], v[46:47], v[10:11] op_sel_hi:[1,0,1]
	s_waitcnt vmcnt(15)
	v_pk_fma_f32 v[8:9], v[54:55], v[46:47], v[8:9] op_sel_hi:[1,0,1]
	v_pk_fma_f32 v[12:13], v[44:45], v[46:47], v[12:13] op_sel:[1,1,0] op_sel_hi:[0,1,1] neg_lo:[1,0,0]
	v_pk_fma_f32 v[10:11], v[40:41], v[46:47], v[10:11] op_sel:[1,1,0] op_sel_hi:[0,1,1] neg_lo:[1,0,0]
	v_pk_fma_f32 v[8:9], v[54:55], v[46:47], v[8:9] op_sel:[1,1,0] op_sel_hi:[0,1,1] neg_lo:[1,0,0]
	s_waitcnt vmcnt(14)
	v_pk_fma_f32 v[12:13], v[52:53], v[56:57], v[12:13] op_sel_hi:[1,0,1]
	s_waitcnt vmcnt(13)
	v_pk_fma_f32 v[10:11], v[42:43], v[56:57], v[10:11] op_sel_hi:[1,0,1]
	s_waitcnt vmcnt(11)
	v_pk_fma_f32 v[8:9], v[62:63], v[56:57], v[8:9] op_sel_hi:[1,0,1]
	v_pk_fma_f32 v[12:13], v[52:53], v[56:57], v[12:13] op_sel:[1,1,0] op_sel_hi:[0,1,1] neg_lo:[1,0,0]
	v_pk_fma_f32 v[10:11], v[42:43], v[56:57], v[10:11] op_sel:[1,1,0] op_sel_hi:[0,1,1] neg_lo:[1,0,0]
	;; [unrolled: 9-line block ×3, first 2 shown]
	v_pk_fma_f32 v[8:9], v[70:71], v[64:65], v[8:9] op_sel:[1,1,0] op_sel_hi:[0,1,1] neg_lo:[1,0,0]
	s_waitcnt vmcnt(6)
	v_pk_fma_f32 v[12:13], v[68:69], v[72:73], v[12:13] op_sel_hi:[1,0,1]
	s_waitcnt vmcnt(5)
	v_pk_fma_f32 v[10:11], v[50:51], v[72:73], v[10:11] op_sel_hi:[1,0,1]
	v_pk_fma_f32 v[12:13], v[68:69], v[72:73], v[12:13] op_sel:[1,1,0] op_sel_hi:[0,1,1] neg_lo:[1,0,0]
	s_waitcnt vmcnt(3)
	v_pk_fma_f32 v[8:9], v[76:77], v[72:73], v[8:9] op_sel_hi:[1,0,1]
	v_pk_fma_f32 v[10:11], v[50:51], v[72:73], v[10:11] op_sel:[1,1,0] op_sel_hi:[0,1,1] neg_lo:[1,0,0]
	v_pk_fma_f32 v[8:9], v[76:77], v[72:73], v[8:9] op_sel:[1,1,0] op_sel_hi:[0,1,1] neg_lo:[1,0,0]
	s_waitcnt vmcnt(2)
	v_pk_fma_f32 v[12:13], v[74:75], v[78:79], v[12:13] op_sel_hi:[1,0,1]
	s_waitcnt vmcnt(1)
	v_pk_fma_f32 v[10:11], v[32:33], v[78:79], v[10:11] op_sel_hi:[1,0,1]
	;; [unrolled: 2-line block ×3, first 2 shown]
	v_pk_fma_f32 v[12:13], v[74:75], v[78:79], v[12:13] op_sel:[1,1,0] op_sel_hi:[0,1,1] neg_lo:[1,0,0]
	v_pk_fma_f32 v[10:11], v[32:33], v[78:79], v[10:11] op_sel:[1,1,0] op_sel_hi:[0,1,1] neg_lo:[1,0,0]
	;; [unrolled: 1-line block ×3, first 2 shown]
	s_andn2_b64 exec, exec, s[2:3]
	s_cbranch_execnz .LBB103_21
; %bb.22:
	s_or_b64 exec, exec, s[2:3]
.LBB103_23:
	s_or_b64 exec, exec, s[4:5]
.LBB103_24:
	v_mov_b32_dpp v0, v12 row_shr:1 row_mask:0xf bank_mask:0xf
	v_add_f32_e32 v0, v12, v0
	v_mov_b32_dpp v12, v13 row_shr:1 row_mask:0xf bank_mask:0xf
	v_add_f32_e32 v12, v13, v12
	;; [unrolled: 2-line block ×8, first 2 shown]
	v_mov_b32_dpp v1, v0 row_bcast:15 row_mask:0xa bank_mask:0xf
	v_add_f32_e32 v0, v0, v1
	v_mov_b32_dpp v13, v12 row_bcast:15 row_mask:0xa bank_mask:0xf
	v_add_f32_e32 v13, v12, v13
	v_mov_b32_dpp v12, v10 row_shr:1 row_mask:0xf bank_mask:0xf
	v_add_f32_e32 v10, v10, v12
	v_mov_b32_dpp v1, v0 row_bcast:31 row_mask:0xc bank_mask:0xf
	v_mov_b32_dpp v14, v13 row_bcast:31 row_mask:0xc bank_mask:0xf
	v_mov_b32_dpp v12, v10 row_shr:2 row_mask:0xf bank_mask:0xf
	v_add_f32_e32 v10, v10, v12
	v_cmp_eq_u32_e32 vcc, 63, v7
	s_nop 0
	v_mov_b32_dpp v12, v10 row_shr:4 row_mask:0xf bank_mask:0xe
	v_add_f32_e32 v10, v10, v12
	s_nop 1
	v_mov_b32_dpp v12, v10 row_shr:8 row_mask:0xf bank_mask:0xc
	v_add_f32_e32 v10, v10, v12
	s_nop 1
	v_mov_b32_dpp v12, v10 row_bcast:15 row_mask:0xa bank_mask:0xf
	v_add_f32_e32 v10, v10, v12
	s_nop 0
	v_mov_b32_dpp v12, v11 row_shr:1 row_mask:0xf bank_mask:0xf
	v_add_f32_e32 v11, v11, v12
	v_mov_b32_dpp v15, v10 row_bcast:31 row_mask:0xc bank_mask:0xf
	s_nop 0
	v_mov_b32_dpp v12, v11 row_shr:2 row_mask:0xf bank_mask:0xf
	v_add_f32_e32 v11, v11, v12
	s_nop 1
	v_mov_b32_dpp v12, v11 row_shr:4 row_mask:0xf bank_mask:0xe
	v_add_f32_e32 v11, v11, v12
	s_nop 1
	v_mov_b32_dpp v12, v11 row_shr:8 row_mask:0xf bank_mask:0xc
	v_add_f32_e32 v11, v11, v12
	s_nop 1
	v_mov_b32_dpp v12, v11 row_bcast:15 row_mask:0xa bank_mask:0xf
	v_add_f32_e32 v11, v11, v12
	s_nop 0
	v_mov_b32_dpp v12, v8 row_shr:1 row_mask:0xf bank_mask:0xf
	v_add_f32_e32 v8, v8, v12
	v_mov_b32_dpp v17, v11 row_bcast:31 row_mask:0xc bank_mask:0xf
	s_nop 0
	v_mov_b32_dpp v12, v8 row_shr:2 row_mask:0xf bank_mask:0xf
	v_add_f32_e32 v8, v8, v12
	;; [unrolled: 16-line block ×3, first 2 shown]
	s_nop 1
	v_mov_b32_dpp v12, v9 row_shr:4 row_mask:0xf bank_mask:0xe
	v_add_f32_e32 v9, v9, v12
	s_nop 1
	v_mov_b32_dpp v12, v9 row_shr:8 row_mask:0xf bank_mask:0xc
	v_add_f32_e32 v9, v9, v12
	s_nop 1
	v_mov_b32_dpp v12, v9 row_bcast:15 row_mask:0xa bank_mask:0xf
	v_add_f32_e32 v9, v9, v12
	s_nop 1
	v_mov_b32_dpp v19, v9 row_bcast:31 row_mask:0xc bank_mask:0xf
	s_and_b64 exec, exec, vcc
	s_cbranch_execz .LBB103_29
; %bb.25:
	s_load_dwordx2 s[2:3], s[0:1], 0x38
	v_add_f32_e32 v12, v0, v1
	v_and_b32_e32 v1, 0x7fffffff, v4
	v_cmp_eq_u32_e32 vcc, 0, v1
	v_cmp_eq_f32_e64 s[0:1], 0, v5
	v_add_f32_e32 v16, v13, v14
	v_add_f32_e32 v10, v10, v15
	;; [unrolled: 1-line block ×5, first 2 shown]
	s_and_b64 s[0:1], vcc, s[0:1]
	s_and_saveexec_b64 s[4:5], s[0:1]
	s_xor_b64 s[0:1], exec, s[4:5]
	s_cbranch_execz .LBB103_27
; %bb.26:
	v_lshl_add_u32 v4, v6, 1, v6
	v_xor_b32_e32 v18, 0x80000000, v3
	v_ashrrev_i32_e32 v5, 31, v4
	v_mov_b32_e32 v19, v2
	s_waitcnt lgkmcnt(0)
	v_lshl_add_u64 v[20:21], v[4:5], 3, s[2:3]
	v_pk_mul_f32 v[4:5], v[16:17], v[18:19] op_sel_hi:[0,1]
	v_pk_mul_f32 v[6:7], v[14:15], v[18:19] op_sel_hi:[0,1]
	v_pk_fma_f32 v[4:5], v[2:3], v[12:13], v[4:5] op_sel_hi:[1,0,1]
	v_pk_fma_f32 v[6:7], v[2:3], v[10:11], v[6:7] op_sel_hi:[1,0,1]
	global_store_dwordx4 v[20:21], v[4:7], off
                                        ; implicit-def: $vgpr6
                                        ; implicit-def: $vgpr12
                                        ; implicit-def: $vgpr16
                                        ; implicit-def: $vgpr10
                                        ; implicit-def: $vgpr14
	s_nop 1
	v_pk_mul_f32 v[4:5], v[8:9], v[18:19] op_sel_hi:[0,1]
	v_pk_fma_f32 v[0:1], v[2:3], v[0:1], v[4:5] op_sel_hi:[1,0,1]
	global_store_dwordx2 v[20:21], v[0:1], off offset:16
                                        ; implicit-def: $vgpr3
                                        ; implicit-def: $vgpr4
                                        ; implicit-def: $vgpr0
                                        ; implicit-def: $vgpr8
.LBB103_27:
	s_andn2_saveexec_b64 s[0:1], s[0:1]
	s_cbranch_execz .LBB103_29
; %bb.28:
	v_lshl_add_u32 v6, v6, 1, v6
	v_ashrrev_i32_e32 v7, 31, v6
	s_waitcnt lgkmcnt(0)
	v_lshl_add_u64 v[6:7], v[6:7], 3, s[2:3]
	global_load_dwordx4 v[18:21], v[6:7], off
	global_load_dwordx2 v[22:23], v[6:7], off offset:16
	v_xor_b32_e32 v24, 0x80000000, v3
	v_mov_b32_e32 v25, v2
	v_pk_mul_f32 v[16:17], v[16:17], v[24:25] op_sel_hi:[0,1]
	v_pk_mul_f32 v[14:15], v[14:15], v[24:25] op_sel_hi:[0,1]
	;; [unrolled: 1-line block ×3, first 2 shown]
	v_pk_fma_f32 v[12:13], v[2:3], v[12:13], v[16:17] op_sel_hi:[1,0,1]
	v_pk_fma_f32 v[10:11], v[2:3], v[10:11], v[14:15] op_sel_hi:[1,0,1]
	v_xor_b32_e32 v26, 0x80000000, v5
	v_mov_b32_e32 v27, v4
	v_pk_fma_f32 v[0:1], v[2:3], v[0:1], v[8:9] op_sel_hi:[1,0,1]
	s_waitcnt vmcnt(1)
	v_pk_fma_f32 v[2:3], v[4:5], v[18:19], v[12:13] op_sel_hi:[1,0,1]
	v_pk_fma_f32 v[8:9], v[4:5], v[20:21], v[10:11] op_sel_hi:[1,0,1]
	v_mov_b32_e32 v10, v21
	s_waitcnt vmcnt(0)
	v_pk_fma_f32 v[4:5], v[4:5], v[22:23], v[0:1] op_sel_hi:[1,0,1]
	v_pk_fma_f32 v[0:1], v[26:27], v[18:19], v[2:3] op_sel:[0,1,0]
	v_pk_fma_f32 v[2:3], v[26:27], v[10:11], v[8:9] op_sel_hi:[1,0,1]
	v_pk_fma_f32 v[4:5], v[26:27], v[22:23], v[4:5] op_sel:[0,1,0]
	global_store_dwordx4 v[6:7], v[0:3], off
	global_store_dwordx2 v[6:7], v[4:5], off offset:16
.LBB103_29:
	s_endpgm
	.section	.rodata,"a",@progbits
	.p2align	6, 0x0
	.amdhsa_kernel _ZN9rocsparseL19gebsrmvn_3xn_kernelILj128ELj7ELj64E21rocsparse_complex_numIfEEEvi20rocsparse_direction_NS_24const_host_device_scalarIT2_EEPKiS8_PKS5_SA_S6_PS5_21rocsparse_index_base_b
		.amdhsa_group_segment_fixed_size 0
		.amdhsa_private_segment_fixed_size 0
		.amdhsa_kernarg_size 72
		.amdhsa_user_sgpr_count 2
		.amdhsa_user_sgpr_dispatch_ptr 0
		.amdhsa_user_sgpr_queue_ptr 0
		.amdhsa_user_sgpr_kernarg_segment_ptr 1
		.amdhsa_user_sgpr_dispatch_id 0
		.amdhsa_user_sgpr_kernarg_preload_length 0
		.amdhsa_user_sgpr_kernarg_preload_offset 0
		.amdhsa_user_sgpr_private_segment_size 0
		.amdhsa_uses_dynamic_stack 0
		.amdhsa_enable_private_segment 0
		.amdhsa_system_sgpr_workgroup_id_x 1
		.amdhsa_system_sgpr_workgroup_id_y 0
		.amdhsa_system_sgpr_workgroup_id_z 0
		.amdhsa_system_sgpr_workgroup_info 0
		.amdhsa_system_vgpr_workitem_id 0
		.amdhsa_next_free_vgpr 82
		.amdhsa_next_free_sgpr 16
		.amdhsa_accum_offset 84
		.amdhsa_reserve_vcc 1
		.amdhsa_float_round_mode_32 0
		.amdhsa_float_round_mode_16_64 0
		.amdhsa_float_denorm_mode_32 3
		.amdhsa_float_denorm_mode_16_64 3
		.amdhsa_dx10_clamp 1
		.amdhsa_ieee_mode 1
		.amdhsa_fp16_overflow 0
		.amdhsa_tg_split 0
		.amdhsa_exception_fp_ieee_invalid_op 0
		.amdhsa_exception_fp_denorm_src 0
		.amdhsa_exception_fp_ieee_div_zero 0
		.amdhsa_exception_fp_ieee_overflow 0
		.amdhsa_exception_fp_ieee_underflow 0
		.amdhsa_exception_fp_ieee_inexact 0
		.amdhsa_exception_int_div_zero 0
	.end_amdhsa_kernel
	.section	.text._ZN9rocsparseL19gebsrmvn_3xn_kernelILj128ELj7ELj64E21rocsparse_complex_numIfEEEvi20rocsparse_direction_NS_24const_host_device_scalarIT2_EEPKiS8_PKS5_SA_S6_PS5_21rocsparse_index_base_b,"axG",@progbits,_ZN9rocsparseL19gebsrmvn_3xn_kernelILj128ELj7ELj64E21rocsparse_complex_numIfEEEvi20rocsparse_direction_NS_24const_host_device_scalarIT2_EEPKiS8_PKS5_SA_S6_PS5_21rocsparse_index_base_b,comdat
.Lfunc_end103:
	.size	_ZN9rocsparseL19gebsrmvn_3xn_kernelILj128ELj7ELj64E21rocsparse_complex_numIfEEEvi20rocsparse_direction_NS_24const_host_device_scalarIT2_EEPKiS8_PKS5_SA_S6_PS5_21rocsparse_index_base_b, .Lfunc_end103-_ZN9rocsparseL19gebsrmvn_3xn_kernelILj128ELj7ELj64E21rocsparse_complex_numIfEEEvi20rocsparse_direction_NS_24const_host_device_scalarIT2_EEPKiS8_PKS5_SA_S6_PS5_21rocsparse_index_base_b
                                        ; -- End function
	.section	.AMDGPU.csdata,"",@progbits
; Kernel info:
; codeLenInByte = 3528
; NumSgprs: 22
; NumVgprs: 82
; NumAgprs: 0
; TotalNumVgprs: 82
; ScratchSize: 0
; MemoryBound: 0
; FloatMode: 240
; IeeeMode: 1
; LDSByteSize: 0 bytes/workgroup (compile time only)
; SGPRBlocks: 2
; VGPRBlocks: 10
; NumSGPRsForWavesPerEU: 22
; NumVGPRsForWavesPerEU: 82
; AccumOffset: 84
; Occupancy: 5
; WaveLimiterHint : 1
; COMPUTE_PGM_RSRC2:SCRATCH_EN: 0
; COMPUTE_PGM_RSRC2:USER_SGPR: 2
; COMPUTE_PGM_RSRC2:TRAP_HANDLER: 0
; COMPUTE_PGM_RSRC2:TGID_X_EN: 1
; COMPUTE_PGM_RSRC2:TGID_Y_EN: 0
; COMPUTE_PGM_RSRC2:TGID_Z_EN: 0
; COMPUTE_PGM_RSRC2:TIDIG_COMP_CNT: 0
; COMPUTE_PGM_RSRC3_GFX90A:ACCUM_OFFSET: 20
; COMPUTE_PGM_RSRC3_GFX90A:TG_SPLIT: 0
	.section	.text._ZN9rocsparseL19gebsrmvn_3xn_kernelILj128ELj8ELj4E21rocsparse_complex_numIfEEEvi20rocsparse_direction_NS_24const_host_device_scalarIT2_EEPKiS8_PKS5_SA_S6_PS5_21rocsparse_index_base_b,"axG",@progbits,_ZN9rocsparseL19gebsrmvn_3xn_kernelILj128ELj8ELj4E21rocsparse_complex_numIfEEEvi20rocsparse_direction_NS_24const_host_device_scalarIT2_EEPKiS8_PKS5_SA_S6_PS5_21rocsparse_index_base_b,comdat
	.globl	_ZN9rocsparseL19gebsrmvn_3xn_kernelILj128ELj8ELj4E21rocsparse_complex_numIfEEEvi20rocsparse_direction_NS_24const_host_device_scalarIT2_EEPKiS8_PKS5_SA_S6_PS5_21rocsparse_index_base_b ; -- Begin function _ZN9rocsparseL19gebsrmvn_3xn_kernelILj128ELj8ELj4E21rocsparse_complex_numIfEEEvi20rocsparse_direction_NS_24const_host_device_scalarIT2_EEPKiS8_PKS5_SA_S6_PS5_21rocsparse_index_base_b
	.p2align	8
	.type	_ZN9rocsparseL19gebsrmvn_3xn_kernelILj128ELj8ELj4E21rocsparse_complex_numIfEEEvi20rocsparse_direction_NS_24const_host_device_scalarIT2_EEPKiS8_PKS5_SA_S6_PS5_21rocsparse_index_base_b,@function
_ZN9rocsparseL19gebsrmvn_3xn_kernelILj128ELj8ELj4E21rocsparse_complex_numIfEEEvi20rocsparse_direction_NS_24const_host_device_scalarIT2_EEPKiS8_PKS5_SA_S6_PS5_21rocsparse_index_base_b: ; @_ZN9rocsparseL19gebsrmvn_3xn_kernelILj128ELj8ELj4E21rocsparse_complex_numIfEEEvi20rocsparse_direction_NS_24const_host_device_scalarIT2_EEPKiS8_PKS5_SA_S6_PS5_21rocsparse_index_base_b
; %bb.0:
	s_load_dwordx2 s[12:13], s[0:1], 0x40
	s_load_dwordx2 s[8:9], s[0:1], 0x8
	s_load_dwordx2 s[6:7], s[0:1], 0x30
	s_waitcnt lgkmcnt(0)
	s_bitcmp1_b32 s13, 0
	s_cselect_b64 s[4:5], -1, 0
	s_xor_b64 s[10:11], s[4:5], -1
	s_and_b64 vcc, exec, s[4:5]
	v_mov_b32_e32 v2, s8
	s_cbranch_vccnz .LBB104_2
; %bb.1:
	v_mov_b64_e32 v[2:3], s[8:9]
	flat_load_dword v2, v[2:3]
.LBB104_2:
	v_cndmask_b32_e64 v1, 0, 1, s[10:11]
	v_cmp_ne_u32_e64 s[4:5], 1, v1
	s_andn2_b64 vcc, exec, s[10:11]
	v_mov_b32_e32 v3, s9
	s_cbranch_vccz .LBB104_16
; %bb.3:
	s_and_b64 vcc, exec, s[4:5]
	v_mov_b32_e32 v4, s6
	s_cbranch_vccz .LBB104_17
.LBB104_4:
	s_and_b64 vcc, exec, s[4:5]
	v_mov_b32_e32 v5, s7
	s_cbranch_vccnz .LBB104_6
.LBB104_5:
	v_mov_b64_e32 v[6:7], s[6:7]
	flat_load_dword v5, v[6:7] offset:4
.LBB104_6:
	s_waitcnt vmcnt(0) lgkmcnt(0)
	v_and_b32_e32 v1, 0x7fffffff, v2
	v_cmp_eq_u32_e32 vcc, 0, v1
	v_cmp_eq_f32_e64 s[4:5], 0, v3
	s_and_b64 s[8:9], vcc, s[4:5]
	s_mov_b64 s[4:5], -1
	s_and_saveexec_b64 s[6:7], s[8:9]
; %bb.7:
	v_and_b32_e32 v1, 0x7fffffff, v5
	v_cmp_neq_f32_e32 vcc, 1.0, v4
	v_cmp_ne_u32_e64 s[4:5], 0, v1
	s_or_b64 s[4:5], vcc, s[4:5]
	s_orn2_b64 s[4:5], s[4:5], exec
; %bb.8:
	s_or_b64 exec, exec, s[6:7]
	s_and_saveexec_b64 s[6:7], s[4:5]
	s_cbranch_execz .LBB104_29
; %bb.9:
	s_load_dwordx2 s[14:15], s[0:1], 0x0
	v_lshrrev_b32_e32 v1, 2, v0
	v_lshl_or_b32 v6, s2, 5, v1
	s_waitcnt lgkmcnt(0)
	v_cmp_gt_i32_e32 vcc, s14, v6
	s_and_b64 exec, exec, vcc
	s_cbranch_execz .LBB104_29
; %bb.10:
	s_load_dwordx8 s[4:11], s[0:1], 0x10
	v_ashrrev_i32_e32 v7, 31, v6
	s_cmp_lg_u32 s15, 0
	s_waitcnt lgkmcnt(0)
	v_lshl_add_u64 v[8:9], v[6:7], 2, s[4:5]
	global_load_dwordx2 v[8:9], v[8:9], off
	v_and_b32_e32 v7, 3, v0
	s_waitcnt vmcnt(0)
	v_subrev_u32_e32 v0, s12, v8
	v_subrev_u32_e32 v22, s12, v9
	v_add_u32_e32 v0, v0, v7
	v_cmp_lt_i32_e64 s[2:3], v0, v22
	s_cbranch_scc0 .LBB104_18
; %bb.11:
	v_mov_b32_e32 v13, 0
	v_mov_b32_e32 v12, v13
	;; [unrolled: 1-line block ×6, first 2 shown]
	s_and_saveexec_b64 s[4:5], s[2:3]
	s_cbranch_execz .LBB104_15
; %bb.12:
	v_mad_u64_u32 v[14:15], s[14:15], v0, 24, 23
	v_mov_b32_e32 v17, 0
	s_mov_b64 s[14:15], 0
	v_mov_b32_e32 v18, v0
	v_mov_b32_e32 v8, v17
	;; [unrolled: 1-line block ×7, first 2 shown]
.LBB104_13:                             ; =>This Inner Loop Header: Depth=1
	v_ashrrev_i32_e32 v19, 31, v18
	v_subrev_u32_e32 v16, 23, v14
	v_lshl_add_u64 v[40:41], v[18:19], 2, s[6:7]
	v_lshl_add_u64 v[42:43], v[16:17], 3, s[8:9]
	global_load_dword v1, v[40:41], off
	global_load_dwordx4 v[24:27], v[42:43], off
	global_load_dwordx4 v[28:31], v[42:43], off offset:16
	global_load_dwordx4 v[32:35], v[42:43], off offset:48
	;; [unrolled: 1-line block ×3, first 2 shown]
	v_add_u32_e32 v16, -15, v14
	v_mov_b32_e32 v15, v17
	v_lshl_add_u64 v[40:41], v[16:17], 3, s[8:9]
	v_add_u32_e32 v16, -14, v14
	v_lshl_add_u64 v[44:45], v[14:15], 3, s[8:9]
	v_lshl_add_u64 v[42:43], v[16:17], 3, s[8:9]
	v_add_u32_e32 v16, -13, v14
	global_load_dwordx2 v[48:49], v[44:45], off
	global_load_dwordx2 v[52:53], v[42:43], off
	;; [unrolled: 1-line block ×3, first 2 shown]
	v_lshl_add_u64 v[40:41], v[16:17], 3, s[8:9]
	v_add_u32_e32 v16, -12, v14
	v_lshl_add_u64 v[42:43], v[16:17], 3, s[8:9]
	v_add_u32_e32 v16, -11, v14
	global_load_dwordx2 v[54:55], v[40:41], off
	global_load_dwordx2 v[56:57], v[42:43], off
	v_lshl_add_u64 v[40:41], v[16:17], 3, s[8:9]
	v_add_u32_e32 v16, -10, v14
	v_lshl_add_u64 v[42:43], v[16:17], 3, s[8:9]
	v_add_u32_e32 v16, -9, v14
	global_load_dwordx2 v[58:59], v[40:41], off
	global_load_dwordx2 v[60:61], v[42:43], off
	;; [unrolled: 6-line block ×4, first 2 shown]
	v_lshl_add_u64 v[40:41], v[16:17], 3, s[8:9]
	v_add_u32_e32 v16, -4, v14
	v_lshl_add_u64 v[42:43], v[16:17], 3, s[8:9]
	v_add_u32_e32 v16, -3, v14
	v_mov_b32_e32 v21, v17
	global_load_dwordx2 v[70:71], v[40:41], off
	global_load_dwordx2 v[72:73], v[42:43], off
	v_lshl_add_u64 v[40:41], v[16:17], 3, s[8:9]
	v_add_u32_e32 v16, -2, v14
	v_lshl_add_u64 v[42:43], v[16:17], 3, s[8:9]
	global_load_dwordx2 v[74:75], v[40:41], off
	global_load_dwordx2 v[78:79], v[42:43], off
	v_add_u32_e32 v16, -1, v14
	v_lshl_add_u64 v[76:77], v[16:17], 3, s[8:9]
	v_add_u32_e32 v18, 4, v18
	v_cmp_ge_i32_e32 vcc, v18, v22
	s_or_b64 s[14:15], vcc, s[14:15]
	v_add_u32_e32 v14, 0x60, v14
	s_waitcnt vmcnt(19)
	v_subrev_u32_e32 v1, s12, v1
	v_lshlrev_b32_e32 v20, 3, v1
	v_lshl_add_u64 v[20:21], v[20:21], 3, s[10:11]
	global_load_dwordx4 v[40:43], v[20:21], off
	global_load_dwordx4 v[44:47], v[20:21], off offset:16
	s_waitcnt vmcnt(20)
	v_xor_b32_e32 v80, 0x80000000, v27
	v_mov_b32_e32 v81, v26
	s_waitcnt vmcnt(19)
	v_xor_b32_e32 v82, 0x80000000, v31
	v_mov_b32_e32 v83, v30
	s_waitcnt vmcnt(1)
	v_pk_fma_f32 v[12:13], v[24:25], v[40:41], v[12:13] op_sel_hi:[1,0,1]
	v_pk_fma_f32 v[84:85], v[26:27], v[40:41], v[10:11] op_sel_hi:[1,0,1]
	v_pk_fma_f32 v[24:25], v[24:25], v[40:41], v[12:13] op_sel:[1,1,0] op_sel_hi:[0,1,1] neg_lo:[1,0,0]
	global_load_dwordx4 v[10:13], v[20:21], off offset:32
	v_pk_fma_f32 v[8:9], v[28:29], v[40:41], v[8:9] op_sel_hi:[1,0,1]
	v_mov_b32_e32 v16, v43
	v_pk_fma_f32 v[8:9], v[28:29], v[40:41], v[8:9] op_sel:[1,1,0] op_sel_hi:[0,1,1] neg_lo:[1,0,0]
	v_pk_fma_f32 v[28:29], v[30:31], v[42:43], v[24:25] op_sel_hi:[1,0,1]
	global_load_dwordx4 v[24:27], v[20:21], off offset:48
	global_load_dwordx2 v[30:31], v[76:77], off
	v_pk_fma_f32 v[40:41], v[80:81], v[40:41], v[84:85] op_sel:[0,1,0]
	v_xor_b32_e32 v20, 0x80000000, v39
	v_mov_b32_e32 v21, v38
	v_pk_fma_f32 v[40:41], v[36:37], v[42:43], v[40:41] op_sel_hi:[1,0,1]
	v_pk_fma_f32 v[8:9], v[38:39], v[42:43], v[8:9] op_sel_hi:[1,0,1]
	v_pk_fma_f32 v[36:37], v[36:37], v[16:17], v[40:41] op_sel:[1,0,0] op_sel_hi:[0,0,1] neg_lo:[1,0,0]
	v_pk_fma_f32 v[28:29], v[82:83], v[16:17], v[28:29] op_sel_hi:[1,0,1]
	v_pk_fma_f32 v[8:9], v[20:21], v[16:17], v[8:9] op_sel_hi:[1,0,1]
	v_xor_b32_e32 v76, 0x80000000, v35
	v_mov_b32_e32 v77, v34
	s_waitcnt vmcnt(3)
	v_pk_fma_f32 v[20:21], v[32:33], v[44:45], v[28:29] op_sel_hi:[1,0,1]
	v_pk_fma_f32 v[28:29], v[34:35], v[44:45], v[36:37] op_sel_hi:[1,0,1]
	;; [unrolled: 1-line block ×3, first 2 shown]
	v_pk_fma_f32 v[20:21], v[32:33], v[44:45], v[20:21] op_sel:[1,1,0] op_sel_hi:[0,1,1] neg_lo:[1,0,0]
	v_pk_fma_f32 v[28:29], v[76:77], v[44:45], v[28:29] op_sel:[0,1,0]
	v_pk_fma_f32 v[8:9], v[50:51], v[44:45], v[8:9] op_sel:[1,1,0] op_sel_hi:[0,1,1] neg_lo:[1,0,0]
	v_mov_b32_e32 v38, v47
	v_pk_fma_f32 v[20:21], v[52:53], v[46:47], v[20:21] op_sel_hi:[1,0,1]
	v_pk_fma_f32 v[28:29], v[54:55], v[46:47], v[28:29] op_sel_hi:[1,0,1]
	;; [unrolled: 1-line block ×3, first 2 shown]
	v_pk_fma_f32 v[20:21], v[52:53], v[38:39], v[20:21] op_sel:[1,0,0] op_sel_hi:[0,0,1] neg_lo:[1,0,0]
	v_pk_fma_f32 v[28:29], v[54:55], v[38:39], v[28:29] op_sel:[1,0,0] op_sel_hi:[0,0,1] neg_lo:[1,0,0]
	;; [unrolled: 1-line block ×3, first 2 shown]
	s_waitcnt vmcnt(2)
	v_pk_fma_f32 v[20:21], v[58:59], v[10:11], v[20:21] op_sel_hi:[1,0,1]
	v_pk_fma_f32 v[28:29], v[60:61], v[10:11], v[28:29] op_sel_hi:[1,0,1]
	;; [unrolled: 1-line block ×3, first 2 shown]
	v_pk_fma_f32 v[20:21], v[58:59], v[10:11], v[20:21] op_sel:[1,1,0] op_sel_hi:[0,1,1] neg_lo:[1,0,0]
	v_pk_fma_f32 v[28:29], v[60:61], v[10:11], v[28:29] op_sel:[1,1,0] op_sel_hi:[0,1,1] neg_lo:[1,0,0]
	;; [unrolled: 1-line block ×3, first 2 shown]
	v_mov_b32_e32 v40, v13
	v_pk_fma_f32 v[10:11], v[64:65], v[12:13], v[20:21] op_sel_hi:[1,0,1]
	v_pk_fma_f32 v[20:21], v[66:67], v[12:13], v[28:29] op_sel_hi:[1,0,1]
	;; [unrolled: 1-line block ×3, first 2 shown]
	v_pk_fma_f32 v[10:11], v[64:65], v[40:41], v[10:11] op_sel:[1,0,0] op_sel_hi:[0,0,1] neg_lo:[1,0,0]
	v_pk_fma_f32 v[12:13], v[66:67], v[40:41], v[20:21] op_sel:[1,0,0] op_sel_hi:[0,0,1] neg_lo:[1,0,0]
	;; [unrolled: 1-line block ×3, first 2 shown]
	s_waitcnt vmcnt(1)
	v_pk_fma_f32 v[10:11], v[70:71], v[24:25], v[10:11] op_sel_hi:[1,0,1]
	v_pk_fma_f32 v[12:13], v[72:73], v[24:25], v[12:13] op_sel_hi:[1,0,1]
	;; [unrolled: 1-line block ×3, first 2 shown]
	v_pk_fma_f32 v[10:11], v[70:71], v[24:25], v[10:11] op_sel:[1,1,0] op_sel_hi:[0,1,1] neg_lo:[1,0,0]
	v_pk_fma_f32 v[12:13], v[72:73], v[24:25], v[12:13] op_sel:[1,1,0] op_sel_hi:[0,1,1] neg_lo:[1,0,0]
	;; [unrolled: 1-line block ×3, first 2 shown]
	v_mov_b32_e32 v42, v27
	v_pk_fma_f32 v[10:11], v[78:79], v[26:27], v[10:11] op_sel_hi:[1,0,1]
	s_waitcnt vmcnt(0)
	v_pk_fma_f32 v[20:21], v[30:31], v[26:27], v[12:13] op_sel_hi:[1,0,1]
	v_pk_fma_f32 v[8:9], v[48:49], v[26:27], v[8:9] op_sel_hi:[1,0,1]
	v_pk_fma_f32 v[12:13], v[78:79], v[42:43], v[10:11] op_sel:[1,0,0] op_sel_hi:[0,0,1] neg_lo:[1,0,0]
	v_pk_fma_f32 v[10:11], v[30:31], v[42:43], v[20:21] op_sel:[1,0,0] op_sel_hi:[0,0,1] neg_lo:[1,0,0]
	;; [unrolled: 1-line block ×3, first 2 shown]
	s_andn2_b64 exec, exec, s[14:15]
	s_cbranch_execnz .LBB104_13
; %bb.14:
	s_or_b64 exec, exec, s[14:15]
.LBB104_15:
	s_or_b64 exec, exec, s[4:5]
	s_cbranch_execz .LBB104_19
	s_branch .LBB104_24
.LBB104_16:
	v_mov_b64_e32 v[4:5], s[8:9]
	flat_load_dword v3, v[4:5] offset:4
	s_and_b64 vcc, exec, s[4:5]
	v_mov_b32_e32 v4, s6
	s_cbranch_vccnz .LBB104_4
.LBB104_17:
	v_mov_b64_e32 v[4:5], s[6:7]
	flat_load_dword v4, v[4:5]
	s_and_b64 vcc, exec, s[4:5]
	v_mov_b32_e32 v5, s7
	s_cbranch_vccz .LBB104_5
	s_branch .LBB104_6
.LBB104_18:
                                        ; implicit-def: $vgpr13
                                        ; implicit-def: $vgpr9
                                        ; implicit-def: $vgpr11
.LBB104_19:
	v_mov_b32_e32 v13, 0
	v_mov_b32_e32 v12, v13
	v_mov_b32_e32 v9, v13
	v_mov_b32_e32 v8, v13
	v_mov_b32_e32 v11, v13
	v_mov_b32_e32 v10, v13
	s_and_saveexec_b64 s[4:5], s[2:3]
	s_cbranch_execz .LBB104_23
; %bb.20:
	v_mad_u64_u32 v[14:15], s[2:3], v0, 24, 23
	v_mov_b32_e32 v17, 0
	s_mov_b64 s[2:3], 0
	v_mov_b32_e32 v8, v17
	v_mov_b32_e32 v9, v17
	;; [unrolled: 1-line block ×6, first 2 shown]
.LBB104_21:                             ; =>This Inner Loop Header: Depth=1
	v_ashrrev_i32_e32 v1, 31, v0
	v_subrev_u32_e32 v16, 23, v14
	v_add_u32_e32 v24, -7, v14
	v_mov_b32_e32 v25, v17
	v_lshl_add_u64 v[32:33], v[0:1], 2, s[6:7]
	v_lshl_add_u64 v[40:41], v[16:17], 3, s[8:9]
	;; [unrolled: 1-line block ×3, first 2 shown]
	global_load_dword v1, v[32:33], off
	global_load_dwordx4 v[24:27], v[40:41], off
	global_load_dwordx4 v[28:31], v[40:41], off offset:16
	v_add_u32_e32 v20, -15, v14
	v_mov_b32_e32 v21, v17
	v_add_u32_e32 v16, -14, v14
	v_mov_b32_e32 v15, v17
	v_lshl_add_u64 v[20:21], v[20:21], 3, s[8:9]
	v_lshl_add_u64 v[46:47], v[16:17], 3, s[8:9]
	v_add_u32_e32 v16, -6, v14
	v_lshl_add_u64 v[44:45], v[14:15], 3, s[8:9]
	global_load_dwordx4 v[32:35], v[40:41], off offset:48
	global_load_dwordx4 v[36:39], v[40:41], off offset:32
	global_load_dwordx2 v[48:49], v[20:21], off
	global_load_dwordx2 v[50:51], v[44:45], off
	v_lshl_add_u64 v[20:21], v[16:17], 3, s[8:9]
	v_add_u32_e32 v16, -13, v14
	v_lshl_add_u64 v[40:41], v[16:17], 3, s[8:9]
	v_add_u32_e32 v16, -5, v14
	global_load_dwordx2 v[44:45], v[46:47], off
	s_nop 0
	global_load_dwordx2 v[46:47], v[20:21], off
	global_load_dwordx2 v[52:53], v[42:43], off
	v_lshl_add_u64 v[20:21], v[16:17], 3, s[8:9]
	v_add_u32_e32 v16, -12, v14
	global_load_dwordx2 v[54:55], v[40:41], off
	global_load_dwordx2 v[56:57], v[20:21], off
	v_lshl_add_u64 v[40:41], v[16:17], 3, s[8:9]
	v_add_u32_e32 v16, -4, v14
	v_lshl_add_u64 v[20:21], v[16:17], 3, s[8:9]
	v_add_u32_e32 v16, -11, v14
	global_load_dwordx2 v[58:59], v[40:41], off
	global_load_dwordx2 v[60:61], v[20:21], off
	v_lshl_add_u64 v[40:41], v[16:17], 3, s[8:9]
	v_add_u32_e32 v16, -3, v14
	v_mov_b32_e32 v19, v17
	v_lshl_add_u64 v[62:63], v[16:17], 3, s[8:9]
	v_add_u32_e32 v16, -10, v14
	v_lshl_add_u64 v[20:21], v[16:17], 3, s[8:9]
	global_load_dwordx2 v[64:65], v[40:41], off
	global_load_dwordx2 v[68:69], v[20:21], off
	v_add_u32_e32 v16, -2, v14
	v_lshl_add_u64 v[66:67], v[16:17], 3, s[8:9]
	v_add_u32_e32 v16, -9, v14
	v_add_u32_e32 v0, 4, v0
	v_cmp_ge_i32_e32 vcc, v0, v22
	s_or_b64 s[2:3], vcc, s[2:3]
	s_waitcnt vmcnt(15)
	v_subrev_u32_e32 v1, s12, v1
	v_lshlrev_b32_e32 v18, 3, v1
	v_lshl_add_u64 v[72:73], v[18:19], 3, s[10:11]
	global_load_dwordx4 v[18:21], v[72:73], off
	global_load_dwordx4 v[40:43], v[72:73], off offset:16
	s_waitcnt vmcnt(16)
	v_xor_b32_e32 v70, 0x80000000, v27
	v_mov_b32_e32 v71, v26
	s_waitcnt vmcnt(1)
	v_pk_fma_f32 v[12:13], v[24:25], v[18:19], v[12:13] op_sel_hi:[1,0,1]
	v_pk_fma_f32 v[10:11], v[48:49], v[18:19], v[10:11] op_sel_hi:[1,0,1]
	;; [unrolled: 1-line block ×3, first 2 shown]
	v_pk_fma_f32 v[12:13], v[24:25], v[18:19], v[12:13] op_sel:[1,1,0] op_sel_hi:[0,1,1] neg_lo:[1,0,0]
	v_pk_fma_f32 v[10:11], v[48:49], v[18:19], v[10:11] op_sel:[1,1,0] op_sel_hi:[0,1,1] neg_lo:[1,0,0]
	;; [unrolled: 1-line block ×3, first 2 shown]
	v_pk_fma_f32 v[12:13], v[26:27], v[20:21], v[12:13] op_sel_hi:[1,0,1]
	global_load_dwordx2 v[26:27], v[66:67], off
	global_load_dwordx2 v[74:75], v[62:63], off
	v_pk_fma_f32 v[52:53], v[44:45], v[20:21], v[10:11] op_sel_hi:[1,0,1]
	v_pk_fma_f32 v[66:67], v[46:47], v[20:21], v[8:9] op_sel_hi:[1,0,1]
	global_load_dwordx4 v[8:11], v[72:73], off offset:32
	v_lshl_add_u64 v[24:25], v[16:17], 3, s[8:9]
	v_add_u32_e32 v16, -1, v14
	v_lshl_add_u64 v[62:63], v[16:17], 3, s[8:9]
	v_add_u32_e32 v16, -8, v14
	global_load_dwordx2 v[24:25], v[24:25], off
	v_lshl_add_u64 v[48:49], v[16:17], 3, s[8:9]
	global_load_dwordx2 v[62:63], v[62:63], off
	v_mov_b32_e32 v16, v21
	v_pk_fma_f32 v[12:13], v[70:71], v[16:17], v[12:13] op_sel_hi:[1,0,1]
	global_load_dwordx4 v[18:21], v[72:73], off offset:48
	global_load_dwordx2 v[70:71], v[48:49], off
	s_waitcnt vmcnt(7)
	v_pk_fma_f32 v[12:13], v[28:29], v[40:41], v[12:13] op_sel_hi:[1,0,1]
	v_pk_fma_f32 v[44:45], v[44:45], v[16:17], v[52:53] op_sel:[1,0,0] op_sel_hi:[0,0,1] neg_lo:[1,0,0]
	v_pk_fma_f32 v[46:47], v[46:47], v[16:17], v[66:67] op_sel:[1,0,0] op_sel_hi:[0,0,1] neg_lo:[1,0,0]
	;; [unrolled: 1-line block ×3, first 2 shown]
	v_xor_b32_e32 v48, 0x80000000, v31
	v_mov_b32_e32 v49, v30
	v_pk_fma_f32 v[12:13], v[30:31], v[42:43], v[12:13] op_sel_hi:[1,0,1]
	v_pk_fma_f32 v[30:31], v[54:55], v[40:41], v[44:45] op_sel_hi:[1,0,1]
	;; [unrolled: 1-line block ×3, first 2 shown]
	v_pk_fma_f32 v[30:31], v[54:55], v[40:41], v[30:31] op_sel:[1,1,0] op_sel_hi:[0,1,1] neg_lo:[1,0,0]
	v_pk_fma_f32 v[40:41], v[56:57], v[40:41], v[46:47] op_sel:[1,1,0] op_sel_hi:[0,1,1] neg_lo:[1,0,0]
	v_mov_b32_e32 v16, v43
	v_pk_fma_f32 v[30:31], v[58:59], v[42:43], v[30:31] op_sel_hi:[1,0,1]
	v_pk_fma_f32 v[40:41], v[60:61], v[42:43], v[40:41] op_sel_hi:[1,0,1]
	;; [unrolled: 1-line block ×3, first 2 shown]
	v_pk_fma_f32 v[30:31], v[58:59], v[16:17], v[30:31] op_sel:[1,0,0] op_sel_hi:[0,0,1] neg_lo:[1,0,0]
	v_pk_fma_f32 v[40:41], v[60:61], v[16:17], v[40:41] op_sel:[1,0,0] op_sel_hi:[0,0,1] neg_lo:[1,0,0]
	v_xor_b32_e32 v52, 0x80000000, v39
	v_mov_b32_e32 v53, v38
	v_xor_b32_e32 v66, 0x80000000, v35
	v_mov_b32_e32 v67, v34
	v_add_u32_e32 v14, 0x60, v14
	s_waitcnt vmcnt(4)
	v_pk_fma_f32 v[12:13], v[36:37], v[8:9], v[12:13] op_sel_hi:[1,0,1]
	v_pk_fma_f32 v[30:31], v[64:65], v[8:9], v[30:31] op_sel_hi:[1,0,1]
	;; [unrolled: 1-line block ×3, first 2 shown]
	v_pk_fma_f32 v[12:13], v[36:37], v[8:9], v[12:13] op_sel:[1,1,0] op_sel_hi:[0,1,1] neg_lo:[1,0,0]
	v_pk_fma_f32 v[30:31], v[64:65], v[8:9], v[30:31] op_sel:[1,1,0] op_sel_hi:[0,1,1] neg_lo:[1,0,0]
	;; [unrolled: 1-line block ×3, first 2 shown]
	v_mov_b32_e32 v28, v11
	v_pk_fma_f32 v[12:13], v[38:39], v[10:11], v[12:13] op_sel_hi:[1,0,1]
	v_pk_fma_f32 v[30:31], v[68:69], v[10:11], v[30:31] op_sel_hi:[1,0,1]
	;; [unrolled: 1-line block ×4, first 2 shown]
	v_pk_fma_f32 v[12:13], v[68:69], v[28:29], v[30:31] op_sel:[1,0,0] op_sel_hi:[0,0,1] neg_lo:[1,0,0]
	v_pk_fma_f32 v[8:9], v[26:27], v[28:29], v[8:9] op_sel:[1,0,0] op_sel_hi:[0,0,1] neg_lo:[1,0,0]
	s_waitcnt vmcnt(1)
	v_pk_fma_f32 v[10:11], v[32:33], v[18:19], v[10:11] op_sel_hi:[1,0,1]
	v_pk_fma_f32 v[12:13], v[24:25], v[18:19], v[12:13] op_sel_hi:[1,0,1]
	;; [unrolled: 1-line block ×3, first 2 shown]
	v_pk_fma_f32 v[10:11], v[32:33], v[18:19], v[10:11] op_sel:[1,1,0] op_sel_hi:[0,1,1] neg_lo:[1,0,0]
	v_pk_fma_f32 v[12:13], v[24:25], v[18:19], v[12:13] op_sel:[1,1,0] op_sel_hi:[0,1,1] neg_lo:[1,0,0]
	;; [unrolled: 1-line block ×3, first 2 shown]
	v_mov_b32_e32 v44, v21
	v_pk_fma_f32 v[10:11], v[34:35], v[20:21], v[10:11] op_sel_hi:[1,0,1]
	s_waitcnt vmcnt(0)
	v_pk_fma_f32 v[18:19], v[70:71], v[20:21], v[12:13] op_sel_hi:[1,0,1]
	v_pk_fma_f32 v[8:9], v[50:51], v[20:21], v[8:9] op_sel_hi:[1,0,1]
	;; [unrolled: 1-line block ×3, first 2 shown]
	v_pk_fma_f32 v[10:11], v[70:71], v[44:45], v[18:19] op_sel:[1,0,0] op_sel_hi:[0,0,1] neg_lo:[1,0,0]
	v_pk_fma_f32 v[8:9], v[50:51], v[44:45], v[8:9] op_sel:[1,0,0] op_sel_hi:[0,0,1] neg_lo:[1,0,0]
	s_andn2_b64 exec, exec, s[2:3]
	s_cbranch_execnz .LBB104_21
; %bb.22:
	s_or_b64 exec, exec, s[2:3]
.LBB104_23:
	s_or_b64 exec, exec, s[4:5]
.LBB104_24:
	v_mov_b32_dpp v0, v12 row_shr:1 row_mask:0xf bank_mask:0xf
	v_add_f32_e32 v0, v12, v0
	v_mov_b32_dpp v12, v13 row_shr:1 row_mask:0xf bank_mask:0xf
	v_add_f32_e32 v13, v13, v12
	v_mov_b32_dpp v1, v0 row_shr:2 row_mask:0xf bank_mask:0xf
	v_mov_b32_dpp v12, v10 row_shr:1 row_mask:0xf bank_mask:0xf
	v_add_f32_e32 v10, v10, v12
	v_mov_b32_dpp v14, v13 row_shr:2 row_mask:0xf bank_mask:0xf
	;; [unrolled: 3-line block ×5, first 2 shown]
	v_cmp_eq_u32_e32 vcc, 3, v7
	v_mov_b32_dpp v19, v9 row_shr:2 row_mask:0xf bank_mask:0xf
	s_and_b64 exec, exec, vcc
	s_cbranch_execz .LBB104_29
; %bb.25:
	s_load_dwordx2 s[2:3], s[0:1], 0x38
	v_add_f32_e32 v12, v0, v1
	v_and_b32_e32 v1, 0x7fffffff, v4
	v_cmp_eq_u32_e32 vcc, 0, v1
	v_cmp_eq_f32_e64 s[0:1], 0, v5
	v_add_f32_e32 v16, v13, v14
	v_add_f32_e32 v10, v10, v15
	;; [unrolled: 1-line block ×5, first 2 shown]
	s_and_b64 s[0:1], vcc, s[0:1]
	s_and_saveexec_b64 s[4:5], s[0:1]
	s_xor_b64 s[0:1], exec, s[4:5]
	s_cbranch_execz .LBB104_27
; %bb.26:
	v_lshl_add_u32 v4, v6, 1, v6
	v_xor_b32_e32 v18, 0x80000000, v3
	v_ashrrev_i32_e32 v5, 31, v4
	v_mov_b32_e32 v19, v2
	s_waitcnt lgkmcnt(0)
	v_lshl_add_u64 v[20:21], v[4:5], 3, s[2:3]
	v_pk_mul_f32 v[4:5], v[16:17], v[18:19] op_sel_hi:[0,1]
	v_pk_mul_f32 v[6:7], v[14:15], v[18:19] op_sel_hi:[0,1]
	v_pk_fma_f32 v[4:5], v[2:3], v[12:13], v[4:5] op_sel_hi:[1,0,1]
	v_pk_fma_f32 v[6:7], v[2:3], v[10:11], v[6:7] op_sel_hi:[1,0,1]
	global_store_dwordx4 v[20:21], v[4:7], off
                                        ; implicit-def: $vgpr6
                                        ; implicit-def: $vgpr12
                                        ; implicit-def: $vgpr16
                                        ; implicit-def: $vgpr10
                                        ; implicit-def: $vgpr14
	s_nop 1
	v_pk_mul_f32 v[4:5], v[8:9], v[18:19] op_sel_hi:[0,1]
	v_pk_fma_f32 v[0:1], v[2:3], v[0:1], v[4:5] op_sel_hi:[1,0,1]
	global_store_dwordx2 v[20:21], v[0:1], off offset:16
                                        ; implicit-def: $vgpr3
                                        ; implicit-def: $vgpr4
                                        ; implicit-def: $vgpr0
                                        ; implicit-def: $vgpr8
.LBB104_27:
	s_andn2_saveexec_b64 s[0:1], s[0:1]
	s_cbranch_execz .LBB104_29
; %bb.28:
	v_lshl_add_u32 v6, v6, 1, v6
	v_ashrrev_i32_e32 v7, 31, v6
	s_waitcnt lgkmcnt(0)
	v_lshl_add_u64 v[6:7], v[6:7], 3, s[2:3]
	global_load_dwordx4 v[18:21], v[6:7], off
	global_load_dwordx2 v[22:23], v[6:7], off offset:16
	v_xor_b32_e32 v24, 0x80000000, v3
	v_mov_b32_e32 v25, v2
	v_pk_mul_f32 v[16:17], v[16:17], v[24:25] op_sel_hi:[0,1]
	v_pk_mul_f32 v[14:15], v[14:15], v[24:25] op_sel_hi:[0,1]
	;; [unrolled: 1-line block ×3, first 2 shown]
	v_pk_fma_f32 v[12:13], v[2:3], v[12:13], v[16:17] op_sel_hi:[1,0,1]
	v_pk_fma_f32 v[10:11], v[2:3], v[10:11], v[14:15] op_sel_hi:[1,0,1]
	v_xor_b32_e32 v26, 0x80000000, v5
	v_mov_b32_e32 v27, v4
	v_pk_fma_f32 v[0:1], v[2:3], v[0:1], v[8:9] op_sel_hi:[1,0,1]
	s_waitcnt vmcnt(1)
	v_pk_fma_f32 v[2:3], v[4:5], v[18:19], v[12:13] op_sel_hi:[1,0,1]
	v_pk_fma_f32 v[8:9], v[4:5], v[20:21], v[10:11] op_sel_hi:[1,0,1]
	v_mov_b32_e32 v10, v21
	s_waitcnt vmcnt(0)
	v_pk_fma_f32 v[4:5], v[4:5], v[22:23], v[0:1] op_sel_hi:[1,0,1]
	v_pk_fma_f32 v[0:1], v[26:27], v[18:19], v[2:3] op_sel:[0,1,0]
	v_pk_fma_f32 v[2:3], v[26:27], v[10:11], v[8:9] op_sel_hi:[1,0,1]
	v_pk_fma_f32 v[4:5], v[26:27], v[22:23], v[4:5] op_sel:[0,1,0]
	global_store_dwordx4 v[6:7], v[0:3], off
	global_store_dwordx2 v[6:7], v[4:5], off offset:16
.LBB104_29:
	s_endpgm
	.section	.rodata,"a",@progbits
	.p2align	6, 0x0
	.amdhsa_kernel _ZN9rocsparseL19gebsrmvn_3xn_kernelILj128ELj8ELj4E21rocsparse_complex_numIfEEEvi20rocsparse_direction_NS_24const_host_device_scalarIT2_EEPKiS8_PKS5_SA_S6_PS5_21rocsparse_index_base_b
		.amdhsa_group_segment_fixed_size 0
		.amdhsa_private_segment_fixed_size 0
		.amdhsa_kernarg_size 72
		.amdhsa_user_sgpr_count 2
		.amdhsa_user_sgpr_dispatch_ptr 0
		.amdhsa_user_sgpr_queue_ptr 0
		.amdhsa_user_sgpr_kernarg_segment_ptr 1
		.amdhsa_user_sgpr_dispatch_id 0
		.amdhsa_user_sgpr_kernarg_preload_length 0
		.amdhsa_user_sgpr_kernarg_preload_offset 0
		.amdhsa_user_sgpr_private_segment_size 0
		.amdhsa_uses_dynamic_stack 0
		.amdhsa_enable_private_segment 0
		.amdhsa_system_sgpr_workgroup_id_x 1
		.amdhsa_system_sgpr_workgroup_id_y 0
		.amdhsa_system_sgpr_workgroup_id_z 0
		.amdhsa_system_sgpr_workgroup_info 0
		.amdhsa_system_vgpr_workitem_id 0
		.amdhsa_next_free_vgpr 86
		.amdhsa_next_free_sgpr 16
		.amdhsa_accum_offset 88
		.amdhsa_reserve_vcc 1
		.amdhsa_float_round_mode_32 0
		.amdhsa_float_round_mode_16_64 0
		.amdhsa_float_denorm_mode_32 3
		.amdhsa_float_denorm_mode_16_64 3
		.amdhsa_dx10_clamp 1
		.amdhsa_ieee_mode 1
		.amdhsa_fp16_overflow 0
		.amdhsa_tg_split 0
		.amdhsa_exception_fp_ieee_invalid_op 0
		.amdhsa_exception_fp_denorm_src 0
		.amdhsa_exception_fp_ieee_div_zero 0
		.amdhsa_exception_fp_ieee_overflow 0
		.amdhsa_exception_fp_ieee_underflow 0
		.amdhsa_exception_fp_ieee_inexact 0
		.amdhsa_exception_int_div_zero 0
	.end_amdhsa_kernel
	.section	.text._ZN9rocsparseL19gebsrmvn_3xn_kernelILj128ELj8ELj4E21rocsparse_complex_numIfEEEvi20rocsparse_direction_NS_24const_host_device_scalarIT2_EEPKiS8_PKS5_SA_S6_PS5_21rocsparse_index_base_b,"axG",@progbits,_ZN9rocsparseL19gebsrmvn_3xn_kernelILj128ELj8ELj4E21rocsparse_complex_numIfEEEvi20rocsparse_direction_NS_24const_host_device_scalarIT2_EEPKiS8_PKS5_SA_S6_PS5_21rocsparse_index_base_b,comdat
.Lfunc_end104:
	.size	_ZN9rocsparseL19gebsrmvn_3xn_kernelILj128ELj8ELj4E21rocsparse_complex_numIfEEEvi20rocsparse_direction_NS_24const_host_device_scalarIT2_EEPKiS8_PKS5_SA_S6_PS5_21rocsparse_index_base_b, .Lfunc_end104-_ZN9rocsparseL19gebsrmvn_3xn_kernelILj128ELj8ELj4E21rocsparse_complex_numIfEEEvi20rocsparse_direction_NS_24const_host_device_scalarIT2_EEPKiS8_PKS5_SA_S6_PS5_21rocsparse_index_base_b
                                        ; -- End function
	.section	.AMDGPU.csdata,"",@progbits
; Kernel info:
; codeLenInByte = 2932
; NumSgprs: 22
; NumVgprs: 86
; NumAgprs: 0
; TotalNumVgprs: 86
; ScratchSize: 0
; MemoryBound: 0
; FloatMode: 240
; IeeeMode: 1
; LDSByteSize: 0 bytes/workgroup (compile time only)
; SGPRBlocks: 2
; VGPRBlocks: 10
; NumSGPRsForWavesPerEU: 22
; NumVGPRsForWavesPerEU: 86
; AccumOffset: 88
; Occupancy: 5
; WaveLimiterHint : 1
; COMPUTE_PGM_RSRC2:SCRATCH_EN: 0
; COMPUTE_PGM_RSRC2:USER_SGPR: 2
; COMPUTE_PGM_RSRC2:TRAP_HANDLER: 0
; COMPUTE_PGM_RSRC2:TGID_X_EN: 1
; COMPUTE_PGM_RSRC2:TGID_Y_EN: 0
; COMPUTE_PGM_RSRC2:TGID_Z_EN: 0
; COMPUTE_PGM_RSRC2:TIDIG_COMP_CNT: 0
; COMPUTE_PGM_RSRC3_GFX90A:ACCUM_OFFSET: 21
; COMPUTE_PGM_RSRC3_GFX90A:TG_SPLIT: 0
	.section	.text._ZN9rocsparseL19gebsrmvn_3xn_kernelILj128ELj8ELj8E21rocsparse_complex_numIfEEEvi20rocsparse_direction_NS_24const_host_device_scalarIT2_EEPKiS8_PKS5_SA_S6_PS5_21rocsparse_index_base_b,"axG",@progbits,_ZN9rocsparseL19gebsrmvn_3xn_kernelILj128ELj8ELj8E21rocsparse_complex_numIfEEEvi20rocsparse_direction_NS_24const_host_device_scalarIT2_EEPKiS8_PKS5_SA_S6_PS5_21rocsparse_index_base_b,comdat
	.globl	_ZN9rocsparseL19gebsrmvn_3xn_kernelILj128ELj8ELj8E21rocsparse_complex_numIfEEEvi20rocsparse_direction_NS_24const_host_device_scalarIT2_EEPKiS8_PKS5_SA_S6_PS5_21rocsparse_index_base_b ; -- Begin function _ZN9rocsparseL19gebsrmvn_3xn_kernelILj128ELj8ELj8E21rocsparse_complex_numIfEEEvi20rocsparse_direction_NS_24const_host_device_scalarIT2_EEPKiS8_PKS5_SA_S6_PS5_21rocsparse_index_base_b
	.p2align	8
	.type	_ZN9rocsparseL19gebsrmvn_3xn_kernelILj128ELj8ELj8E21rocsparse_complex_numIfEEEvi20rocsparse_direction_NS_24const_host_device_scalarIT2_EEPKiS8_PKS5_SA_S6_PS5_21rocsparse_index_base_b,@function
_ZN9rocsparseL19gebsrmvn_3xn_kernelILj128ELj8ELj8E21rocsparse_complex_numIfEEEvi20rocsparse_direction_NS_24const_host_device_scalarIT2_EEPKiS8_PKS5_SA_S6_PS5_21rocsparse_index_base_b: ; @_ZN9rocsparseL19gebsrmvn_3xn_kernelILj128ELj8ELj8E21rocsparse_complex_numIfEEEvi20rocsparse_direction_NS_24const_host_device_scalarIT2_EEPKiS8_PKS5_SA_S6_PS5_21rocsparse_index_base_b
; %bb.0:
	s_load_dwordx2 s[12:13], s[0:1], 0x40
	s_load_dwordx2 s[8:9], s[0:1], 0x8
	;; [unrolled: 1-line block ×3, first 2 shown]
	s_waitcnt lgkmcnt(0)
	s_bitcmp1_b32 s13, 0
	s_cselect_b64 s[4:5], -1, 0
	s_xor_b64 s[10:11], s[4:5], -1
	s_and_b64 vcc, exec, s[4:5]
	v_mov_b32_e32 v2, s8
	s_cbranch_vccnz .LBB105_2
; %bb.1:
	v_mov_b64_e32 v[2:3], s[8:9]
	flat_load_dword v2, v[2:3]
.LBB105_2:
	v_cndmask_b32_e64 v1, 0, 1, s[10:11]
	v_cmp_ne_u32_e64 s[4:5], 1, v1
	s_andn2_b64 vcc, exec, s[10:11]
	v_mov_b32_e32 v3, s9
	s_cbranch_vccz .LBB105_16
; %bb.3:
	s_and_b64 vcc, exec, s[4:5]
	v_mov_b32_e32 v4, s6
	s_cbranch_vccz .LBB105_17
.LBB105_4:
	s_and_b64 vcc, exec, s[4:5]
	v_mov_b32_e32 v5, s7
	s_cbranch_vccnz .LBB105_6
.LBB105_5:
	v_mov_b64_e32 v[6:7], s[6:7]
	flat_load_dword v5, v[6:7] offset:4
.LBB105_6:
	s_waitcnt vmcnt(0) lgkmcnt(0)
	v_and_b32_e32 v1, 0x7fffffff, v2
	v_cmp_eq_u32_e32 vcc, 0, v1
	v_cmp_eq_f32_e64 s[4:5], 0, v3
	s_and_b64 s[8:9], vcc, s[4:5]
	s_mov_b64 s[4:5], -1
	s_and_saveexec_b64 s[6:7], s[8:9]
; %bb.7:
	v_and_b32_e32 v1, 0x7fffffff, v5
	v_cmp_neq_f32_e32 vcc, 1.0, v4
	v_cmp_ne_u32_e64 s[4:5], 0, v1
	s_or_b64 s[4:5], vcc, s[4:5]
	s_orn2_b64 s[4:5], s[4:5], exec
; %bb.8:
	s_or_b64 exec, exec, s[6:7]
	s_and_saveexec_b64 s[6:7], s[4:5]
	s_cbranch_execz .LBB105_29
; %bb.9:
	s_load_dwordx2 s[14:15], s[0:1], 0x0
	v_lshrrev_b32_e32 v1, 3, v0
	v_lshl_or_b32 v6, s2, 4, v1
	s_waitcnt lgkmcnt(0)
	v_cmp_gt_i32_e32 vcc, s14, v6
	s_and_b64 exec, exec, vcc
	s_cbranch_execz .LBB105_29
; %bb.10:
	s_load_dwordx8 s[4:11], s[0:1], 0x10
	v_ashrrev_i32_e32 v7, 31, v6
	s_cmp_lg_u32 s15, 0
	s_waitcnt lgkmcnt(0)
	v_lshl_add_u64 v[8:9], v[6:7], 2, s[4:5]
	global_load_dwordx2 v[8:9], v[8:9], off
	v_and_b32_e32 v7, 7, v0
	s_waitcnt vmcnt(0)
	v_subrev_u32_e32 v0, s12, v8
	v_subrev_u32_e32 v22, s12, v9
	v_add_u32_e32 v0, v0, v7
	v_cmp_lt_i32_e64 s[2:3], v0, v22
	s_cbranch_scc0 .LBB105_18
; %bb.11:
	v_mov_b32_e32 v13, 0
	v_mov_b32_e32 v12, v13
	;; [unrolled: 1-line block ×6, first 2 shown]
	s_and_saveexec_b64 s[4:5], s[2:3]
	s_cbranch_execz .LBB105_15
; %bb.12:
	v_mad_u64_u32 v[14:15], s[14:15], v0, 24, 23
	v_mov_b32_e32 v17, 0
	s_mov_b64 s[14:15], 0
	v_mov_b32_e32 v18, v0
	v_mov_b32_e32 v8, v17
	;; [unrolled: 1-line block ×7, first 2 shown]
.LBB105_13:                             ; =>This Inner Loop Header: Depth=1
	v_ashrrev_i32_e32 v19, 31, v18
	v_subrev_u32_e32 v16, 23, v14
	v_lshl_add_u64 v[40:41], v[18:19], 2, s[6:7]
	v_lshl_add_u64 v[42:43], v[16:17], 3, s[8:9]
	global_load_dword v1, v[40:41], off
	global_load_dwordx4 v[24:27], v[42:43], off
	global_load_dwordx4 v[28:31], v[42:43], off offset:16
	global_load_dwordx4 v[32:35], v[42:43], off offset:48
	;; [unrolled: 1-line block ×3, first 2 shown]
	v_add_u32_e32 v16, -15, v14
	v_mov_b32_e32 v15, v17
	v_lshl_add_u64 v[40:41], v[16:17], 3, s[8:9]
	v_add_u32_e32 v16, -14, v14
	v_lshl_add_u64 v[44:45], v[14:15], 3, s[8:9]
	v_lshl_add_u64 v[42:43], v[16:17], 3, s[8:9]
	v_add_u32_e32 v16, -13, v14
	global_load_dwordx2 v[48:49], v[44:45], off
	global_load_dwordx2 v[52:53], v[42:43], off
	global_load_dwordx2 v[50:51], v[40:41], off
	v_lshl_add_u64 v[40:41], v[16:17], 3, s[8:9]
	v_add_u32_e32 v16, -12, v14
	v_lshl_add_u64 v[42:43], v[16:17], 3, s[8:9]
	v_add_u32_e32 v16, -11, v14
	global_load_dwordx2 v[54:55], v[40:41], off
	global_load_dwordx2 v[56:57], v[42:43], off
	v_lshl_add_u64 v[40:41], v[16:17], 3, s[8:9]
	v_add_u32_e32 v16, -10, v14
	v_lshl_add_u64 v[42:43], v[16:17], 3, s[8:9]
	v_add_u32_e32 v16, -9, v14
	global_load_dwordx2 v[58:59], v[40:41], off
	global_load_dwordx2 v[60:61], v[42:43], off
	;; [unrolled: 6-line block ×4, first 2 shown]
	v_lshl_add_u64 v[40:41], v[16:17], 3, s[8:9]
	v_add_u32_e32 v16, -4, v14
	v_lshl_add_u64 v[42:43], v[16:17], 3, s[8:9]
	v_add_u32_e32 v16, -3, v14
	v_mov_b32_e32 v21, v17
	global_load_dwordx2 v[70:71], v[40:41], off
	global_load_dwordx2 v[72:73], v[42:43], off
	v_lshl_add_u64 v[40:41], v[16:17], 3, s[8:9]
	v_add_u32_e32 v16, -2, v14
	v_lshl_add_u64 v[42:43], v[16:17], 3, s[8:9]
	global_load_dwordx2 v[74:75], v[40:41], off
	global_load_dwordx2 v[78:79], v[42:43], off
	v_add_u32_e32 v16, -1, v14
	v_lshl_add_u64 v[76:77], v[16:17], 3, s[8:9]
	v_add_u32_e32 v18, 8, v18
	v_cmp_ge_i32_e32 vcc, v18, v22
	s_or_b64 s[14:15], vcc, s[14:15]
	v_add_u32_e32 v14, 0xc0, v14
	s_waitcnt vmcnt(19)
	v_subrev_u32_e32 v1, s12, v1
	v_lshlrev_b32_e32 v20, 3, v1
	v_lshl_add_u64 v[20:21], v[20:21], 3, s[10:11]
	global_load_dwordx4 v[40:43], v[20:21], off
	global_load_dwordx4 v[44:47], v[20:21], off offset:16
	s_waitcnt vmcnt(20)
	v_xor_b32_e32 v80, 0x80000000, v27
	v_mov_b32_e32 v81, v26
	s_waitcnt vmcnt(19)
	v_xor_b32_e32 v82, 0x80000000, v31
	v_mov_b32_e32 v83, v30
	s_waitcnt vmcnt(1)
	v_pk_fma_f32 v[12:13], v[24:25], v[40:41], v[12:13] op_sel_hi:[1,0,1]
	v_pk_fma_f32 v[84:85], v[26:27], v[40:41], v[10:11] op_sel_hi:[1,0,1]
	v_pk_fma_f32 v[24:25], v[24:25], v[40:41], v[12:13] op_sel:[1,1,0] op_sel_hi:[0,1,1] neg_lo:[1,0,0]
	global_load_dwordx4 v[10:13], v[20:21], off offset:32
	v_pk_fma_f32 v[8:9], v[28:29], v[40:41], v[8:9] op_sel_hi:[1,0,1]
	v_mov_b32_e32 v16, v43
	v_pk_fma_f32 v[8:9], v[28:29], v[40:41], v[8:9] op_sel:[1,1,0] op_sel_hi:[0,1,1] neg_lo:[1,0,0]
	v_pk_fma_f32 v[28:29], v[30:31], v[42:43], v[24:25] op_sel_hi:[1,0,1]
	global_load_dwordx4 v[24:27], v[20:21], off offset:48
	global_load_dwordx2 v[30:31], v[76:77], off
	v_pk_fma_f32 v[40:41], v[80:81], v[40:41], v[84:85] op_sel:[0,1,0]
	v_xor_b32_e32 v20, 0x80000000, v39
	v_mov_b32_e32 v21, v38
	v_pk_fma_f32 v[40:41], v[36:37], v[42:43], v[40:41] op_sel_hi:[1,0,1]
	v_pk_fma_f32 v[8:9], v[38:39], v[42:43], v[8:9] op_sel_hi:[1,0,1]
	v_pk_fma_f32 v[36:37], v[36:37], v[16:17], v[40:41] op_sel:[1,0,0] op_sel_hi:[0,0,1] neg_lo:[1,0,0]
	v_pk_fma_f32 v[28:29], v[82:83], v[16:17], v[28:29] op_sel_hi:[1,0,1]
	v_pk_fma_f32 v[8:9], v[20:21], v[16:17], v[8:9] op_sel_hi:[1,0,1]
	v_xor_b32_e32 v76, 0x80000000, v35
	v_mov_b32_e32 v77, v34
	s_waitcnt vmcnt(3)
	v_pk_fma_f32 v[20:21], v[32:33], v[44:45], v[28:29] op_sel_hi:[1,0,1]
	v_pk_fma_f32 v[28:29], v[34:35], v[44:45], v[36:37] op_sel_hi:[1,0,1]
	;; [unrolled: 1-line block ×3, first 2 shown]
	v_pk_fma_f32 v[20:21], v[32:33], v[44:45], v[20:21] op_sel:[1,1,0] op_sel_hi:[0,1,1] neg_lo:[1,0,0]
	v_pk_fma_f32 v[28:29], v[76:77], v[44:45], v[28:29] op_sel:[0,1,0]
	v_pk_fma_f32 v[8:9], v[50:51], v[44:45], v[8:9] op_sel:[1,1,0] op_sel_hi:[0,1,1] neg_lo:[1,0,0]
	v_mov_b32_e32 v38, v47
	v_pk_fma_f32 v[20:21], v[52:53], v[46:47], v[20:21] op_sel_hi:[1,0,1]
	v_pk_fma_f32 v[28:29], v[54:55], v[46:47], v[28:29] op_sel_hi:[1,0,1]
	;; [unrolled: 1-line block ×3, first 2 shown]
	v_pk_fma_f32 v[20:21], v[52:53], v[38:39], v[20:21] op_sel:[1,0,0] op_sel_hi:[0,0,1] neg_lo:[1,0,0]
	v_pk_fma_f32 v[28:29], v[54:55], v[38:39], v[28:29] op_sel:[1,0,0] op_sel_hi:[0,0,1] neg_lo:[1,0,0]
	;; [unrolled: 1-line block ×3, first 2 shown]
	s_waitcnt vmcnt(2)
	v_pk_fma_f32 v[20:21], v[58:59], v[10:11], v[20:21] op_sel_hi:[1,0,1]
	v_pk_fma_f32 v[28:29], v[60:61], v[10:11], v[28:29] op_sel_hi:[1,0,1]
	;; [unrolled: 1-line block ×3, first 2 shown]
	v_pk_fma_f32 v[20:21], v[58:59], v[10:11], v[20:21] op_sel:[1,1,0] op_sel_hi:[0,1,1] neg_lo:[1,0,0]
	v_pk_fma_f32 v[28:29], v[60:61], v[10:11], v[28:29] op_sel:[1,1,0] op_sel_hi:[0,1,1] neg_lo:[1,0,0]
	;; [unrolled: 1-line block ×3, first 2 shown]
	v_mov_b32_e32 v40, v13
	v_pk_fma_f32 v[10:11], v[64:65], v[12:13], v[20:21] op_sel_hi:[1,0,1]
	v_pk_fma_f32 v[20:21], v[66:67], v[12:13], v[28:29] op_sel_hi:[1,0,1]
	;; [unrolled: 1-line block ×3, first 2 shown]
	v_pk_fma_f32 v[10:11], v[64:65], v[40:41], v[10:11] op_sel:[1,0,0] op_sel_hi:[0,0,1] neg_lo:[1,0,0]
	v_pk_fma_f32 v[12:13], v[66:67], v[40:41], v[20:21] op_sel:[1,0,0] op_sel_hi:[0,0,1] neg_lo:[1,0,0]
	;; [unrolled: 1-line block ×3, first 2 shown]
	s_waitcnt vmcnt(1)
	v_pk_fma_f32 v[10:11], v[70:71], v[24:25], v[10:11] op_sel_hi:[1,0,1]
	v_pk_fma_f32 v[12:13], v[72:73], v[24:25], v[12:13] op_sel_hi:[1,0,1]
	;; [unrolled: 1-line block ×3, first 2 shown]
	v_pk_fma_f32 v[10:11], v[70:71], v[24:25], v[10:11] op_sel:[1,1,0] op_sel_hi:[0,1,1] neg_lo:[1,0,0]
	v_pk_fma_f32 v[12:13], v[72:73], v[24:25], v[12:13] op_sel:[1,1,0] op_sel_hi:[0,1,1] neg_lo:[1,0,0]
	;; [unrolled: 1-line block ×3, first 2 shown]
	v_mov_b32_e32 v42, v27
	v_pk_fma_f32 v[10:11], v[78:79], v[26:27], v[10:11] op_sel_hi:[1,0,1]
	s_waitcnt vmcnt(0)
	v_pk_fma_f32 v[20:21], v[30:31], v[26:27], v[12:13] op_sel_hi:[1,0,1]
	v_pk_fma_f32 v[8:9], v[48:49], v[26:27], v[8:9] op_sel_hi:[1,0,1]
	v_pk_fma_f32 v[12:13], v[78:79], v[42:43], v[10:11] op_sel:[1,0,0] op_sel_hi:[0,0,1] neg_lo:[1,0,0]
	v_pk_fma_f32 v[10:11], v[30:31], v[42:43], v[20:21] op_sel:[1,0,0] op_sel_hi:[0,0,1] neg_lo:[1,0,0]
	;; [unrolled: 1-line block ×3, first 2 shown]
	s_andn2_b64 exec, exec, s[14:15]
	s_cbranch_execnz .LBB105_13
; %bb.14:
	s_or_b64 exec, exec, s[14:15]
.LBB105_15:
	s_or_b64 exec, exec, s[4:5]
	s_cbranch_execz .LBB105_19
	s_branch .LBB105_24
.LBB105_16:
	v_mov_b64_e32 v[4:5], s[8:9]
	flat_load_dword v3, v[4:5] offset:4
	s_and_b64 vcc, exec, s[4:5]
	v_mov_b32_e32 v4, s6
	s_cbranch_vccnz .LBB105_4
.LBB105_17:
	v_mov_b64_e32 v[4:5], s[6:7]
	flat_load_dword v4, v[4:5]
	s_and_b64 vcc, exec, s[4:5]
	v_mov_b32_e32 v5, s7
	s_cbranch_vccz .LBB105_5
	s_branch .LBB105_6
.LBB105_18:
                                        ; implicit-def: $vgpr13
                                        ; implicit-def: $vgpr9
                                        ; implicit-def: $vgpr11
.LBB105_19:
	v_mov_b32_e32 v13, 0
	v_mov_b32_e32 v12, v13
	;; [unrolled: 1-line block ×6, first 2 shown]
	s_and_saveexec_b64 s[4:5], s[2:3]
	s_cbranch_execz .LBB105_23
; %bb.20:
	v_mad_u64_u32 v[14:15], s[2:3], v0, 24, 23
	v_mov_b32_e32 v17, 0
	s_mov_b64 s[2:3], 0
	v_mov_b32_e32 v8, v17
	v_mov_b32_e32 v9, v17
	;; [unrolled: 1-line block ×6, first 2 shown]
.LBB105_21:                             ; =>This Inner Loop Header: Depth=1
	v_ashrrev_i32_e32 v1, 31, v0
	v_subrev_u32_e32 v16, 23, v14
	v_add_u32_e32 v24, -7, v14
	v_mov_b32_e32 v25, v17
	v_lshl_add_u64 v[32:33], v[0:1], 2, s[6:7]
	v_lshl_add_u64 v[40:41], v[16:17], 3, s[8:9]
	;; [unrolled: 1-line block ×3, first 2 shown]
	global_load_dword v1, v[32:33], off
	global_load_dwordx4 v[24:27], v[40:41], off
	global_load_dwordx4 v[28:31], v[40:41], off offset:16
	v_add_u32_e32 v20, -15, v14
	v_mov_b32_e32 v21, v17
	v_add_u32_e32 v16, -14, v14
	v_mov_b32_e32 v15, v17
	v_lshl_add_u64 v[20:21], v[20:21], 3, s[8:9]
	v_lshl_add_u64 v[46:47], v[16:17], 3, s[8:9]
	v_add_u32_e32 v16, -6, v14
	v_lshl_add_u64 v[44:45], v[14:15], 3, s[8:9]
	global_load_dwordx4 v[32:35], v[40:41], off offset:48
	global_load_dwordx4 v[36:39], v[40:41], off offset:32
	global_load_dwordx2 v[48:49], v[20:21], off
	global_load_dwordx2 v[50:51], v[44:45], off
	v_lshl_add_u64 v[20:21], v[16:17], 3, s[8:9]
	v_add_u32_e32 v16, -13, v14
	v_lshl_add_u64 v[40:41], v[16:17], 3, s[8:9]
	v_add_u32_e32 v16, -5, v14
	global_load_dwordx2 v[44:45], v[46:47], off
	s_nop 0
	global_load_dwordx2 v[46:47], v[20:21], off
	global_load_dwordx2 v[52:53], v[42:43], off
	v_lshl_add_u64 v[20:21], v[16:17], 3, s[8:9]
	v_add_u32_e32 v16, -12, v14
	global_load_dwordx2 v[54:55], v[40:41], off
	global_load_dwordx2 v[56:57], v[20:21], off
	v_lshl_add_u64 v[40:41], v[16:17], 3, s[8:9]
	v_add_u32_e32 v16, -4, v14
	v_lshl_add_u64 v[20:21], v[16:17], 3, s[8:9]
	v_add_u32_e32 v16, -11, v14
	global_load_dwordx2 v[58:59], v[40:41], off
	global_load_dwordx2 v[60:61], v[20:21], off
	v_lshl_add_u64 v[40:41], v[16:17], 3, s[8:9]
	v_add_u32_e32 v16, -3, v14
	v_mov_b32_e32 v19, v17
	v_lshl_add_u64 v[62:63], v[16:17], 3, s[8:9]
	v_add_u32_e32 v16, -10, v14
	v_lshl_add_u64 v[20:21], v[16:17], 3, s[8:9]
	global_load_dwordx2 v[64:65], v[40:41], off
	global_load_dwordx2 v[68:69], v[20:21], off
	v_add_u32_e32 v16, -2, v14
	v_lshl_add_u64 v[66:67], v[16:17], 3, s[8:9]
	v_add_u32_e32 v16, -9, v14
	v_add_u32_e32 v0, 8, v0
	v_cmp_ge_i32_e32 vcc, v0, v22
	s_or_b64 s[2:3], vcc, s[2:3]
	s_waitcnt vmcnt(15)
	v_subrev_u32_e32 v1, s12, v1
	v_lshlrev_b32_e32 v18, 3, v1
	v_lshl_add_u64 v[72:73], v[18:19], 3, s[10:11]
	global_load_dwordx4 v[18:21], v[72:73], off
	global_load_dwordx4 v[40:43], v[72:73], off offset:16
	s_waitcnt vmcnt(16)
	v_xor_b32_e32 v70, 0x80000000, v27
	v_mov_b32_e32 v71, v26
	s_waitcnt vmcnt(1)
	v_pk_fma_f32 v[12:13], v[24:25], v[18:19], v[12:13] op_sel_hi:[1,0,1]
	v_pk_fma_f32 v[10:11], v[48:49], v[18:19], v[10:11] op_sel_hi:[1,0,1]
	;; [unrolled: 1-line block ×3, first 2 shown]
	v_pk_fma_f32 v[12:13], v[24:25], v[18:19], v[12:13] op_sel:[1,1,0] op_sel_hi:[0,1,1] neg_lo:[1,0,0]
	v_pk_fma_f32 v[10:11], v[48:49], v[18:19], v[10:11] op_sel:[1,1,0] op_sel_hi:[0,1,1] neg_lo:[1,0,0]
	;; [unrolled: 1-line block ×3, first 2 shown]
	v_pk_fma_f32 v[12:13], v[26:27], v[20:21], v[12:13] op_sel_hi:[1,0,1]
	global_load_dwordx2 v[26:27], v[66:67], off
	global_load_dwordx2 v[74:75], v[62:63], off
	v_pk_fma_f32 v[52:53], v[44:45], v[20:21], v[10:11] op_sel_hi:[1,0,1]
	v_pk_fma_f32 v[66:67], v[46:47], v[20:21], v[8:9] op_sel_hi:[1,0,1]
	global_load_dwordx4 v[8:11], v[72:73], off offset:32
	v_lshl_add_u64 v[24:25], v[16:17], 3, s[8:9]
	v_add_u32_e32 v16, -1, v14
	v_lshl_add_u64 v[62:63], v[16:17], 3, s[8:9]
	v_add_u32_e32 v16, -8, v14
	global_load_dwordx2 v[24:25], v[24:25], off
	v_lshl_add_u64 v[48:49], v[16:17], 3, s[8:9]
	global_load_dwordx2 v[62:63], v[62:63], off
	v_mov_b32_e32 v16, v21
	v_pk_fma_f32 v[12:13], v[70:71], v[16:17], v[12:13] op_sel_hi:[1,0,1]
	global_load_dwordx4 v[18:21], v[72:73], off offset:48
	global_load_dwordx2 v[70:71], v[48:49], off
	s_waitcnt vmcnt(7)
	v_pk_fma_f32 v[12:13], v[28:29], v[40:41], v[12:13] op_sel_hi:[1,0,1]
	v_pk_fma_f32 v[44:45], v[44:45], v[16:17], v[52:53] op_sel:[1,0,0] op_sel_hi:[0,0,1] neg_lo:[1,0,0]
	v_pk_fma_f32 v[46:47], v[46:47], v[16:17], v[66:67] op_sel:[1,0,0] op_sel_hi:[0,0,1] neg_lo:[1,0,0]
	;; [unrolled: 1-line block ×3, first 2 shown]
	v_xor_b32_e32 v48, 0x80000000, v31
	v_mov_b32_e32 v49, v30
	v_pk_fma_f32 v[12:13], v[30:31], v[42:43], v[12:13] op_sel_hi:[1,0,1]
	v_pk_fma_f32 v[30:31], v[54:55], v[40:41], v[44:45] op_sel_hi:[1,0,1]
	;; [unrolled: 1-line block ×3, first 2 shown]
	v_pk_fma_f32 v[30:31], v[54:55], v[40:41], v[30:31] op_sel:[1,1,0] op_sel_hi:[0,1,1] neg_lo:[1,0,0]
	v_pk_fma_f32 v[40:41], v[56:57], v[40:41], v[46:47] op_sel:[1,1,0] op_sel_hi:[0,1,1] neg_lo:[1,0,0]
	v_mov_b32_e32 v16, v43
	v_pk_fma_f32 v[30:31], v[58:59], v[42:43], v[30:31] op_sel_hi:[1,0,1]
	v_pk_fma_f32 v[40:41], v[60:61], v[42:43], v[40:41] op_sel_hi:[1,0,1]
	;; [unrolled: 1-line block ×3, first 2 shown]
	v_pk_fma_f32 v[30:31], v[58:59], v[16:17], v[30:31] op_sel:[1,0,0] op_sel_hi:[0,0,1] neg_lo:[1,0,0]
	v_pk_fma_f32 v[40:41], v[60:61], v[16:17], v[40:41] op_sel:[1,0,0] op_sel_hi:[0,0,1] neg_lo:[1,0,0]
	v_xor_b32_e32 v52, 0x80000000, v39
	v_mov_b32_e32 v53, v38
	v_xor_b32_e32 v66, 0x80000000, v35
	v_mov_b32_e32 v67, v34
	v_add_u32_e32 v14, 0xc0, v14
	s_waitcnt vmcnt(4)
	v_pk_fma_f32 v[12:13], v[36:37], v[8:9], v[12:13] op_sel_hi:[1,0,1]
	v_pk_fma_f32 v[30:31], v[64:65], v[8:9], v[30:31] op_sel_hi:[1,0,1]
	;; [unrolled: 1-line block ×3, first 2 shown]
	v_pk_fma_f32 v[12:13], v[36:37], v[8:9], v[12:13] op_sel:[1,1,0] op_sel_hi:[0,1,1] neg_lo:[1,0,0]
	v_pk_fma_f32 v[30:31], v[64:65], v[8:9], v[30:31] op_sel:[1,1,0] op_sel_hi:[0,1,1] neg_lo:[1,0,0]
	;; [unrolled: 1-line block ×3, first 2 shown]
	v_mov_b32_e32 v28, v11
	v_pk_fma_f32 v[12:13], v[38:39], v[10:11], v[12:13] op_sel_hi:[1,0,1]
	v_pk_fma_f32 v[30:31], v[68:69], v[10:11], v[30:31] op_sel_hi:[1,0,1]
	;; [unrolled: 1-line block ×4, first 2 shown]
	v_pk_fma_f32 v[12:13], v[68:69], v[28:29], v[30:31] op_sel:[1,0,0] op_sel_hi:[0,0,1] neg_lo:[1,0,0]
	v_pk_fma_f32 v[8:9], v[26:27], v[28:29], v[8:9] op_sel:[1,0,0] op_sel_hi:[0,0,1] neg_lo:[1,0,0]
	s_waitcnt vmcnt(1)
	v_pk_fma_f32 v[10:11], v[32:33], v[18:19], v[10:11] op_sel_hi:[1,0,1]
	v_pk_fma_f32 v[12:13], v[24:25], v[18:19], v[12:13] op_sel_hi:[1,0,1]
	;; [unrolled: 1-line block ×3, first 2 shown]
	v_pk_fma_f32 v[10:11], v[32:33], v[18:19], v[10:11] op_sel:[1,1,0] op_sel_hi:[0,1,1] neg_lo:[1,0,0]
	v_pk_fma_f32 v[12:13], v[24:25], v[18:19], v[12:13] op_sel:[1,1,0] op_sel_hi:[0,1,1] neg_lo:[1,0,0]
	;; [unrolled: 1-line block ×3, first 2 shown]
	v_mov_b32_e32 v44, v21
	v_pk_fma_f32 v[10:11], v[34:35], v[20:21], v[10:11] op_sel_hi:[1,0,1]
	s_waitcnt vmcnt(0)
	v_pk_fma_f32 v[18:19], v[70:71], v[20:21], v[12:13] op_sel_hi:[1,0,1]
	v_pk_fma_f32 v[8:9], v[50:51], v[20:21], v[8:9] op_sel_hi:[1,0,1]
	;; [unrolled: 1-line block ×3, first 2 shown]
	v_pk_fma_f32 v[10:11], v[70:71], v[44:45], v[18:19] op_sel:[1,0,0] op_sel_hi:[0,0,1] neg_lo:[1,0,0]
	v_pk_fma_f32 v[8:9], v[50:51], v[44:45], v[8:9] op_sel:[1,0,0] op_sel_hi:[0,0,1] neg_lo:[1,0,0]
	s_andn2_b64 exec, exec, s[2:3]
	s_cbranch_execnz .LBB105_21
; %bb.22:
	s_or_b64 exec, exec, s[2:3]
.LBB105_23:
	s_or_b64 exec, exec, s[4:5]
.LBB105_24:
	v_mov_b32_dpp v0, v12 row_shr:1 row_mask:0xf bank_mask:0xf
	v_add_f32_e32 v0, v12, v0
	v_mov_b32_dpp v12, v13 row_shr:1 row_mask:0xf bank_mask:0xf
	v_add_f32_e32 v12, v13, v12
	;; [unrolled: 2-line block ×5, first 2 shown]
	v_mov_b32_dpp v1, v0 row_shr:4 row_mask:0xf bank_mask:0xe
	v_mov_b32_dpp v14, v13 row_shr:4 row_mask:0xf bank_mask:0xe
	v_mov_b32_dpp v12, v10 row_shr:2 row_mask:0xf bank_mask:0xf
	v_add_f32_e32 v10, v10, v12
	v_cmp_eq_u32_e32 vcc, 7, v7
	v_mov_b32_dpp v12, v11 row_shr:1 row_mask:0xf bank_mask:0xf
	v_add_f32_e32 v11, v11, v12
	v_mov_b32_dpp v15, v10 row_shr:4 row_mask:0xf bank_mask:0xe
	s_nop 0
	v_mov_b32_dpp v12, v11 row_shr:2 row_mask:0xf bank_mask:0xf
	v_add_f32_e32 v11, v11, v12
	s_nop 0
	v_mov_b32_dpp v12, v8 row_shr:1 row_mask:0xf bank_mask:0xf
	v_add_f32_e32 v8, v8, v12
	v_mov_b32_dpp v17, v11 row_shr:4 row_mask:0xf bank_mask:0xe
	s_nop 0
	v_mov_b32_dpp v12, v8 row_shr:2 row_mask:0xf bank_mask:0xf
	v_add_f32_e32 v8, v8, v12
	s_nop 0
	;; [unrolled: 7-line block ×3, first 2 shown]
	v_mov_b32_dpp v19, v9 row_shr:4 row_mask:0xf bank_mask:0xe
	s_and_b64 exec, exec, vcc
	s_cbranch_execz .LBB105_29
; %bb.25:
	s_load_dwordx2 s[2:3], s[0:1], 0x38
	v_add_f32_e32 v12, v0, v1
	v_and_b32_e32 v1, 0x7fffffff, v4
	v_cmp_eq_u32_e32 vcc, 0, v1
	v_cmp_eq_f32_e64 s[0:1], 0, v5
	v_add_f32_e32 v16, v13, v14
	v_add_f32_e32 v10, v10, v15
	;; [unrolled: 1-line block ×5, first 2 shown]
	s_and_b64 s[0:1], vcc, s[0:1]
	s_and_saveexec_b64 s[4:5], s[0:1]
	s_xor_b64 s[0:1], exec, s[4:5]
	s_cbranch_execz .LBB105_27
; %bb.26:
	v_lshl_add_u32 v4, v6, 1, v6
	v_xor_b32_e32 v18, 0x80000000, v3
	v_ashrrev_i32_e32 v5, 31, v4
	v_mov_b32_e32 v19, v2
	s_waitcnt lgkmcnt(0)
	v_lshl_add_u64 v[20:21], v[4:5], 3, s[2:3]
	v_pk_mul_f32 v[4:5], v[16:17], v[18:19] op_sel_hi:[0,1]
	v_pk_mul_f32 v[6:7], v[14:15], v[18:19] op_sel_hi:[0,1]
	v_pk_fma_f32 v[4:5], v[2:3], v[12:13], v[4:5] op_sel_hi:[1,0,1]
	v_pk_fma_f32 v[6:7], v[2:3], v[10:11], v[6:7] op_sel_hi:[1,0,1]
	global_store_dwordx4 v[20:21], v[4:7], off
                                        ; implicit-def: $vgpr6
                                        ; implicit-def: $vgpr12
                                        ; implicit-def: $vgpr16
                                        ; implicit-def: $vgpr10
                                        ; implicit-def: $vgpr14
	s_nop 1
	v_pk_mul_f32 v[4:5], v[8:9], v[18:19] op_sel_hi:[0,1]
	v_pk_fma_f32 v[0:1], v[2:3], v[0:1], v[4:5] op_sel_hi:[1,0,1]
	global_store_dwordx2 v[20:21], v[0:1], off offset:16
                                        ; implicit-def: $vgpr3
                                        ; implicit-def: $vgpr4
                                        ; implicit-def: $vgpr0
                                        ; implicit-def: $vgpr8
.LBB105_27:
	s_andn2_saveexec_b64 s[0:1], s[0:1]
	s_cbranch_execz .LBB105_29
; %bb.28:
	v_lshl_add_u32 v6, v6, 1, v6
	v_ashrrev_i32_e32 v7, 31, v6
	s_waitcnt lgkmcnt(0)
	v_lshl_add_u64 v[6:7], v[6:7], 3, s[2:3]
	global_load_dwordx4 v[18:21], v[6:7], off
	global_load_dwordx2 v[22:23], v[6:7], off offset:16
	v_xor_b32_e32 v24, 0x80000000, v3
	v_mov_b32_e32 v25, v2
	v_pk_mul_f32 v[16:17], v[16:17], v[24:25] op_sel_hi:[0,1]
	v_pk_mul_f32 v[14:15], v[14:15], v[24:25] op_sel_hi:[0,1]
	;; [unrolled: 1-line block ×3, first 2 shown]
	v_pk_fma_f32 v[12:13], v[2:3], v[12:13], v[16:17] op_sel_hi:[1,0,1]
	v_pk_fma_f32 v[10:11], v[2:3], v[10:11], v[14:15] op_sel_hi:[1,0,1]
	v_xor_b32_e32 v26, 0x80000000, v5
	v_mov_b32_e32 v27, v4
	v_pk_fma_f32 v[0:1], v[2:3], v[0:1], v[8:9] op_sel_hi:[1,0,1]
	s_waitcnt vmcnt(1)
	v_pk_fma_f32 v[2:3], v[4:5], v[18:19], v[12:13] op_sel_hi:[1,0,1]
	v_pk_fma_f32 v[8:9], v[4:5], v[20:21], v[10:11] op_sel_hi:[1,0,1]
	v_mov_b32_e32 v10, v21
	s_waitcnt vmcnt(0)
	v_pk_fma_f32 v[4:5], v[4:5], v[22:23], v[0:1] op_sel_hi:[1,0,1]
	v_pk_fma_f32 v[0:1], v[26:27], v[18:19], v[2:3] op_sel:[0,1,0]
	v_pk_fma_f32 v[2:3], v[26:27], v[10:11], v[8:9] op_sel_hi:[1,0,1]
	v_pk_fma_f32 v[4:5], v[26:27], v[22:23], v[4:5] op_sel:[0,1,0]
	global_store_dwordx4 v[6:7], v[0:3], off
	global_store_dwordx2 v[6:7], v[4:5], off offset:16
.LBB105_29:
	s_endpgm
	.section	.rodata,"a",@progbits
	.p2align	6, 0x0
	.amdhsa_kernel _ZN9rocsparseL19gebsrmvn_3xn_kernelILj128ELj8ELj8E21rocsparse_complex_numIfEEEvi20rocsparse_direction_NS_24const_host_device_scalarIT2_EEPKiS8_PKS5_SA_S6_PS5_21rocsparse_index_base_b
		.amdhsa_group_segment_fixed_size 0
		.amdhsa_private_segment_fixed_size 0
		.amdhsa_kernarg_size 72
		.amdhsa_user_sgpr_count 2
		.amdhsa_user_sgpr_dispatch_ptr 0
		.amdhsa_user_sgpr_queue_ptr 0
		.amdhsa_user_sgpr_kernarg_segment_ptr 1
		.amdhsa_user_sgpr_dispatch_id 0
		.amdhsa_user_sgpr_kernarg_preload_length 0
		.amdhsa_user_sgpr_kernarg_preload_offset 0
		.amdhsa_user_sgpr_private_segment_size 0
		.amdhsa_uses_dynamic_stack 0
		.amdhsa_enable_private_segment 0
		.amdhsa_system_sgpr_workgroup_id_x 1
		.amdhsa_system_sgpr_workgroup_id_y 0
		.amdhsa_system_sgpr_workgroup_id_z 0
		.amdhsa_system_sgpr_workgroup_info 0
		.amdhsa_system_vgpr_workitem_id 0
		.amdhsa_next_free_vgpr 86
		.amdhsa_next_free_sgpr 16
		.amdhsa_accum_offset 88
		.amdhsa_reserve_vcc 1
		.amdhsa_float_round_mode_32 0
		.amdhsa_float_round_mode_16_64 0
		.amdhsa_float_denorm_mode_32 3
		.amdhsa_float_denorm_mode_16_64 3
		.amdhsa_dx10_clamp 1
		.amdhsa_ieee_mode 1
		.amdhsa_fp16_overflow 0
		.amdhsa_tg_split 0
		.amdhsa_exception_fp_ieee_invalid_op 0
		.amdhsa_exception_fp_denorm_src 0
		.amdhsa_exception_fp_ieee_div_zero 0
		.amdhsa_exception_fp_ieee_overflow 0
		.amdhsa_exception_fp_ieee_underflow 0
		.amdhsa_exception_fp_ieee_inexact 0
		.amdhsa_exception_int_div_zero 0
	.end_amdhsa_kernel
	.section	.text._ZN9rocsparseL19gebsrmvn_3xn_kernelILj128ELj8ELj8E21rocsparse_complex_numIfEEEvi20rocsparse_direction_NS_24const_host_device_scalarIT2_EEPKiS8_PKS5_SA_S6_PS5_21rocsparse_index_base_b,"axG",@progbits,_ZN9rocsparseL19gebsrmvn_3xn_kernelILj128ELj8ELj8E21rocsparse_complex_numIfEEEvi20rocsparse_direction_NS_24const_host_device_scalarIT2_EEPKiS8_PKS5_SA_S6_PS5_21rocsparse_index_base_b,comdat
.Lfunc_end105:
	.size	_ZN9rocsparseL19gebsrmvn_3xn_kernelILj128ELj8ELj8E21rocsparse_complex_numIfEEEvi20rocsparse_direction_NS_24const_host_device_scalarIT2_EEPKiS8_PKS5_SA_S6_PS5_21rocsparse_index_base_b, .Lfunc_end105-_ZN9rocsparseL19gebsrmvn_3xn_kernelILj128ELj8ELj8E21rocsparse_complex_numIfEEEvi20rocsparse_direction_NS_24const_host_device_scalarIT2_EEPKiS8_PKS5_SA_S6_PS5_21rocsparse_index_base_b
                                        ; -- End function
	.section	.AMDGPU.csdata,"",@progbits
; Kernel info:
; codeLenInByte = 3028
; NumSgprs: 22
; NumVgprs: 86
; NumAgprs: 0
; TotalNumVgprs: 86
; ScratchSize: 0
; MemoryBound: 0
; FloatMode: 240
; IeeeMode: 1
; LDSByteSize: 0 bytes/workgroup (compile time only)
; SGPRBlocks: 2
; VGPRBlocks: 10
; NumSGPRsForWavesPerEU: 22
; NumVGPRsForWavesPerEU: 86
; AccumOffset: 88
; Occupancy: 5
; WaveLimiterHint : 1
; COMPUTE_PGM_RSRC2:SCRATCH_EN: 0
; COMPUTE_PGM_RSRC2:USER_SGPR: 2
; COMPUTE_PGM_RSRC2:TRAP_HANDLER: 0
; COMPUTE_PGM_RSRC2:TGID_X_EN: 1
; COMPUTE_PGM_RSRC2:TGID_Y_EN: 0
; COMPUTE_PGM_RSRC2:TGID_Z_EN: 0
; COMPUTE_PGM_RSRC2:TIDIG_COMP_CNT: 0
; COMPUTE_PGM_RSRC3_GFX90A:ACCUM_OFFSET: 21
; COMPUTE_PGM_RSRC3_GFX90A:TG_SPLIT: 0
	.section	.text._ZN9rocsparseL19gebsrmvn_3xn_kernelILj128ELj8ELj16E21rocsparse_complex_numIfEEEvi20rocsparse_direction_NS_24const_host_device_scalarIT2_EEPKiS8_PKS5_SA_S6_PS5_21rocsparse_index_base_b,"axG",@progbits,_ZN9rocsparseL19gebsrmvn_3xn_kernelILj128ELj8ELj16E21rocsparse_complex_numIfEEEvi20rocsparse_direction_NS_24const_host_device_scalarIT2_EEPKiS8_PKS5_SA_S6_PS5_21rocsparse_index_base_b,comdat
	.globl	_ZN9rocsparseL19gebsrmvn_3xn_kernelILj128ELj8ELj16E21rocsparse_complex_numIfEEEvi20rocsparse_direction_NS_24const_host_device_scalarIT2_EEPKiS8_PKS5_SA_S6_PS5_21rocsparse_index_base_b ; -- Begin function _ZN9rocsparseL19gebsrmvn_3xn_kernelILj128ELj8ELj16E21rocsparse_complex_numIfEEEvi20rocsparse_direction_NS_24const_host_device_scalarIT2_EEPKiS8_PKS5_SA_S6_PS5_21rocsparse_index_base_b
	.p2align	8
	.type	_ZN9rocsparseL19gebsrmvn_3xn_kernelILj128ELj8ELj16E21rocsparse_complex_numIfEEEvi20rocsparse_direction_NS_24const_host_device_scalarIT2_EEPKiS8_PKS5_SA_S6_PS5_21rocsparse_index_base_b,@function
_ZN9rocsparseL19gebsrmvn_3xn_kernelILj128ELj8ELj16E21rocsparse_complex_numIfEEEvi20rocsparse_direction_NS_24const_host_device_scalarIT2_EEPKiS8_PKS5_SA_S6_PS5_21rocsparse_index_base_b: ; @_ZN9rocsparseL19gebsrmvn_3xn_kernelILj128ELj8ELj16E21rocsparse_complex_numIfEEEvi20rocsparse_direction_NS_24const_host_device_scalarIT2_EEPKiS8_PKS5_SA_S6_PS5_21rocsparse_index_base_b
; %bb.0:
	s_load_dwordx2 s[12:13], s[0:1], 0x40
	s_load_dwordx2 s[8:9], s[0:1], 0x8
	;; [unrolled: 1-line block ×3, first 2 shown]
	s_waitcnt lgkmcnt(0)
	s_bitcmp1_b32 s13, 0
	s_cselect_b64 s[4:5], -1, 0
	s_xor_b64 s[10:11], s[4:5], -1
	s_and_b64 vcc, exec, s[4:5]
	v_mov_b32_e32 v2, s8
	s_cbranch_vccnz .LBB106_2
; %bb.1:
	v_mov_b64_e32 v[2:3], s[8:9]
	flat_load_dword v2, v[2:3]
.LBB106_2:
	v_cndmask_b32_e64 v1, 0, 1, s[10:11]
	v_cmp_ne_u32_e64 s[4:5], 1, v1
	s_andn2_b64 vcc, exec, s[10:11]
	v_mov_b32_e32 v3, s9
	s_cbranch_vccz .LBB106_16
; %bb.3:
	s_and_b64 vcc, exec, s[4:5]
	v_mov_b32_e32 v4, s6
	s_cbranch_vccz .LBB106_17
.LBB106_4:
	s_and_b64 vcc, exec, s[4:5]
	v_mov_b32_e32 v5, s7
	s_cbranch_vccnz .LBB106_6
.LBB106_5:
	v_mov_b64_e32 v[6:7], s[6:7]
	flat_load_dword v5, v[6:7] offset:4
.LBB106_6:
	s_waitcnt vmcnt(0) lgkmcnt(0)
	v_and_b32_e32 v1, 0x7fffffff, v2
	v_cmp_eq_u32_e32 vcc, 0, v1
	v_cmp_eq_f32_e64 s[4:5], 0, v3
	s_and_b64 s[8:9], vcc, s[4:5]
	s_mov_b64 s[4:5], -1
	s_and_saveexec_b64 s[6:7], s[8:9]
; %bb.7:
	v_and_b32_e32 v1, 0x7fffffff, v5
	v_cmp_neq_f32_e32 vcc, 1.0, v4
	v_cmp_ne_u32_e64 s[4:5], 0, v1
	s_or_b64 s[4:5], vcc, s[4:5]
	s_orn2_b64 s[4:5], s[4:5], exec
; %bb.8:
	s_or_b64 exec, exec, s[6:7]
	s_and_saveexec_b64 s[6:7], s[4:5]
	s_cbranch_execz .LBB106_29
; %bb.9:
	s_load_dwordx2 s[14:15], s[0:1], 0x0
	v_lshrrev_b32_e32 v1, 4, v0
	v_lshl_or_b32 v6, s2, 3, v1
	s_waitcnt lgkmcnt(0)
	v_cmp_gt_i32_e32 vcc, s14, v6
	s_and_b64 exec, exec, vcc
	s_cbranch_execz .LBB106_29
; %bb.10:
	s_load_dwordx8 s[4:11], s[0:1], 0x10
	v_ashrrev_i32_e32 v7, 31, v6
	s_cmp_lg_u32 s15, 0
	s_waitcnt lgkmcnt(0)
	v_lshl_add_u64 v[8:9], v[6:7], 2, s[4:5]
	global_load_dwordx2 v[8:9], v[8:9], off
	v_and_b32_e32 v7, 15, v0
	s_waitcnt vmcnt(0)
	v_subrev_u32_e32 v0, s12, v8
	v_subrev_u32_e32 v22, s12, v9
	v_add_u32_e32 v0, v0, v7
	v_cmp_lt_i32_e64 s[2:3], v0, v22
	s_cbranch_scc0 .LBB106_18
; %bb.11:
	v_mov_b32_e32 v13, 0
	v_mov_b32_e32 v12, v13
	;; [unrolled: 1-line block ×6, first 2 shown]
	s_and_saveexec_b64 s[4:5], s[2:3]
	s_cbranch_execz .LBB106_15
; %bb.12:
	v_mad_u64_u32 v[14:15], s[14:15], v0, 24, 23
	v_mov_b32_e32 v17, 0
	s_mov_b64 s[14:15], 0
	v_mov_b32_e32 v18, v0
	v_mov_b32_e32 v8, v17
	;; [unrolled: 1-line block ×7, first 2 shown]
.LBB106_13:                             ; =>This Inner Loop Header: Depth=1
	v_ashrrev_i32_e32 v19, 31, v18
	v_subrev_u32_e32 v16, 23, v14
	v_lshl_add_u64 v[40:41], v[18:19], 2, s[6:7]
	v_lshl_add_u64 v[42:43], v[16:17], 3, s[8:9]
	global_load_dword v1, v[40:41], off
	global_load_dwordx4 v[24:27], v[42:43], off
	global_load_dwordx4 v[28:31], v[42:43], off offset:16
	global_load_dwordx4 v[32:35], v[42:43], off offset:48
	;; [unrolled: 1-line block ×3, first 2 shown]
	v_add_u32_e32 v16, -15, v14
	v_mov_b32_e32 v15, v17
	v_lshl_add_u64 v[40:41], v[16:17], 3, s[8:9]
	v_add_u32_e32 v16, -14, v14
	v_lshl_add_u64 v[44:45], v[14:15], 3, s[8:9]
	v_lshl_add_u64 v[42:43], v[16:17], 3, s[8:9]
	v_add_u32_e32 v16, -13, v14
	global_load_dwordx2 v[48:49], v[44:45], off
	global_load_dwordx2 v[52:53], v[42:43], off
	;; [unrolled: 1-line block ×3, first 2 shown]
	v_lshl_add_u64 v[40:41], v[16:17], 3, s[8:9]
	v_add_u32_e32 v16, -12, v14
	v_lshl_add_u64 v[42:43], v[16:17], 3, s[8:9]
	v_add_u32_e32 v16, -11, v14
	global_load_dwordx2 v[54:55], v[40:41], off
	global_load_dwordx2 v[56:57], v[42:43], off
	v_lshl_add_u64 v[40:41], v[16:17], 3, s[8:9]
	v_add_u32_e32 v16, -10, v14
	v_lshl_add_u64 v[42:43], v[16:17], 3, s[8:9]
	v_add_u32_e32 v16, -9, v14
	global_load_dwordx2 v[58:59], v[40:41], off
	global_load_dwordx2 v[60:61], v[42:43], off
	;; [unrolled: 6-line block ×4, first 2 shown]
	v_lshl_add_u64 v[40:41], v[16:17], 3, s[8:9]
	v_add_u32_e32 v16, -4, v14
	v_lshl_add_u64 v[42:43], v[16:17], 3, s[8:9]
	v_add_u32_e32 v16, -3, v14
	v_mov_b32_e32 v21, v17
	global_load_dwordx2 v[70:71], v[40:41], off
	global_load_dwordx2 v[72:73], v[42:43], off
	v_lshl_add_u64 v[40:41], v[16:17], 3, s[8:9]
	v_add_u32_e32 v16, -2, v14
	v_lshl_add_u64 v[42:43], v[16:17], 3, s[8:9]
	global_load_dwordx2 v[74:75], v[40:41], off
	global_load_dwordx2 v[78:79], v[42:43], off
	v_add_u32_e32 v16, -1, v14
	v_lshl_add_u64 v[76:77], v[16:17], 3, s[8:9]
	v_add_u32_e32 v18, 16, v18
	v_cmp_ge_i32_e32 vcc, v18, v22
	s_or_b64 s[14:15], vcc, s[14:15]
	v_add_u32_e32 v14, 0x180, v14
	s_waitcnt vmcnt(19)
	v_subrev_u32_e32 v1, s12, v1
	v_lshlrev_b32_e32 v20, 3, v1
	v_lshl_add_u64 v[20:21], v[20:21], 3, s[10:11]
	global_load_dwordx4 v[40:43], v[20:21], off
	global_load_dwordx4 v[44:47], v[20:21], off offset:16
	s_waitcnt vmcnt(20)
	v_xor_b32_e32 v80, 0x80000000, v27
	v_mov_b32_e32 v81, v26
	s_waitcnt vmcnt(19)
	v_xor_b32_e32 v82, 0x80000000, v31
	v_mov_b32_e32 v83, v30
	s_waitcnt vmcnt(1)
	v_pk_fma_f32 v[12:13], v[24:25], v[40:41], v[12:13] op_sel_hi:[1,0,1]
	v_pk_fma_f32 v[84:85], v[26:27], v[40:41], v[10:11] op_sel_hi:[1,0,1]
	v_pk_fma_f32 v[24:25], v[24:25], v[40:41], v[12:13] op_sel:[1,1,0] op_sel_hi:[0,1,1] neg_lo:[1,0,0]
	global_load_dwordx4 v[10:13], v[20:21], off offset:32
	v_pk_fma_f32 v[8:9], v[28:29], v[40:41], v[8:9] op_sel_hi:[1,0,1]
	v_mov_b32_e32 v16, v43
	v_pk_fma_f32 v[8:9], v[28:29], v[40:41], v[8:9] op_sel:[1,1,0] op_sel_hi:[0,1,1] neg_lo:[1,0,0]
	v_pk_fma_f32 v[28:29], v[30:31], v[42:43], v[24:25] op_sel_hi:[1,0,1]
	global_load_dwordx4 v[24:27], v[20:21], off offset:48
	global_load_dwordx2 v[30:31], v[76:77], off
	v_pk_fma_f32 v[40:41], v[80:81], v[40:41], v[84:85] op_sel:[0,1,0]
	v_xor_b32_e32 v20, 0x80000000, v39
	v_mov_b32_e32 v21, v38
	v_pk_fma_f32 v[40:41], v[36:37], v[42:43], v[40:41] op_sel_hi:[1,0,1]
	v_pk_fma_f32 v[8:9], v[38:39], v[42:43], v[8:9] op_sel_hi:[1,0,1]
	v_pk_fma_f32 v[36:37], v[36:37], v[16:17], v[40:41] op_sel:[1,0,0] op_sel_hi:[0,0,1] neg_lo:[1,0,0]
	v_pk_fma_f32 v[28:29], v[82:83], v[16:17], v[28:29] op_sel_hi:[1,0,1]
	v_pk_fma_f32 v[8:9], v[20:21], v[16:17], v[8:9] op_sel_hi:[1,0,1]
	v_xor_b32_e32 v76, 0x80000000, v35
	v_mov_b32_e32 v77, v34
	s_waitcnt vmcnt(3)
	v_pk_fma_f32 v[20:21], v[32:33], v[44:45], v[28:29] op_sel_hi:[1,0,1]
	v_pk_fma_f32 v[28:29], v[34:35], v[44:45], v[36:37] op_sel_hi:[1,0,1]
	;; [unrolled: 1-line block ×3, first 2 shown]
	v_pk_fma_f32 v[20:21], v[32:33], v[44:45], v[20:21] op_sel:[1,1,0] op_sel_hi:[0,1,1] neg_lo:[1,0,0]
	v_pk_fma_f32 v[28:29], v[76:77], v[44:45], v[28:29] op_sel:[0,1,0]
	v_pk_fma_f32 v[8:9], v[50:51], v[44:45], v[8:9] op_sel:[1,1,0] op_sel_hi:[0,1,1] neg_lo:[1,0,0]
	v_mov_b32_e32 v38, v47
	v_pk_fma_f32 v[20:21], v[52:53], v[46:47], v[20:21] op_sel_hi:[1,0,1]
	v_pk_fma_f32 v[28:29], v[54:55], v[46:47], v[28:29] op_sel_hi:[1,0,1]
	v_pk_fma_f32 v[8:9], v[56:57], v[46:47], v[8:9] op_sel_hi:[1,0,1]
	v_pk_fma_f32 v[20:21], v[52:53], v[38:39], v[20:21] op_sel:[1,0,0] op_sel_hi:[0,0,1] neg_lo:[1,0,0]
	v_pk_fma_f32 v[28:29], v[54:55], v[38:39], v[28:29] op_sel:[1,0,0] op_sel_hi:[0,0,1] neg_lo:[1,0,0]
	;; [unrolled: 1-line block ×3, first 2 shown]
	s_waitcnt vmcnt(2)
	v_pk_fma_f32 v[20:21], v[58:59], v[10:11], v[20:21] op_sel_hi:[1,0,1]
	v_pk_fma_f32 v[28:29], v[60:61], v[10:11], v[28:29] op_sel_hi:[1,0,1]
	;; [unrolled: 1-line block ×3, first 2 shown]
	v_pk_fma_f32 v[20:21], v[58:59], v[10:11], v[20:21] op_sel:[1,1,0] op_sel_hi:[0,1,1] neg_lo:[1,0,0]
	v_pk_fma_f32 v[28:29], v[60:61], v[10:11], v[28:29] op_sel:[1,1,0] op_sel_hi:[0,1,1] neg_lo:[1,0,0]
	;; [unrolled: 1-line block ×3, first 2 shown]
	v_mov_b32_e32 v40, v13
	v_pk_fma_f32 v[10:11], v[64:65], v[12:13], v[20:21] op_sel_hi:[1,0,1]
	v_pk_fma_f32 v[20:21], v[66:67], v[12:13], v[28:29] op_sel_hi:[1,0,1]
	;; [unrolled: 1-line block ×3, first 2 shown]
	v_pk_fma_f32 v[10:11], v[64:65], v[40:41], v[10:11] op_sel:[1,0,0] op_sel_hi:[0,0,1] neg_lo:[1,0,0]
	v_pk_fma_f32 v[12:13], v[66:67], v[40:41], v[20:21] op_sel:[1,0,0] op_sel_hi:[0,0,1] neg_lo:[1,0,0]
	;; [unrolled: 1-line block ×3, first 2 shown]
	s_waitcnt vmcnt(1)
	v_pk_fma_f32 v[10:11], v[70:71], v[24:25], v[10:11] op_sel_hi:[1,0,1]
	v_pk_fma_f32 v[12:13], v[72:73], v[24:25], v[12:13] op_sel_hi:[1,0,1]
	;; [unrolled: 1-line block ×3, first 2 shown]
	v_pk_fma_f32 v[10:11], v[70:71], v[24:25], v[10:11] op_sel:[1,1,0] op_sel_hi:[0,1,1] neg_lo:[1,0,0]
	v_pk_fma_f32 v[12:13], v[72:73], v[24:25], v[12:13] op_sel:[1,1,0] op_sel_hi:[0,1,1] neg_lo:[1,0,0]
	;; [unrolled: 1-line block ×3, first 2 shown]
	v_mov_b32_e32 v42, v27
	v_pk_fma_f32 v[10:11], v[78:79], v[26:27], v[10:11] op_sel_hi:[1,0,1]
	s_waitcnt vmcnt(0)
	v_pk_fma_f32 v[20:21], v[30:31], v[26:27], v[12:13] op_sel_hi:[1,0,1]
	v_pk_fma_f32 v[8:9], v[48:49], v[26:27], v[8:9] op_sel_hi:[1,0,1]
	v_pk_fma_f32 v[12:13], v[78:79], v[42:43], v[10:11] op_sel:[1,0,0] op_sel_hi:[0,0,1] neg_lo:[1,0,0]
	v_pk_fma_f32 v[10:11], v[30:31], v[42:43], v[20:21] op_sel:[1,0,0] op_sel_hi:[0,0,1] neg_lo:[1,0,0]
	;; [unrolled: 1-line block ×3, first 2 shown]
	s_andn2_b64 exec, exec, s[14:15]
	s_cbranch_execnz .LBB106_13
; %bb.14:
	s_or_b64 exec, exec, s[14:15]
.LBB106_15:
	s_or_b64 exec, exec, s[4:5]
	s_cbranch_execz .LBB106_19
	s_branch .LBB106_24
.LBB106_16:
	v_mov_b64_e32 v[4:5], s[8:9]
	flat_load_dword v3, v[4:5] offset:4
	s_and_b64 vcc, exec, s[4:5]
	v_mov_b32_e32 v4, s6
	s_cbranch_vccnz .LBB106_4
.LBB106_17:
	v_mov_b64_e32 v[4:5], s[6:7]
	flat_load_dword v4, v[4:5]
	s_and_b64 vcc, exec, s[4:5]
	v_mov_b32_e32 v5, s7
	s_cbranch_vccz .LBB106_5
	s_branch .LBB106_6
.LBB106_18:
                                        ; implicit-def: $vgpr13
                                        ; implicit-def: $vgpr9
                                        ; implicit-def: $vgpr11
.LBB106_19:
	v_mov_b32_e32 v13, 0
	v_mov_b32_e32 v12, v13
	;; [unrolled: 1-line block ×6, first 2 shown]
	s_and_saveexec_b64 s[4:5], s[2:3]
	s_cbranch_execz .LBB106_23
; %bb.20:
	v_mad_u64_u32 v[14:15], s[2:3], v0, 24, 23
	v_mov_b32_e32 v17, 0
	s_mov_b64 s[2:3], 0
	v_mov_b32_e32 v8, v17
	v_mov_b32_e32 v9, v17
	;; [unrolled: 1-line block ×6, first 2 shown]
.LBB106_21:                             ; =>This Inner Loop Header: Depth=1
	v_ashrrev_i32_e32 v1, 31, v0
	v_subrev_u32_e32 v16, 23, v14
	v_add_u32_e32 v24, -7, v14
	v_mov_b32_e32 v25, v17
	v_lshl_add_u64 v[32:33], v[0:1], 2, s[6:7]
	v_lshl_add_u64 v[40:41], v[16:17], 3, s[8:9]
	;; [unrolled: 1-line block ×3, first 2 shown]
	global_load_dword v1, v[32:33], off
	global_load_dwordx4 v[24:27], v[40:41], off
	global_load_dwordx4 v[28:31], v[40:41], off offset:16
	v_add_u32_e32 v20, -15, v14
	v_mov_b32_e32 v21, v17
	v_add_u32_e32 v16, -14, v14
	v_mov_b32_e32 v15, v17
	v_lshl_add_u64 v[20:21], v[20:21], 3, s[8:9]
	v_lshl_add_u64 v[46:47], v[16:17], 3, s[8:9]
	v_add_u32_e32 v16, -6, v14
	v_lshl_add_u64 v[44:45], v[14:15], 3, s[8:9]
	global_load_dwordx4 v[32:35], v[40:41], off offset:48
	global_load_dwordx4 v[36:39], v[40:41], off offset:32
	global_load_dwordx2 v[48:49], v[20:21], off
	global_load_dwordx2 v[50:51], v[44:45], off
	v_lshl_add_u64 v[20:21], v[16:17], 3, s[8:9]
	v_add_u32_e32 v16, -13, v14
	v_lshl_add_u64 v[40:41], v[16:17], 3, s[8:9]
	v_add_u32_e32 v16, -5, v14
	global_load_dwordx2 v[44:45], v[46:47], off
	s_nop 0
	global_load_dwordx2 v[46:47], v[20:21], off
	global_load_dwordx2 v[52:53], v[42:43], off
	v_lshl_add_u64 v[20:21], v[16:17], 3, s[8:9]
	v_add_u32_e32 v16, -12, v14
	global_load_dwordx2 v[54:55], v[40:41], off
	global_load_dwordx2 v[56:57], v[20:21], off
	v_lshl_add_u64 v[40:41], v[16:17], 3, s[8:9]
	v_add_u32_e32 v16, -4, v14
	v_lshl_add_u64 v[20:21], v[16:17], 3, s[8:9]
	v_add_u32_e32 v16, -11, v14
	global_load_dwordx2 v[58:59], v[40:41], off
	global_load_dwordx2 v[60:61], v[20:21], off
	v_lshl_add_u64 v[40:41], v[16:17], 3, s[8:9]
	v_add_u32_e32 v16, -3, v14
	v_mov_b32_e32 v19, v17
	v_lshl_add_u64 v[62:63], v[16:17], 3, s[8:9]
	v_add_u32_e32 v16, -10, v14
	v_lshl_add_u64 v[20:21], v[16:17], 3, s[8:9]
	global_load_dwordx2 v[64:65], v[40:41], off
	global_load_dwordx2 v[68:69], v[20:21], off
	v_add_u32_e32 v16, -2, v14
	v_lshl_add_u64 v[66:67], v[16:17], 3, s[8:9]
	v_add_u32_e32 v16, -9, v14
	v_add_u32_e32 v0, 16, v0
	v_cmp_ge_i32_e32 vcc, v0, v22
	s_or_b64 s[2:3], vcc, s[2:3]
	s_waitcnt vmcnt(15)
	v_subrev_u32_e32 v1, s12, v1
	v_lshlrev_b32_e32 v18, 3, v1
	v_lshl_add_u64 v[72:73], v[18:19], 3, s[10:11]
	global_load_dwordx4 v[18:21], v[72:73], off
	global_load_dwordx4 v[40:43], v[72:73], off offset:16
	s_waitcnt vmcnt(16)
	v_xor_b32_e32 v70, 0x80000000, v27
	v_mov_b32_e32 v71, v26
	s_waitcnt vmcnt(1)
	v_pk_fma_f32 v[12:13], v[24:25], v[18:19], v[12:13] op_sel_hi:[1,0,1]
	v_pk_fma_f32 v[10:11], v[48:49], v[18:19], v[10:11] op_sel_hi:[1,0,1]
	;; [unrolled: 1-line block ×3, first 2 shown]
	v_pk_fma_f32 v[12:13], v[24:25], v[18:19], v[12:13] op_sel:[1,1,0] op_sel_hi:[0,1,1] neg_lo:[1,0,0]
	v_pk_fma_f32 v[10:11], v[48:49], v[18:19], v[10:11] op_sel:[1,1,0] op_sel_hi:[0,1,1] neg_lo:[1,0,0]
	;; [unrolled: 1-line block ×3, first 2 shown]
	v_pk_fma_f32 v[12:13], v[26:27], v[20:21], v[12:13] op_sel_hi:[1,0,1]
	global_load_dwordx2 v[26:27], v[66:67], off
	global_load_dwordx2 v[74:75], v[62:63], off
	v_pk_fma_f32 v[52:53], v[44:45], v[20:21], v[10:11] op_sel_hi:[1,0,1]
	v_pk_fma_f32 v[66:67], v[46:47], v[20:21], v[8:9] op_sel_hi:[1,0,1]
	global_load_dwordx4 v[8:11], v[72:73], off offset:32
	v_lshl_add_u64 v[24:25], v[16:17], 3, s[8:9]
	v_add_u32_e32 v16, -1, v14
	v_lshl_add_u64 v[62:63], v[16:17], 3, s[8:9]
	v_add_u32_e32 v16, -8, v14
	global_load_dwordx2 v[24:25], v[24:25], off
	v_lshl_add_u64 v[48:49], v[16:17], 3, s[8:9]
	global_load_dwordx2 v[62:63], v[62:63], off
	v_mov_b32_e32 v16, v21
	v_pk_fma_f32 v[12:13], v[70:71], v[16:17], v[12:13] op_sel_hi:[1,0,1]
	global_load_dwordx4 v[18:21], v[72:73], off offset:48
	global_load_dwordx2 v[70:71], v[48:49], off
	s_waitcnt vmcnt(7)
	v_pk_fma_f32 v[12:13], v[28:29], v[40:41], v[12:13] op_sel_hi:[1,0,1]
	v_pk_fma_f32 v[44:45], v[44:45], v[16:17], v[52:53] op_sel:[1,0,0] op_sel_hi:[0,0,1] neg_lo:[1,0,0]
	v_pk_fma_f32 v[46:47], v[46:47], v[16:17], v[66:67] op_sel:[1,0,0] op_sel_hi:[0,0,1] neg_lo:[1,0,0]
	;; [unrolled: 1-line block ×3, first 2 shown]
	v_xor_b32_e32 v48, 0x80000000, v31
	v_mov_b32_e32 v49, v30
	v_pk_fma_f32 v[12:13], v[30:31], v[42:43], v[12:13] op_sel_hi:[1,0,1]
	v_pk_fma_f32 v[30:31], v[54:55], v[40:41], v[44:45] op_sel_hi:[1,0,1]
	;; [unrolled: 1-line block ×3, first 2 shown]
	v_pk_fma_f32 v[30:31], v[54:55], v[40:41], v[30:31] op_sel:[1,1,0] op_sel_hi:[0,1,1] neg_lo:[1,0,0]
	v_pk_fma_f32 v[40:41], v[56:57], v[40:41], v[46:47] op_sel:[1,1,0] op_sel_hi:[0,1,1] neg_lo:[1,0,0]
	v_mov_b32_e32 v16, v43
	v_pk_fma_f32 v[30:31], v[58:59], v[42:43], v[30:31] op_sel_hi:[1,0,1]
	v_pk_fma_f32 v[40:41], v[60:61], v[42:43], v[40:41] op_sel_hi:[1,0,1]
	;; [unrolled: 1-line block ×3, first 2 shown]
	v_pk_fma_f32 v[30:31], v[58:59], v[16:17], v[30:31] op_sel:[1,0,0] op_sel_hi:[0,0,1] neg_lo:[1,0,0]
	v_pk_fma_f32 v[40:41], v[60:61], v[16:17], v[40:41] op_sel:[1,0,0] op_sel_hi:[0,0,1] neg_lo:[1,0,0]
	v_xor_b32_e32 v52, 0x80000000, v39
	v_mov_b32_e32 v53, v38
	v_xor_b32_e32 v66, 0x80000000, v35
	v_mov_b32_e32 v67, v34
	v_add_u32_e32 v14, 0x180, v14
	s_waitcnt vmcnt(4)
	v_pk_fma_f32 v[12:13], v[36:37], v[8:9], v[12:13] op_sel_hi:[1,0,1]
	v_pk_fma_f32 v[30:31], v[64:65], v[8:9], v[30:31] op_sel_hi:[1,0,1]
	;; [unrolled: 1-line block ×3, first 2 shown]
	v_pk_fma_f32 v[12:13], v[36:37], v[8:9], v[12:13] op_sel:[1,1,0] op_sel_hi:[0,1,1] neg_lo:[1,0,0]
	v_pk_fma_f32 v[30:31], v[64:65], v[8:9], v[30:31] op_sel:[1,1,0] op_sel_hi:[0,1,1] neg_lo:[1,0,0]
	;; [unrolled: 1-line block ×3, first 2 shown]
	v_mov_b32_e32 v28, v11
	v_pk_fma_f32 v[12:13], v[38:39], v[10:11], v[12:13] op_sel_hi:[1,0,1]
	v_pk_fma_f32 v[30:31], v[68:69], v[10:11], v[30:31] op_sel_hi:[1,0,1]
	;; [unrolled: 1-line block ×4, first 2 shown]
	v_pk_fma_f32 v[12:13], v[68:69], v[28:29], v[30:31] op_sel:[1,0,0] op_sel_hi:[0,0,1] neg_lo:[1,0,0]
	v_pk_fma_f32 v[8:9], v[26:27], v[28:29], v[8:9] op_sel:[1,0,0] op_sel_hi:[0,0,1] neg_lo:[1,0,0]
	s_waitcnt vmcnt(1)
	v_pk_fma_f32 v[10:11], v[32:33], v[18:19], v[10:11] op_sel_hi:[1,0,1]
	v_pk_fma_f32 v[12:13], v[24:25], v[18:19], v[12:13] op_sel_hi:[1,0,1]
	;; [unrolled: 1-line block ×3, first 2 shown]
	v_pk_fma_f32 v[10:11], v[32:33], v[18:19], v[10:11] op_sel:[1,1,0] op_sel_hi:[0,1,1] neg_lo:[1,0,0]
	v_pk_fma_f32 v[12:13], v[24:25], v[18:19], v[12:13] op_sel:[1,1,0] op_sel_hi:[0,1,1] neg_lo:[1,0,0]
	;; [unrolled: 1-line block ×3, first 2 shown]
	v_mov_b32_e32 v44, v21
	v_pk_fma_f32 v[10:11], v[34:35], v[20:21], v[10:11] op_sel_hi:[1,0,1]
	s_waitcnt vmcnt(0)
	v_pk_fma_f32 v[18:19], v[70:71], v[20:21], v[12:13] op_sel_hi:[1,0,1]
	v_pk_fma_f32 v[8:9], v[50:51], v[20:21], v[8:9] op_sel_hi:[1,0,1]
	;; [unrolled: 1-line block ×3, first 2 shown]
	v_pk_fma_f32 v[10:11], v[70:71], v[44:45], v[18:19] op_sel:[1,0,0] op_sel_hi:[0,0,1] neg_lo:[1,0,0]
	v_pk_fma_f32 v[8:9], v[50:51], v[44:45], v[8:9] op_sel:[1,0,0] op_sel_hi:[0,0,1] neg_lo:[1,0,0]
	s_andn2_b64 exec, exec, s[2:3]
	s_cbranch_execnz .LBB106_21
; %bb.22:
	s_or_b64 exec, exec, s[2:3]
.LBB106_23:
	s_or_b64 exec, exec, s[4:5]
.LBB106_24:
	v_mov_b32_dpp v0, v12 row_shr:1 row_mask:0xf bank_mask:0xf
	v_add_f32_e32 v0, v12, v0
	v_mov_b32_dpp v12, v13 row_shr:1 row_mask:0xf bank_mask:0xf
	v_add_f32_e32 v12, v13, v12
	v_mov_b32_dpp v1, v0 row_shr:2 row_mask:0xf bank_mask:0xf
	v_add_f32_e32 v0, v0, v1
	v_mov_b32_dpp v13, v12 row_shr:2 row_mask:0xf bank_mask:0xf
	v_add_f32_e32 v12, v12, v13
	v_mov_b32_dpp v1, v0 row_shr:4 row_mask:0xf bank_mask:0xe
	v_add_f32_e32 v0, v0, v1
	v_mov_b32_dpp v13, v12 row_shr:4 row_mask:0xf bank_mask:0xe
	v_add_f32_e32 v13, v12, v13
	v_mov_b32_dpp v12, v10 row_shr:1 row_mask:0xf bank_mask:0xf
	v_add_f32_e32 v10, v10, v12
	v_mov_b32_dpp v1, v0 row_shr:8 row_mask:0xf bank_mask:0xc
	v_mov_b32_dpp v14, v13 row_shr:8 row_mask:0xf bank_mask:0xc
	;; [unrolled: 1-line block ×3, first 2 shown]
	v_add_f32_e32 v10, v10, v12
	v_cmp_eq_u32_e32 vcc, 15, v7
	s_nop 0
	v_mov_b32_dpp v12, v10 row_shr:4 row_mask:0xf bank_mask:0xe
	v_add_f32_e32 v10, v10, v12
	s_nop 0
	v_mov_b32_dpp v12, v11 row_shr:1 row_mask:0xf bank_mask:0xf
	v_add_f32_e32 v11, v11, v12
	v_mov_b32_dpp v15, v10 row_shr:8 row_mask:0xf bank_mask:0xc
	s_nop 0
	v_mov_b32_dpp v12, v11 row_shr:2 row_mask:0xf bank_mask:0xf
	v_add_f32_e32 v11, v11, v12
	s_nop 1
	v_mov_b32_dpp v12, v11 row_shr:4 row_mask:0xf bank_mask:0xe
	v_add_f32_e32 v11, v11, v12
	s_nop 0
	v_mov_b32_dpp v12, v8 row_shr:1 row_mask:0xf bank_mask:0xf
	v_add_f32_e32 v8, v8, v12
	v_mov_b32_dpp v17, v11 row_shr:8 row_mask:0xf bank_mask:0xc
	s_nop 0
	v_mov_b32_dpp v12, v8 row_shr:2 row_mask:0xf bank_mask:0xf
	v_add_f32_e32 v8, v8, v12
	;; [unrolled: 10-line block ×3, first 2 shown]
	s_nop 1
	v_mov_b32_dpp v12, v9 row_shr:4 row_mask:0xf bank_mask:0xe
	v_add_f32_e32 v9, v9, v12
	s_nop 1
	v_mov_b32_dpp v19, v9 row_shr:8 row_mask:0xf bank_mask:0xc
	s_and_b64 exec, exec, vcc
	s_cbranch_execz .LBB106_29
; %bb.25:
	s_load_dwordx2 s[2:3], s[0:1], 0x38
	v_add_f32_e32 v12, v0, v1
	v_and_b32_e32 v1, 0x7fffffff, v4
	v_cmp_eq_u32_e32 vcc, 0, v1
	v_cmp_eq_f32_e64 s[0:1], 0, v5
	v_add_f32_e32 v16, v13, v14
	v_add_f32_e32 v10, v10, v15
	;; [unrolled: 1-line block ×5, first 2 shown]
	s_and_b64 s[0:1], vcc, s[0:1]
	s_and_saveexec_b64 s[4:5], s[0:1]
	s_xor_b64 s[0:1], exec, s[4:5]
	s_cbranch_execz .LBB106_27
; %bb.26:
	v_lshl_add_u32 v4, v6, 1, v6
	v_xor_b32_e32 v18, 0x80000000, v3
	v_ashrrev_i32_e32 v5, 31, v4
	v_mov_b32_e32 v19, v2
	s_waitcnt lgkmcnt(0)
	v_lshl_add_u64 v[20:21], v[4:5], 3, s[2:3]
	v_pk_mul_f32 v[4:5], v[16:17], v[18:19] op_sel_hi:[0,1]
	v_pk_mul_f32 v[6:7], v[14:15], v[18:19] op_sel_hi:[0,1]
	v_pk_fma_f32 v[4:5], v[2:3], v[12:13], v[4:5] op_sel_hi:[1,0,1]
	v_pk_fma_f32 v[6:7], v[2:3], v[10:11], v[6:7] op_sel_hi:[1,0,1]
	global_store_dwordx4 v[20:21], v[4:7], off
                                        ; implicit-def: $vgpr6
                                        ; implicit-def: $vgpr12
                                        ; implicit-def: $vgpr16
                                        ; implicit-def: $vgpr10
                                        ; implicit-def: $vgpr14
	s_nop 1
	v_pk_mul_f32 v[4:5], v[8:9], v[18:19] op_sel_hi:[0,1]
	v_pk_fma_f32 v[0:1], v[2:3], v[0:1], v[4:5] op_sel_hi:[1,0,1]
	global_store_dwordx2 v[20:21], v[0:1], off offset:16
                                        ; implicit-def: $vgpr3
                                        ; implicit-def: $vgpr4
                                        ; implicit-def: $vgpr0
                                        ; implicit-def: $vgpr8
.LBB106_27:
	s_andn2_saveexec_b64 s[0:1], s[0:1]
	s_cbranch_execz .LBB106_29
; %bb.28:
	v_lshl_add_u32 v6, v6, 1, v6
	v_ashrrev_i32_e32 v7, 31, v6
	s_waitcnt lgkmcnt(0)
	v_lshl_add_u64 v[6:7], v[6:7], 3, s[2:3]
	global_load_dwordx4 v[18:21], v[6:7], off
	global_load_dwordx2 v[22:23], v[6:7], off offset:16
	v_xor_b32_e32 v24, 0x80000000, v3
	v_mov_b32_e32 v25, v2
	v_pk_mul_f32 v[16:17], v[16:17], v[24:25] op_sel_hi:[0,1]
	v_pk_mul_f32 v[14:15], v[14:15], v[24:25] op_sel_hi:[0,1]
	;; [unrolled: 1-line block ×3, first 2 shown]
	v_pk_fma_f32 v[12:13], v[2:3], v[12:13], v[16:17] op_sel_hi:[1,0,1]
	v_pk_fma_f32 v[10:11], v[2:3], v[10:11], v[14:15] op_sel_hi:[1,0,1]
	v_xor_b32_e32 v26, 0x80000000, v5
	v_mov_b32_e32 v27, v4
	v_pk_fma_f32 v[0:1], v[2:3], v[0:1], v[8:9] op_sel_hi:[1,0,1]
	s_waitcnt vmcnt(1)
	v_pk_fma_f32 v[2:3], v[4:5], v[18:19], v[12:13] op_sel_hi:[1,0,1]
	v_pk_fma_f32 v[8:9], v[4:5], v[20:21], v[10:11] op_sel_hi:[1,0,1]
	v_mov_b32_e32 v10, v21
	s_waitcnt vmcnt(0)
	v_pk_fma_f32 v[4:5], v[4:5], v[22:23], v[0:1] op_sel_hi:[1,0,1]
	v_pk_fma_f32 v[0:1], v[26:27], v[18:19], v[2:3] op_sel:[0,1,0]
	v_pk_fma_f32 v[2:3], v[26:27], v[10:11], v[8:9] op_sel_hi:[1,0,1]
	v_pk_fma_f32 v[4:5], v[26:27], v[22:23], v[4:5] op_sel:[0,1,0]
	global_store_dwordx4 v[6:7], v[0:3], off
	global_store_dwordx2 v[6:7], v[4:5], off offset:16
.LBB106_29:
	s_endpgm
	.section	.rodata,"a",@progbits
	.p2align	6, 0x0
	.amdhsa_kernel _ZN9rocsparseL19gebsrmvn_3xn_kernelILj128ELj8ELj16E21rocsparse_complex_numIfEEEvi20rocsparse_direction_NS_24const_host_device_scalarIT2_EEPKiS8_PKS5_SA_S6_PS5_21rocsparse_index_base_b
		.amdhsa_group_segment_fixed_size 0
		.amdhsa_private_segment_fixed_size 0
		.amdhsa_kernarg_size 72
		.amdhsa_user_sgpr_count 2
		.amdhsa_user_sgpr_dispatch_ptr 0
		.amdhsa_user_sgpr_queue_ptr 0
		.amdhsa_user_sgpr_kernarg_segment_ptr 1
		.amdhsa_user_sgpr_dispatch_id 0
		.amdhsa_user_sgpr_kernarg_preload_length 0
		.amdhsa_user_sgpr_kernarg_preload_offset 0
		.amdhsa_user_sgpr_private_segment_size 0
		.amdhsa_uses_dynamic_stack 0
		.amdhsa_enable_private_segment 0
		.amdhsa_system_sgpr_workgroup_id_x 1
		.amdhsa_system_sgpr_workgroup_id_y 0
		.amdhsa_system_sgpr_workgroup_id_z 0
		.amdhsa_system_sgpr_workgroup_info 0
		.amdhsa_system_vgpr_workitem_id 0
		.amdhsa_next_free_vgpr 86
		.amdhsa_next_free_sgpr 16
		.amdhsa_accum_offset 88
		.amdhsa_reserve_vcc 1
		.amdhsa_float_round_mode_32 0
		.amdhsa_float_round_mode_16_64 0
		.amdhsa_float_denorm_mode_32 3
		.amdhsa_float_denorm_mode_16_64 3
		.amdhsa_dx10_clamp 1
		.amdhsa_ieee_mode 1
		.amdhsa_fp16_overflow 0
		.amdhsa_tg_split 0
		.amdhsa_exception_fp_ieee_invalid_op 0
		.amdhsa_exception_fp_denorm_src 0
		.amdhsa_exception_fp_ieee_div_zero 0
		.amdhsa_exception_fp_ieee_overflow 0
		.amdhsa_exception_fp_ieee_underflow 0
		.amdhsa_exception_fp_ieee_inexact 0
		.amdhsa_exception_int_div_zero 0
	.end_amdhsa_kernel
	.section	.text._ZN9rocsparseL19gebsrmvn_3xn_kernelILj128ELj8ELj16E21rocsparse_complex_numIfEEEvi20rocsparse_direction_NS_24const_host_device_scalarIT2_EEPKiS8_PKS5_SA_S6_PS5_21rocsparse_index_base_b,"axG",@progbits,_ZN9rocsparseL19gebsrmvn_3xn_kernelILj128ELj8ELj16E21rocsparse_complex_numIfEEEvi20rocsparse_direction_NS_24const_host_device_scalarIT2_EEPKiS8_PKS5_SA_S6_PS5_21rocsparse_index_base_b,comdat
.Lfunc_end106:
	.size	_ZN9rocsparseL19gebsrmvn_3xn_kernelILj128ELj8ELj16E21rocsparse_complex_numIfEEEvi20rocsparse_direction_NS_24const_host_device_scalarIT2_EEPKiS8_PKS5_SA_S6_PS5_21rocsparse_index_base_b, .Lfunc_end106-_ZN9rocsparseL19gebsrmvn_3xn_kernelILj128ELj8ELj16E21rocsparse_complex_numIfEEEvi20rocsparse_direction_NS_24const_host_device_scalarIT2_EEPKiS8_PKS5_SA_S6_PS5_21rocsparse_index_base_b
                                        ; -- End function
	.section	.AMDGPU.csdata,"",@progbits
; Kernel info:
; codeLenInByte = 3120
; NumSgprs: 22
; NumVgprs: 86
; NumAgprs: 0
; TotalNumVgprs: 86
; ScratchSize: 0
; MemoryBound: 0
; FloatMode: 240
; IeeeMode: 1
; LDSByteSize: 0 bytes/workgroup (compile time only)
; SGPRBlocks: 2
; VGPRBlocks: 10
; NumSGPRsForWavesPerEU: 22
; NumVGPRsForWavesPerEU: 86
; AccumOffset: 88
; Occupancy: 5
; WaveLimiterHint : 1
; COMPUTE_PGM_RSRC2:SCRATCH_EN: 0
; COMPUTE_PGM_RSRC2:USER_SGPR: 2
; COMPUTE_PGM_RSRC2:TRAP_HANDLER: 0
; COMPUTE_PGM_RSRC2:TGID_X_EN: 1
; COMPUTE_PGM_RSRC2:TGID_Y_EN: 0
; COMPUTE_PGM_RSRC2:TGID_Z_EN: 0
; COMPUTE_PGM_RSRC2:TIDIG_COMP_CNT: 0
; COMPUTE_PGM_RSRC3_GFX90A:ACCUM_OFFSET: 21
; COMPUTE_PGM_RSRC3_GFX90A:TG_SPLIT: 0
	.section	.text._ZN9rocsparseL19gebsrmvn_3xn_kernelILj128ELj8ELj32E21rocsparse_complex_numIfEEEvi20rocsparse_direction_NS_24const_host_device_scalarIT2_EEPKiS8_PKS5_SA_S6_PS5_21rocsparse_index_base_b,"axG",@progbits,_ZN9rocsparseL19gebsrmvn_3xn_kernelILj128ELj8ELj32E21rocsparse_complex_numIfEEEvi20rocsparse_direction_NS_24const_host_device_scalarIT2_EEPKiS8_PKS5_SA_S6_PS5_21rocsparse_index_base_b,comdat
	.globl	_ZN9rocsparseL19gebsrmvn_3xn_kernelILj128ELj8ELj32E21rocsparse_complex_numIfEEEvi20rocsparse_direction_NS_24const_host_device_scalarIT2_EEPKiS8_PKS5_SA_S6_PS5_21rocsparse_index_base_b ; -- Begin function _ZN9rocsparseL19gebsrmvn_3xn_kernelILj128ELj8ELj32E21rocsparse_complex_numIfEEEvi20rocsparse_direction_NS_24const_host_device_scalarIT2_EEPKiS8_PKS5_SA_S6_PS5_21rocsparse_index_base_b
	.p2align	8
	.type	_ZN9rocsparseL19gebsrmvn_3xn_kernelILj128ELj8ELj32E21rocsparse_complex_numIfEEEvi20rocsparse_direction_NS_24const_host_device_scalarIT2_EEPKiS8_PKS5_SA_S6_PS5_21rocsparse_index_base_b,@function
_ZN9rocsparseL19gebsrmvn_3xn_kernelILj128ELj8ELj32E21rocsparse_complex_numIfEEEvi20rocsparse_direction_NS_24const_host_device_scalarIT2_EEPKiS8_PKS5_SA_S6_PS5_21rocsparse_index_base_b: ; @_ZN9rocsparseL19gebsrmvn_3xn_kernelILj128ELj8ELj32E21rocsparse_complex_numIfEEEvi20rocsparse_direction_NS_24const_host_device_scalarIT2_EEPKiS8_PKS5_SA_S6_PS5_21rocsparse_index_base_b
; %bb.0:
	s_load_dwordx2 s[12:13], s[0:1], 0x40
	s_load_dwordx2 s[8:9], s[0:1], 0x8
	;; [unrolled: 1-line block ×3, first 2 shown]
	s_waitcnt lgkmcnt(0)
	s_bitcmp1_b32 s13, 0
	s_cselect_b64 s[4:5], -1, 0
	s_xor_b64 s[10:11], s[4:5], -1
	s_and_b64 vcc, exec, s[4:5]
	v_mov_b32_e32 v2, s8
	s_cbranch_vccnz .LBB107_2
; %bb.1:
	v_mov_b64_e32 v[2:3], s[8:9]
	flat_load_dword v2, v[2:3]
.LBB107_2:
	v_cndmask_b32_e64 v1, 0, 1, s[10:11]
	v_cmp_ne_u32_e64 s[4:5], 1, v1
	s_andn2_b64 vcc, exec, s[10:11]
	v_mov_b32_e32 v3, s9
	s_cbranch_vccz .LBB107_16
; %bb.3:
	s_and_b64 vcc, exec, s[4:5]
	v_mov_b32_e32 v4, s6
	s_cbranch_vccz .LBB107_17
.LBB107_4:
	s_and_b64 vcc, exec, s[4:5]
	v_mov_b32_e32 v5, s7
	s_cbranch_vccnz .LBB107_6
.LBB107_5:
	v_mov_b64_e32 v[6:7], s[6:7]
	flat_load_dword v5, v[6:7] offset:4
.LBB107_6:
	s_waitcnt vmcnt(0) lgkmcnt(0)
	v_and_b32_e32 v1, 0x7fffffff, v2
	v_cmp_eq_u32_e32 vcc, 0, v1
	v_cmp_eq_f32_e64 s[4:5], 0, v3
	s_and_b64 s[8:9], vcc, s[4:5]
	s_mov_b64 s[4:5], -1
	s_and_saveexec_b64 s[6:7], s[8:9]
; %bb.7:
	v_and_b32_e32 v1, 0x7fffffff, v5
	v_cmp_neq_f32_e32 vcc, 1.0, v4
	v_cmp_ne_u32_e64 s[4:5], 0, v1
	s_or_b64 s[4:5], vcc, s[4:5]
	s_orn2_b64 s[4:5], s[4:5], exec
; %bb.8:
	s_or_b64 exec, exec, s[6:7]
	s_and_saveexec_b64 s[6:7], s[4:5]
	s_cbranch_execz .LBB107_29
; %bb.9:
	s_load_dwordx2 s[14:15], s[0:1], 0x0
	v_lshrrev_b32_e32 v1, 5, v0
	v_lshl_or_b32 v6, s2, 2, v1
	s_waitcnt lgkmcnt(0)
	v_cmp_gt_i32_e32 vcc, s14, v6
	s_and_b64 exec, exec, vcc
	s_cbranch_execz .LBB107_29
; %bb.10:
	s_load_dwordx8 s[4:11], s[0:1], 0x10
	v_ashrrev_i32_e32 v7, 31, v6
	s_cmp_lg_u32 s15, 0
	s_waitcnt lgkmcnt(0)
	v_lshl_add_u64 v[8:9], v[6:7], 2, s[4:5]
	global_load_dwordx2 v[8:9], v[8:9], off
	v_and_b32_e32 v7, 31, v0
	s_waitcnt vmcnt(0)
	v_subrev_u32_e32 v0, s12, v8
	v_subrev_u32_e32 v22, s12, v9
	v_add_u32_e32 v0, v0, v7
	v_cmp_lt_i32_e64 s[2:3], v0, v22
	s_cbranch_scc0 .LBB107_18
; %bb.11:
	v_mov_b32_e32 v13, 0
	v_mov_b32_e32 v12, v13
	;; [unrolled: 1-line block ×6, first 2 shown]
	s_and_saveexec_b64 s[4:5], s[2:3]
	s_cbranch_execz .LBB107_15
; %bb.12:
	v_mad_u64_u32 v[14:15], s[14:15], v0, 24, 23
	v_mov_b32_e32 v17, 0
	s_mov_b64 s[14:15], 0
	v_mov_b32_e32 v18, v0
	v_mov_b32_e32 v8, v17
	;; [unrolled: 1-line block ×7, first 2 shown]
.LBB107_13:                             ; =>This Inner Loop Header: Depth=1
	v_ashrrev_i32_e32 v19, 31, v18
	v_subrev_u32_e32 v16, 23, v14
	v_lshl_add_u64 v[40:41], v[18:19], 2, s[6:7]
	v_lshl_add_u64 v[42:43], v[16:17], 3, s[8:9]
	global_load_dword v1, v[40:41], off
	global_load_dwordx4 v[24:27], v[42:43], off
	global_load_dwordx4 v[28:31], v[42:43], off offset:16
	global_load_dwordx4 v[32:35], v[42:43], off offset:48
	;; [unrolled: 1-line block ×3, first 2 shown]
	v_add_u32_e32 v16, -15, v14
	v_mov_b32_e32 v15, v17
	v_lshl_add_u64 v[40:41], v[16:17], 3, s[8:9]
	v_add_u32_e32 v16, -14, v14
	v_lshl_add_u64 v[44:45], v[14:15], 3, s[8:9]
	v_lshl_add_u64 v[42:43], v[16:17], 3, s[8:9]
	v_add_u32_e32 v16, -13, v14
	global_load_dwordx2 v[48:49], v[44:45], off
	global_load_dwordx2 v[52:53], v[42:43], off
	;; [unrolled: 1-line block ×3, first 2 shown]
	v_lshl_add_u64 v[40:41], v[16:17], 3, s[8:9]
	v_add_u32_e32 v16, -12, v14
	v_lshl_add_u64 v[42:43], v[16:17], 3, s[8:9]
	v_add_u32_e32 v16, -11, v14
	global_load_dwordx2 v[54:55], v[40:41], off
	global_load_dwordx2 v[56:57], v[42:43], off
	v_lshl_add_u64 v[40:41], v[16:17], 3, s[8:9]
	v_add_u32_e32 v16, -10, v14
	v_lshl_add_u64 v[42:43], v[16:17], 3, s[8:9]
	v_add_u32_e32 v16, -9, v14
	global_load_dwordx2 v[58:59], v[40:41], off
	global_load_dwordx2 v[60:61], v[42:43], off
	;; [unrolled: 6-line block ×4, first 2 shown]
	v_lshl_add_u64 v[40:41], v[16:17], 3, s[8:9]
	v_add_u32_e32 v16, -4, v14
	v_lshl_add_u64 v[42:43], v[16:17], 3, s[8:9]
	v_add_u32_e32 v16, -3, v14
	v_mov_b32_e32 v21, v17
	global_load_dwordx2 v[70:71], v[40:41], off
	global_load_dwordx2 v[72:73], v[42:43], off
	v_lshl_add_u64 v[40:41], v[16:17], 3, s[8:9]
	v_add_u32_e32 v16, -2, v14
	v_lshl_add_u64 v[42:43], v[16:17], 3, s[8:9]
	global_load_dwordx2 v[74:75], v[40:41], off
	global_load_dwordx2 v[78:79], v[42:43], off
	v_add_u32_e32 v16, -1, v14
	v_lshl_add_u64 v[76:77], v[16:17], 3, s[8:9]
	v_add_u32_e32 v18, 32, v18
	v_cmp_ge_i32_e32 vcc, v18, v22
	s_or_b64 s[14:15], vcc, s[14:15]
	v_add_u32_e32 v14, 0x300, v14
	s_waitcnt vmcnt(19)
	v_subrev_u32_e32 v1, s12, v1
	v_lshlrev_b32_e32 v20, 3, v1
	v_lshl_add_u64 v[20:21], v[20:21], 3, s[10:11]
	global_load_dwordx4 v[40:43], v[20:21], off
	global_load_dwordx4 v[44:47], v[20:21], off offset:16
	s_waitcnt vmcnt(20)
	v_xor_b32_e32 v80, 0x80000000, v27
	v_mov_b32_e32 v81, v26
	s_waitcnt vmcnt(19)
	v_xor_b32_e32 v82, 0x80000000, v31
	v_mov_b32_e32 v83, v30
	s_waitcnt vmcnt(1)
	v_pk_fma_f32 v[12:13], v[24:25], v[40:41], v[12:13] op_sel_hi:[1,0,1]
	v_pk_fma_f32 v[84:85], v[26:27], v[40:41], v[10:11] op_sel_hi:[1,0,1]
	v_pk_fma_f32 v[24:25], v[24:25], v[40:41], v[12:13] op_sel:[1,1,0] op_sel_hi:[0,1,1] neg_lo:[1,0,0]
	global_load_dwordx4 v[10:13], v[20:21], off offset:32
	v_pk_fma_f32 v[8:9], v[28:29], v[40:41], v[8:9] op_sel_hi:[1,0,1]
	v_mov_b32_e32 v16, v43
	v_pk_fma_f32 v[8:9], v[28:29], v[40:41], v[8:9] op_sel:[1,1,0] op_sel_hi:[0,1,1] neg_lo:[1,0,0]
	v_pk_fma_f32 v[28:29], v[30:31], v[42:43], v[24:25] op_sel_hi:[1,0,1]
	global_load_dwordx4 v[24:27], v[20:21], off offset:48
	global_load_dwordx2 v[30:31], v[76:77], off
	v_pk_fma_f32 v[40:41], v[80:81], v[40:41], v[84:85] op_sel:[0,1,0]
	v_xor_b32_e32 v20, 0x80000000, v39
	v_mov_b32_e32 v21, v38
	v_pk_fma_f32 v[40:41], v[36:37], v[42:43], v[40:41] op_sel_hi:[1,0,1]
	v_pk_fma_f32 v[8:9], v[38:39], v[42:43], v[8:9] op_sel_hi:[1,0,1]
	v_pk_fma_f32 v[36:37], v[36:37], v[16:17], v[40:41] op_sel:[1,0,0] op_sel_hi:[0,0,1] neg_lo:[1,0,0]
	v_pk_fma_f32 v[28:29], v[82:83], v[16:17], v[28:29] op_sel_hi:[1,0,1]
	v_pk_fma_f32 v[8:9], v[20:21], v[16:17], v[8:9] op_sel_hi:[1,0,1]
	v_xor_b32_e32 v76, 0x80000000, v35
	v_mov_b32_e32 v77, v34
	s_waitcnt vmcnt(3)
	v_pk_fma_f32 v[20:21], v[32:33], v[44:45], v[28:29] op_sel_hi:[1,0,1]
	v_pk_fma_f32 v[28:29], v[34:35], v[44:45], v[36:37] op_sel_hi:[1,0,1]
	;; [unrolled: 1-line block ×3, first 2 shown]
	v_pk_fma_f32 v[20:21], v[32:33], v[44:45], v[20:21] op_sel:[1,1,0] op_sel_hi:[0,1,1] neg_lo:[1,0,0]
	v_pk_fma_f32 v[28:29], v[76:77], v[44:45], v[28:29] op_sel:[0,1,0]
	v_pk_fma_f32 v[8:9], v[50:51], v[44:45], v[8:9] op_sel:[1,1,0] op_sel_hi:[0,1,1] neg_lo:[1,0,0]
	v_mov_b32_e32 v38, v47
	v_pk_fma_f32 v[20:21], v[52:53], v[46:47], v[20:21] op_sel_hi:[1,0,1]
	v_pk_fma_f32 v[28:29], v[54:55], v[46:47], v[28:29] op_sel_hi:[1,0,1]
	;; [unrolled: 1-line block ×3, first 2 shown]
	v_pk_fma_f32 v[20:21], v[52:53], v[38:39], v[20:21] op_sel:[1,0,0] op_sel_hi:[0,0,1] neg_lo:[1,0,0]
	v_pk_fma_f32 v[28:29], v[54:55], v[38:39], v[28:29] op_sel:[1,0,0] op_sel_hi:[0,0,1] neg_lo:[1,0,0]
	v_pk_fma_f32 v[8:9], v[56:57], v[38:39], v[8:9] op_sel:[1,0,0] op_sel_hi:[0,0,1] neg_lo:[1,0,0]
	s_waitcnt vmcnt(2)
	v_pk_fma_f32 v[20:21], v[58:59], v[10:11], v[20:21] op_sel_hi:[1,0,1]
	v_pk_fma_f32 v[28:29], v[60:61], v[10:11], v[28:29] op_sel_hi:[1,0,1]
	;; [unrolled: 1-line block ×3, first 2 shown]
	v_pk_fma_f32 v[20:21], v[58:59], v[10:11], v[20:21] op_sel:[1,1,0] op_sel_hi:[0,1,1] neg_lo:[1,0,0]
	v_pk_fma_f32 v[28:29], v[60:61], v[10:11], v[28:29] op_sel:[1,1,0] op_sel_hi:[0,1,1] neg_lo:[1,0,0]
	;; [unrolled: 1-line block ×3, first 2 shown]
	v_mov_b32_e32 v40, v13
	v_pk_fma_f32 v[10:11], v[64:65], v[12:13], v[20:21] op_sel_hi:[1,0,1]
	v_pk_fma_f32 v[20:21], v[66:67], v[12:13], v[28:29] op_sel_hi:[1,0,1]
	;; [unrolled: 1-line block ×3, first 2 shown]
	v_pk_fma_f32 v[10:11], v[64:65], v[40:41], v[10:11] op_sel:[1,0,0] op_sel_hi:[0,0,1] neg_lo:[1,0,0]
	v_pk_fma_f32 v[12:13], v[66:67], v[40:41], v[20:21] op_sel:[1,0,0] op_sel_hi:[0,0,1] neg_lo:[1,0,0]
	;; [unrolled: 1-line block ×3, first 2 shown]
	s_waitcnt vmcnt(1)
	v_pk_fma_f32 v[10:11], v[70:71], v[24:25], v[10:11] op_sel_hi:[1,0,1]
	v_pk_fma_f32 v[12:13], v[72:73], v[24:25], v[12:13] op_sel_hi:[1,0,1]
	;; [unrolled: 1-line block ×3, first 2 shown]
	v_pk_fma_f32 v[10:11], v[70:71], v[24:25], v[10:11] op_sel:[1,1,0] op_sel_hi:[0,1,1] neg_lo:[1,0,0]
	v_pk_fma_f32 v[12:13], v[72:73], v[24:25], v[12:13] op_sel:[1,1,0] op_sel_hi:[0,1,1] neg_lo:[1,0,0]
	;; [unrolled: 1-line block ×3, first 2 shown]
	v_mov_b32_e32 v42, v27
	v_pk_fma_f32 v[10:11], v[78:79], v[26:27], v[10:11] op_sel_hi:[1,0,1]
	s_waitcnt vmcnt(0)
	v_pk_fma_f32 v[20:21], v[30:31], v[26:27], v[12:13] op_sel_hi:[1,0,1]
	v_pk_fma_f32 v[8:9], v[48:49], v[26:27], v[8:9] op_sel_hi:[1,0,1]
	v_pk_fma_f32 v[12:13], v[78:79], v[42:43], v[10:11] op_sel:[1,0,0] op_sel_hi:[0,0,1] neg_lo:[1,0,0]
	v_pk_fma_f32 v[10:11], v[30:31], v[42:43], v[20:21] op_sel:[1,0,0] op_sel_hi:[0,0,1] neg_lo:[1,0,0]
	;; [unrolled: 1-line block ×3, first 2 shown]
	s_andn2_b64 exec, exec, s[14:15]
	s_cbranch_execnz .LBB107_13
; %bb.14:
	s_or_b64 exec, exec, s[14:15]
.LBB107_15:
	s_or_b64 exec, exec, s[4:5]
	s_cbranch_execz .LBB107_19
	s_branch .LBB107_24
.LBB107_16:
	v_mov_b64_e32 v[4:5], s[8:9]
	flat_load_dword v3, v[4:5] offset:4
	s_and_b64 vcc, exec, s[4:5]
	v_mov_b32_e32 v4, s6
	s_cbranch_vccnz .LBB107_4
.LBB107_17:
	v_mov_b64_e32 v[4:5], s[6:7]
	flat_load_dword v4, v[4:5]
	s_and_b64 vcc, exec, s[4:5]
	v_mov_b32_e32 v5, s7
	s_cbranch_vccz .LBB107_5
	s_branch .LBB107_6
.LBB107_18:
                                        ; implicit-def: $vgpr13
                                        ; implicit-def: $vgpr9
                                        ; implicit-def: $vgpr11
.LBB107_19:
	v_mov_b32_e32 v13, 0
	v_mov_b32_e32 v12, v13
	;; [unrolled: 1-line block ×6, first 2 shown]
	s_and_saveexec_b64 s[4:5], s[2:3]
	s_cbranch_execz .LBB107_23
; %bb.20:
	v_mad_u64_u32 v[14:15], s[2:3], v0, 24, 23
	v_mov_b32_e32 v17, 0
	s_mov_b64 s[2:3], 0
	v_mov_b32_e32 v8, v17
	v_mov_b32_e32 v9, v17
	;; [unrolled: 1-line block ×6, first 2 shown]
.LBB107_21:                             ; =>This Inner Loop Header: Depth=1
	v_ashrrev_i32_e32 v1, 31, v0
	v_subrev_u32_e32 v16, 23, v14
	v_add_u32_e32 v24, -7, v14
	v_mov_b32_e32 v25, v17
	v_lshl_add_u64 v[32:33], v[0:1], 2, s[6:7]
	v_lshl_add_u64 v[40:41], v[16:17], 3, s[8:9]
	;; [unrolled: 1-line block ×3, first 2 shown]
	global_load_dword v1, v[32:33], off
	global_load_dwordx4 v[24:27], v[40:41], off
	global_load_dwordx4 v[28:31], v[40:41], off offset:16
	v_add_u32_e32 v20, -15, v14
	v_mov_b32_e32 v21, v17
	v_add_u32_e32 v16, -14, v14
	v_mov_b32_e32 v15, v17
	v_lshl_add_u64 v[20:21], v[20:21], 3, s[8:9]
	v_lshl_add_u64 v[46:47], v[16:17], 3, s[8:9]
	v_add_u32_e32 v16, -6, v14
	v_lshl_add_u64 v[44:45], v[14:15], 3, s[8:9]
	global_load_dwordx4 v[32:35], v[40:41], off offset:48
	global_load_dwordx4 v[36:39], v[40:41], off offset:32
	global_load_dwordx2 v[48:49], v[20:21], off
	global_load_dwordx2 v[50:51], v[44:45], off
	v_lshl_add_u64 v[20:21], v[16:17], 3, s[8:9]
	v_add_u32_e32 v16, -13, v14
	v_lshl_add_u64 v[40:41], v[16:17], 3, s[8:9]
	v_add_u32_e32 v16, -5, v14
	global_load_dwordx2 v[44:45], v[46:47], off
	s_nop 0
	global_load_dwordx2 v[46:47], v[20:21], off
	global_load_dwordx2 v[52:53], v[42:43], off
	v_lshl_add_u64 v[20:21], v[16:17], 3, s[8:9]
	v_add_u32_e32 v16, -12, v14
	global_load_dwordx2 v[54:55], v[40:41], off
	global_load_dwordx2 v[56:57], v[20:21], off
	v_lshl_add_u64 v[40:41], v[16:17], 3, s[8:9]
	v_add_u32_e32 v16, -4, v14
	v_lshl_add_u64 v[20:21], v[16:17], 3, s[8:9]
	v_add_u32_e32 v16, -11, v14
	global_load_dwordx2 v[58:59], v[40:41], off
	global_load_dwordx2 v[60:61], v[20:21], off
	v_lshl_add_u64 v[40:41], v[16:17], 3, s[8:9]
	v_add_u32_e32 v16, -3, v14
	v_mov_b32_e32 v19, v17
	v_lshl_add_u64 v[62:63], v[16:17], 3, s[8:9]
	v_add_u32_e32 v16, -10, v14
	v_lshl_add_u64 v[20:21], v[16:17], 3, s[8:9]
	global_load_dwordx2 v[64:65], v[40:41], off
	global_load_dwordx2 v[68:69], v[20:21], off
	v_add_u32_e32 v16, -2, v14
	v_lshl_add_u64 v[66:67], v[16:17], 3, s[8:9]
	v_add_u32_e32 v16, -9, v14
	v_add_u32_e32 v0, 32, v0
	v_cmp_ge_i32_e32 vcc, v0, v22
	s_or_b64 s[2:3], vcc, s[2:3]
	s_waitcnt vmcnt(15)
	v_subrev_u32_e32 v1, s12, v1
	v_lshlrev_b32_e32 v18, 3, v1
	v_lshl_add_u64 v[72:73], v[18:19], 3, s[10:11]
	global_load_dwordx4 v[18:21], v[72:73], off
	global_load_dwordx4 v[40:43], v[72:73], off offset:16
	s_waitcnt vmcnt(16)
	v_xor_b32_e32 v70, 0x80000000, v27
	v_mov_b32_e32 v71, v26
	s_waitcnt vmcnt(1)
	v_pk_fma_f32 v[12:13], v[24:25], v[18:19], v[12:13] op_sel_hi:[1,0,1]
	v_pk_fma_f32 v[10:11], v[48:49], v[18:19], v[10:11] op_sel_hi:[1,0,1]
	;; [unrolled: 1-line block ×3, first 2 shown]
	v_pk_fma_f32 v[12:13], v[24:25], v[18:19], v[12:13] op_sel:[1,1,0] op_sel_hi:[0,1,1] neg_lo:[1,0,0]
	v_pk_fma_f32 v[10:11], v[48:49], v[18:19], v[10:11] op_sel:[1,1,0] op_sel_hi:[0,1,1] neg_lo:[1,0,0]
	;; [unrolled: 1-line block ×3, first 2 shown]
	v_pk_fma_f32 v[12:13], v[26:27], v[20:21], v[12:13] op_sel_hi:[1,0,1]
	global_load_dwordx2 v[26:27], v[66:67], off
	global_load_dwordx2 v[74:75], v[62:63], off
	v_pk_fma_f32 v[52:53], v[44:45], v[20:21], v[10:11] op_sel_hi:[1,0,1]
	v_pk_fma_f32 v[66:67], v[46:47], v[20:21], v[8:9] op_sel_hi:[1,0,1]
	global_load_dwordx4 v[8:11], v[72:73], off offset:32
	v_lshl_add_u64 v[24:25], v[16:17], 3, s[8:9]
	v_add_u32_e32 v16, -1, v14
	v_lshl_add_u64 v[62:63], v[16:17], 3, s[8:9]
	v_add_u32_e32 v16, -8, v14
	global_load_dwordx2 v[24:25], v[24:25], off
	v_lshl_add_u64 v[48:49], v[16:17], 3, s[8:9]
	global_load_dwordx2 v[62:63], v[62:63], off
	v_mov_b32_e32 v16, v21
	v_pk_fma_f32 v[12:13], v[70:71], v[16:17], v[12:13] op_sel_hi:[1,0,1]
	global_load_dwordx4 v[18:21], v[72:73], off offset:48
	global_load_dwordx2 v[70:71], v[48:49], off
	s_waitcnt vmcnt(7)
	v_pk_fma_f32 v[12:13], v[28:29], v[40:41], v[12:13] op_sel_hi:[1,0,1]
	v_pk_fma_f32 v[44:45], v[44:45], v[16:17], v[52:53] op_sel:[1,0,0] op_sel_hi:[0,0,1] neg_lo:[1,0,0]
	v_pk_fma_f32 v[46:47], v[46:47], v[16:17], v[66:67] op_sel:[1,0,0] op_sel_hi:[0,0,1] neg_lo:[1,0,0]
	;; [unrolled: 1-line block ×3, first 2 shown]
	v_xor_b32_e32 v48, 0x80000000, v31
	v_mov_b32_e32 v49, v30
	v_pk_fma_f32 v[12:13], v[30:31], v[42:43], v[12:13] op_sel_hi:[1,0,1]
	v_pk_fma_f32 v[30:31], v[54:55], v[40:41], v[44:45] op_sel_hi:[1,0,1]
	v_pk_fma_f32 v[46:47], v[56:57], v[40:41], v[46:47] op_sel_hi:[1,0,1]
	v_pk_fma_f32 v[30:31], v[54:55], v[40:41], v[30:31] op_sel:[1,1,0] op_sel_hi:[0,1,1] neg_lo:[1,0,0]
	v_pk_fma_f32 v[40:41], v[56:57], v[40:41], v[46:47] op_sel:[1,1,0] op_sel_hi:[0,1,1] neg_lo:[1,0,0]
	v_mov_b32_e32 v16, v43
	v_pk_fma_f32 v[30:31], v[58:59], v[42:43], v[30:31] op_sel_hi:[1,0,1]
	v_pk_fma_f32 v[40:41], v[60:61], v[42:43], v[40:41] op_sel_hi:[1,0,1]
	;; [unrolled: 1-line block ×3, first 2 shown]
	v_pk_fma_f32 v[30:31], v[58:59], v[16:17], v[30:31] op_sel:[1,0,0] op_sel_hi:[0,0,1] neg_lo:[1,0,0]
	v_pk_fma_f32 v[40:41], v[60:61], v[16:17], v[40:41] op_sel:[1,0,0] op_sel_hi:[0,0,1] neg_lo:[1,0,0]
	v_xor_b32_e32 v52, 0x80000000, v39
	v_mov_b32_e32 v53, v38
	v_xor_b32_e32 v66, 0x80000000, v35
	v_mov_b32_e32 v67, v34
	v_add_u32_e32 v14, 0x300, v14
	s_waitcnt vmcnt(4)
	v_pk_fma_f32 v[12:13], v[36:37], v[8:9], v[12:13] op_sel_hi:[1,0,1]
	v_pk_fma_f32 v[30:31], v[64:65], v[8:9], v[30:31] op_sel_hi:[1,0,1]
	;; [unrolled: 1-line block ×3, first 2 shown]
	v_pk_fma_f32 v[12:13], v[36:37], v[8:9], v[12:13] op_sel:[1,1,0] op_sel_hi:[0,1,1] neg_lo:[1,0,0]
	v_pk_fma_f32 v[30:31], v[64:65], v[8:9], v[30:31] op_sel:[1,1,0] op_sel_hi:[0,1,1] neg_lo:[1,0,0]
	;; [unrolled: 1-line block ×3, first 2 shown]
	v_mov_b32_e32 v28, v11
	v_pk_fma_f32 v[12:13], v[38:39], v[10:11], v[12:13] op_sel_hi:[1,0,1]
	v_pk_fma_f32 v[30:31], v[68:69], v[10:11], v[30:31] op_sel_hi:[1,0,1]
	;; [unrolled: 1-line block ×4, first 2 shown]
	v_pk_fma_f32 v[12:13], v[68:69], v[28:29], v[30:31] op_sel:[1,0,0] op_sel_hi:[0,0,1] neg_lo:[1,0,0]
	v_pk_fma_f32 v[8:9], v[26:27], v[28:29], v[8:9] op_sel:[1,0,0] op_sel_hi:[0,0,1] neg_lo:[1,0,0]
	s_waitcnt vmcnt(1)
	v_pk_fma_f32 v[10:11], v[32:33], v[18:19], v[10:11] op_sel_hi:[1,0,1]
	v_pk_fma_f32 v[12:13], v[24:25], v[18:19], v[12:13] op_sel_hi:[1,0,1]
	;; [unrolled: 1-line block ×3, first 2 shown]
	v_pk_fma_f32 v[10:11], v[32:33], v[18:19], v[10:11] op_sel:[1,1,0] op_sel_hi:[0,1,1] neg_lo:[1,0,0]
	v_pk_fma_f32 v[12:13], v[24:25], v[18:19], v[12:13] op_sel:[1,1,0] op_sel_hi:[0,1,1] neg_lo:[1,0,0]
	;; [unrolled: 1-line block ×3, first 2 shown]
	v_mov_b32_e32 v44, v21
	v_pk_fma_f32 v[10:11], v[34:35], v[20:21], v[10:11] op_sel_hi:[1,0,1]
	s_waitcnt vmcnt(0)
	v_pk_fma_f32 v[18:19], v[70:71], v[20:21], v[12:13] op_sel_hi:[1,0,1]
	v_pk_fma_f32 v[8:9], v[50:51], v[20:21], v[8:9] op_sel_hi:[1,0,1]
	;; [unrolled: 1-line block ×3, first 2 shown]
	v_pk_fma_f32 v[10:11], v[70:71], v[44:45], v[18:19] op_sel:[1,0,0] op_sel_hi:[0,0,1] neg_lo:[1,0,0]
	v_pk_fma_f32 v[8:9], v[50:51], v[44:45], v[8:9] op_sel:[1,0,0] op_sel_hi:[0,0,1] neg_lo:[1,0,0]
	s_andn2_b64 exec, exec, s[2:3]
	s_cbranch_execnz .LBB107_21
; %bb.22:
	s_or_b64 exec, exec, s[2:3]
.LBB107_23:
	s_or_b64 exec, exec, s[4:5]
.LBB107_24:
	v_mov_b32_dpp v0, v12 row_shr:1 row_mask:0xf bank_mask:0xf
	v_add_f32_e32 v0, v12, v0
	v_mov_b32_dpp v12, v13 row_shr:1 row_mask:0xf bank_mask:0xf
	v_add_f32_e32 v12, v13, v12
	;; [unrolled: 2-line block ×9, first 2 shown]
	v_mov_b32_dpp v1, v0 row_bcast:15 row_mask:0xa bank_mask:0xf
	v_mov_b32_dpp v14, v13 row_bcast:15 row_mask:0xa bank_mask:0xf
	v_mov_b32_dpp v12, v10 row_shr:2 row_mask:0xf bank_mask:0xf
	v_add_f32_e32 v10, v10, v12
	v_cmp_eq_u32_e32 vcc, 31, v7
	s_nop 0
	v_mov_b32_dpp v12, v10 row_shr:4 row_mask:0xf bank_mask:0xe
	v_add_f32_e32 v10, v10, v12
	s_nop 1
	v_mov_b32_dpp v12, v10 row_shr:8 row_mask:0xf bank_mask:0xc
	v_add_f32_e32 v10, v10, v12
	s_nop 0
	v_mov_b32_dpp v12, v11 row_shr:1 row_mask:0xf bank_mask:0xf
	v_add_f32_e32 v11, v11, v12
	v_mov_b32_dpp v15, v10 row_bcast:15 row_mask:0xa bank_mask:0xf
	s_nop 0
	v_mov_b32_dpp v12, v11 row_shr:2 row_mask:0xf bank_mask:0xf
	v_add_f32_e32 v11, v11, v12
	s_nop 1
	v_mov_b32_dpp v12, v11 row_shr:4 row_mask:0xf bank_mask:0xe
	v_add_f32_e32 v11, v11, v12
	s_nop 1
	v_mov_b32_dpp v12, v11 row_shr:8 row_mask:0xf bank_mask:0xc
	v_add_f32_e32 v11, v11, v12
	s_nop 0
	v_mov_b32_dpp v12, v8 row_shr:1 row_mask:0xf bank_mask:0xf
	v_add_f32_e32 v8, v8, v12
	v_mov_b32_dpp v17, v11 row_bcast:15 row_mask:0xa bank_mask:0xf
	s_nop 0
	v_mov_b32_dpp v12, v8 row_shr:2 row_mask:0xf bank_mask:0xf
	v_add_f32_e32 v8, v8, v12
	s_nop 1
	v_mov_b32_dpp v12, v8 row_shr:4 row_mask:0xf bank_mask:0xe
	v_add_f32_e32 v8, v8, v12
	s_nop 1
	v_mov_b32_dpp v12, v8 row_shr:8 row_mask:0xf bank_mask:0xc
	v_add_f32_e32 v8, v8, v12
	s_nop 0
	v_mov_b32_dpp v12, v9 row_shr:1 row_mask:0xf bank_mask:0xf
	v_add_f32_e32 v9, v9, v12
	v_mov_b32_dpp v18, v8 row_bcast:15 row_mask:0xa bank_mask:0xf
	s_nop 0
	v_mov_b32_dpp v12, v9 row_shr:2 row_mask:0xf bank_mask:0xf
	v_add_f32_e32 v9, v9, v12
	s_nop 1
	v_mov_b32_dpp v12, v9 row_shr:4 row_mask:0xf bank_mask:0xe
	v_add_f32_e32 v9, v9, v12
	s_nop 1
	v_mov_b32_dpp v12, v9 row_shr:8 row_mask:0xf bank_mask:0xc
	v_add_f32_e32 v9, v9, v12
	s_nop 1
	v_mov_b32_dpp v19, v9 row_bcast:15 row_mask:0xa bank_mask:0xf
	s_and_b64 exec, exec, vcc
	s_cbranch_execz .LBB107_29
; %bb.25:
	s_load_dwordx2 s[2:3], s[0:1], 0x38
	v_add_f32_e32 v12, v0, v1
	v_and_b32_e32 v1, 0x7fffffff, v4
	v_cmp_eq_u32_e32 vcc, 0, v1
	v_cmp_eq_f32_e64 s[0:1], 0, v5
	v_add_f32_e32 v16, v13, v14
	v_add_f32_e32 v10, v10, v15
	;; [unrolled: 1-line block ×5, first 2 shown]
	s_and_b64 s[0:1], vcc, s[0:1]
	s_and_saveexec_b64 s[4:5], s[0:1]
	s_xor_b64 s[0:1], exec, s[4:5]
	s_cbranch_execz .LBB107_27
; %bb.26:
	v_lshl_add_u32 v4, v6, 1, v6
	v_xor_b32_e32 v18, 0x80000000, v3
	v_ashrrev_i32_e32 v5, 31, v4
	v_mov_b32_e32 v19, v2
	s_waitcnt lgkmcnt(0)
	v_lshl_add_u64 v[20:21], v[4:5], 3, s[2:3]
	v_pk_mul_f32 v[4:5], v[16:17], v[18:19] op_sel_hi:[0,1]
	v_pk_mul_f32 v[6:7], v[14:15], v[18:19] op_sel_hi:[0,1]
	v_pk_fma_f32 v[4:5], v[2:3], v[12:13], v[4:5] op_sel_hi:[1,0,1]
	v_pk_fma_f32 v[6:7], v[2:3], v[10:11], v[6:7] op_sel_hi:[1,0,1]
	global_store_dwordx4 v[20:21], v[4:7], off
                                        ; implicit-def: $vgpr6
                                        ; implicit-def: $vgpr12
                                        ; implicit-def: $vgpr16
                                        ; implicit-def: $vgpr10
                                        ; implicit-def: $vgpr14
	s_nop 1
	v_pk_mul_f32 v[4:5], v[8:9], v[18:19] op_sel_hi:[0,1]
	v_pk_fma_f32 v[0:1], v[2:3], v[0:1], v[4:5] op_sel_hi:[1,0,1]
	global_store_dwordx2 v[20:21], v[0:1], off offset:16
                                        ; implicit-def: $vgpr3
                                        ; implicit-def: $vgpr4
                                        ; implicit-def: $vgpr0
                                        ; implicit-def: $vgpr8
.LBB107_27:
	s_andn2_saveexec_b64 s[0:1], s[0:1]
	s_cbranch_execz .LBB107_29
; %bb.28:
	v_lshl_add_u32 v6, v6, 1, v6
	v_ashrrev_i32_e32 v7, 31, v6
	s_waitcnt lgkmcnt(0)
	v_lshl_add_u64 v[6:7], v[6:7], 3, s[2:3]
	global_load_dwordx4 v[18:21], v[6:7], off
	global_load_dwordx2 v[22:23], v[6:7], off offset:16
	v_xor_b32_e32 v24, 0x80000000, v3
	v_mov_b32_e32 v25, v2
	v_pk_mul_f32 v[16:17], v[16:17], v[24:25] op_sel_hi:[0,1]
	v_pk_mul_f32 v[14:15], v[14:15], v[24:25] op_sel_hi:[0,1]
	;; [unrolled: 1-line block ×3, first 2 shown]
	v_pk_fma_f32 v[12:13], v[2:3], v[12:13], v[16:17] op_sel_hi:[1,0,1]
	v_pk_fma_f32 v[10:11], v[2:3], v[10:11], v[14:15] op_sel_hi:[1,0,1]
	v_xor_b32_e32 v26, 0x80000000, v5
	v_mov_b32_e32 v27, v4
	v_pk_fma_f32 v[0:1], v[2:3], v[0:1], v[8:9] op_sel_hi:[1,0,1]
	s_waitcnt vmcnt(1)
	v_pk_fma_f32 v[2:3], v[4:5], v[18:19], v[12:13] op_sel_hi:[1,0,1]
	v_pk_fma_f32 v[8:9], v[4:5], v[20:21], v[10:11] op_sel_hi:[1,0,1]
	v_mov_b32_e32 v10, v21
	s_waitcnt vmcnt(0)
	v_pk_fma_f32 v[4:5], v[4:5], v[22:23], v[0:1] op_sel_hi:[1,0,1]
	v_pk_fma_f32 v[0:1], v[26:27], v[18:19], v[2:3] op_sel:[0,1,0]
	v_pk_fma_f32 v[2:3], v[26:27], v[10:11], v[8:9] op_sel_hi:[1,0,1]
	v_pk_fma_f32 v[4:5], v[26:27], v[22:23], v[4:5] op_sel:[0,1,0]
	global_store_dwordx4 v[6:7], v[0:3], off
	global_store_dwordx2 v[6:7], v[4:5], off offset:16
.LBB107_29:
	s_endpgm
	.section	.rodata,"a",@progbits
	.p2align	6, 0x0
	.amdhsa_kernel _ZN9rocsparseL19gebsrmvn_3xn_kernelILj128ELj8ELj32E21rocsparse_complex_numIfEEEvi20rocsparse_direction_NS_24const_host_device_scalarIT2_EEPKiS8_PKS5_SA_S6_PS5_21rocsparse_index_base_b
		.amdhsa_group_segment_fixed_size 0
		.amdhsa_private_segment_fixed_size 0
		.amdhsa_kernarg_size 72
		.amdhsa_user_sgpr_count 2
		.amdhsa_user_sgpr_dispatch_ptr 0
		.amdhsa_user_sgpr_queue_ptr 0
		.amdhsa_user_sgpr_kernarg_segment_ptr 1
		.amdhsa_user_sgpr_dispatch_id 0
		.amdhsa_user_sgpr_kernarg_preload_length 0
		.amdhsa_user_sgpr_kernarg_preload_offset 0
		.amdhsa_user_sgpr_private_segment_size 0
		.amdhsa_uses_dynamic_stack 0
		.amdhsa_enable_private_segment 0
		.amdhsa_system_sgpr_workgroup_id_x 1
		.amdhsa_system_sgpr_workgroup_id_y 0
		.amdhsa_system_sgpr_workgroup_id_z 0
		.amdhsa_system_sgpr_workgroup_info 0
		.amdhsa_system_vgpr_workitem_id 0
		.amdhsa_next_free_vgpr 86
		.amdhsa_next_free_sgpr 16
		.amdhsa_accum_offset 88
		.amdhsa_reserve_vcc 1
		.amdhsa_float_round_mode_32 0
		.amdhsa_float_round_mode_16_64 0
		.amdhsa_float_denorm_mode_32 3
		.amdhsa_float_denorm_mode_16_64 3
		.amdhsa_dx10_clamp 1
		.amdhsa_ieee_mode 1
		.amdhsa_fp16_overflow 0
		.amdhsa_tg_split 0
		.amdhsa_exception_fp_ieee_invalid_op 0
		.amdhsa_exception_fp_denorm_src 0
		.amdhsa_exception_fp_ieee_div_zero 0
		.amdhsa_exception_fp_ieee_overflow 0
		.amdhsa_exception_fp_ieee_underflow 0
		.amdhsa_exception_fp_ieee_inexact 0
		.amdhsa_exception_int_div_zero 0
	.end_amdhsa_kernel
	.section	.text._ZN9rocsparseL19gebsrmvn_3xn_kernelILj128ELj8ELj32E21rocsparse_complex_numIfEEEvi20rocsparse_direction_NS_24const_host_device_scalarIT2_EEPKiS8_PKS5_SA_S6_PS5_21rocsparse_index_base_b,"axG",@progbits,_ZN9rocsparseL19gebsrmvn_3xn_kernelILj128ELj8ELj32E21rocsparse_complex_numIfEEEvi20rocsparse_direction_NS_24const_host_device_scalarIT2_EEPKiS8_PKS5_SA_S6_PS5_21rocsparse_index_base_b,comdat
.Lfunc_end107:
	.size	_ZN9rocsparseL19gebsrmvn_3xn_kernelILj128ELj8ELj32E21rocsparse_complex_numIfEEEvi20rocsparse_direction_NS_24const_host_device_scalarIT2_EEPKiS8_PKS5_SA_S6_PS5_21rocsparse_index_base_b, .Lfunc_end107-_ZN9rocsparseL19gebsrmvn_3xn_kernelILj128ELj8ELj32E21rocsparse_complex_numIfEEEvi20rocsparse_direction_NS_24const_host_device_scalarIT2_EEPKiS8_PKS5_SA_S6_PS5_21rocsparse_index_base_b
                                        ; -- End function
	.section	.AMDGPU.csdata,"",@progbits
; Kernel info:
; codeLenInByte = 3208
; NumSgprs: 22
; NumVgprs: 86
; NumAgprs: 0
; TotalNumVgprs: 86
; ScratchSize: 0
; MemoryBound: 0
; FloatMode: 240
; IeeeMode: 1
; LDSByteSize: 0 bytes/workgroup (compile time only)
; SGPRBlocks: 2
; VGPRBlocks: 10
; NumSGPRsForWavesPerEU: 22
; NumVGPRsForWavesPerEU: 86
; AccumOffset: 88
; Occupancy: 5
; WaveLimiterHint : 1
; COMPUTE_PGM_RSRC2:SCRATCH_EN: 0
; COMPUTE_PGM_RSRC2:USER_SGPR: 2
; COMPUTE_PGM_RSRC2:TRAP_HANDLER: 0
; COMPUTE_PGM_RSRC2:TGID_X_EN: 1
; COMPUTE_PGM_RSRC2:TGID_Y_EN: 0
; COMPUTE_PGM_RSRC2:TGID_Z_EN: 0
; COMPUTE_PGM_RSRC2:TIDIG_COMP_CNT: 0
; COMPUTE_PGM_RSRC3_GFX90A:ACCUM_OFFSET: 21
; COMPUTE_PGM_RSRC3_GFX90A:TG_SPLIT: 0
	.section	.text._ZN9rocsparseL19gebsrmvn_3xn_kernelILj128ELj8ELj64E21rocsparse_complex_numIfEEEvi20rocsparse_direction_NS_24const_host_device_scalarIT2_EEPKiS8_PKS5_SA_S6_PS5_21rocsparse_index_base_b,"axG",@progbits,_ZN9rocsparseL19gebsrmvn_3xn_kernelILj128ELj8ELj64E21rocsparse_complex_numIfEEEvi20rocsparse_direction_NS_24const_host_device_scalarIT2_EEPKiS8_PKS5_SA_S6_PS5_21rocsparse_index_base_b,comdat
	.globl	_ZN9rocsparseL19gebsrmvn_3xn_kernelILj128ELj8ELj64E21rocsparse_complex_numIfEEEvi20rocsparse_direction_NS_24const_host_device_scalarIT2_EEPKiS8_PKS5_SA_S6_PS5_21rocsparse_index_base_b ; -- Begin function _ZN9rocsparseL19gebsrmvn_3xn_kernelILj128ELj8ELj64E21rocsparse_complex_numIfEEEvi20rocsparse_direction_NS_24const_host_device_scalarIT2_EEPKiS8_PKS5_SA_S6_PS5_21rocsparse_index_base_b
	.p2align	8
	.type	_ZN9rocsparseL19gebsrmvn_3xn_kernelILj128ELj8ELj64E21rocsparse_complex_numIfEEEvi20rocsparse_direction_NS_24const_host_device_scalarIT2_EEPKiS8_PKS5_SA_S6_PS5_21rocsparse_index_base_b,@function
_ZN9rocsparseL19gebsrmvn_3xn_kernelILj128ELj8ELj64E21rocsparse_complex_numIfEEEvi20rocsparse_direction_NS_24const_host_device_scalarIT2_EEPKiS8_PKS5_SA_S6_PS5_21rocsparse_index_base_b: ; @_ZN9rocsparseL19gebsrmvn_3xn_kernelILj128ELj8ELj64E21rocsparse_complex_numIfEEEvi20rocsparse_direction_NS_24const_host_device_scalarIT2_EEPKiS8_PKS5_SA_S6_PS5_21rocsparse_index_base_b
; %bb.0:
	s_load_dwordx2 s[12:13], s[0:1], 0x40
	s_load_dwordx2 s[8:9], s[0:1], 0x8
	;; [unrolled: 1-line block ×3, first 2 shown]
	s_waitcnt lgkmcnt(0)
	s_bitcmp1_b32 s13, 0
	s_cselect_b64 s[4:5], -1, 0
	s_xor_b64 s[10:11], s[4:5], -1
	s_and_b64 vcc, exec, s[4:5]
	v_mov_b32_e32 v2, s8
	s_cbranch_vccnz .LBB108_2
; %bb.1:
	v_mov_b64_e32 v[2:3], s[8:9]
	flat_load_dword v2, v[2:3]
.LBB108_2:
	v_cndmask_b32_e64 v1, 0, 1, s[10:11]
	v_cmp_ne_u32_e64 s[4:5], 1, v1
	s_andn2_b64 vcc, exec, s[10:11]
	v_mov_b32_e32 v3, s9
	s_cbranch_vccz .LBB108_16
; %bb.3:
	s_and_b64 vcc, exec, s[4:5]
	v_mov_b32_e32 v4, s6
	s_cbranch_vccz .LBB108_17
.LBB108_4:
	s_and_b64 vcc, exec, s[4:5]
	v_mov_b32_e32 v5, s7
	s_cbranch_vccnz .LBB108_6
.LBB108_5:
	v_mov_b64_e32 v[6:7], s[6:7]
	flat_load_dword v5, v[6:7] offset:4
.LBB108_6:
	s_waitcnt vmcnt(0) lgkmcnt(0)
	v_and_b32_e32 v1, 0x7fffffff, v2
	v_cmp_eq_u32_e32 vcc, 0, v1
	v_cmp_eq_f32_e64 s[4:5], 0, v3
	s_and_b64 s[8:9], vcc, s[4:5]
	s_mov_b64 s[4:5], -1
	s_and_saveexec_b64 s[6:7], s[8:9]
; %bb.7:
	v_and_b32_e32 v1, 0x7fffffff, v5
	v_cmp_neq_f32_e32 vcc, 1.0, v4
	v_cmp_ne_u32_e64 s[4:5], 0, v1
	s_or_b64 s[4:5], vcc, s[4:5]
	s_orn2_b64 s[4:5], s[4:5], exec
; %bb.8:
	s_or_b64 exec, exec, s[6:7]
	s_and_saveexec_b64 s[6:7], s[4:5]
	s_cbranch_execz .LBB108_29
; %bb.9:
	s_load_dwordx2 s[14:15], s[0:1], 0x0
	v_lshrrev_b32_e32 v1, 6, v0
	v_lshl_or_b32 v6, s2, 1, v1
	s_waitcnt lgkmcnt(0)
	v_cmp_gt_i32_e32 vcc, s14, v6
	s_and_b64 exec, exec, vcc
	s_cbranch_execz .LBB108_29
; %bb.10:
	s_load_dwordx8 s[4:11], s[0:1], 0x10
	v_ashrrev_i32_e32 v7, 31, v6
	s_cmp_lg_u32 s15, 0
	s_waitcnt lgkmcnt(0)
	v_lshl_add_u64 v[8:9], v[6:7], 2, s[4:5]
	global_load_dwordx2 v[8:9], v[8:9], off
	v_and_b32_e32 v7, 63, v0
	s_waitcnt vmcnt(0)
	v_subrev_u32_e32 v0, s12, v8
	v_subrev_u32_e32 v22, s12, v9
	v_add_u32_e32 v0, v0, v7
	v_cmp_lt_i32_e64 s[2:3], v0, v22
	s_cbranch_scc0 .LBB108_18
; %bb.11:
	v_mov_b32_e32 v13, 0
	v_mov_b32_e32 v12, v13
	v_mov_b32_e32 v9, v13
	v_mov_b32_e32 v8, v13
	v_mov_b32_e32 v11, v13
	v_mov_b32_e32 v10, v13
	s_and_saveexec_b64 s[4:5], s[2:3]
	s_cbranch_execz .LBB108_15
; %bb.12:
	v_mad_u64_u32 v[14:15], s[14:15], v0, 24, 23
	v_mov_b32_e32 v17, 0
	s_mov_b64 s[14:15], 0
	v_mov_b32_e32 v18, v0
	v_mov_b32_e32 v8, v17
	;; [unrolled: 1-line block ×7, first 2 shown]
.LBB108_13:                             ; =>This Inner Loop Header: Depth=1
	v_ashrrev_i32_e32 v19, 31, v18
	v_subrev_u32_e32 v16, 23, v14
	v_lshl_add_u64 v[40:41], v[18:19], 2, s[6:7]
	v_lshl_add_u64 v[42:43], v[16:17], 3, s[8:9]
	global_load_dword v1, v[40:41], off
	global_load_dwordx4 v[24:27], v[42:43], off
	global_load_dwordx4 v[28:31], v[42:43], off offset:16
	global_load_dwordx4 v[32:35], v[42:43], off offset:48
	;; [unrolled: 1-line block ×3, first 2 shown]
	v_add_u32_e32 v16, -15, v14
	v_mov_b32_e32 v15, v17
	v_lshl_add_u64 v[40:41], v[16:17], 3, s[8:9]
	v_add_u32_e32 v16, -14, v14
	v_lshl_add_u64 v[44:45], v[14:15], 3, s[8:9]
	v_lshl_add_u64 v[42:43], v[16:17], 3, s[8:9]
	v_add_u32_e32 v16, -13, v14
	global_load_dwordx2 v[48:49], v[44:45], off
	global_load_dwordx2 v[52:53], v[42:43], off
	;; [unrolled: 1-line block ×3, first 2 shown]
	v_lshl_add_u64 v[40:41], v[16:17], 3, s[8:9]
	v_add_u32_e32 v16, -12, v14
	v_lshl_add_u64 v[42:43], v[16:17], 3, s[8:9]
	v_add_u32_e32 v16, -11, v14
	global_load_dwordx2 v[54:55], v[40:41], off
	global_load_dwordx2 v[56:57], v[42:43], off
	v_lshl_add_u64 v[40:41], v[16:17], 3, s[8:9]
	v_add_u32_e32 v16, -10, v14
	v_lshl_add_u64 v[42:43], v[16:17], 3, s[8:9]
	v_add_u32_e32 v16, -9, v14
	global_load_dwordx2 v[58:59], v[40:41], off
	global_load_dwordx2 v[60:61], v[42:43], off
	;; [unrolled: 6-line block ×4, first 2 shown]
	v_lshl_add_u64 v[40:41], v[16:17], 3, s[8:9]
	v_add_u32_e32 v16, -4, v14
	v_lshl_add_u64 v[42:43], v[16:17], 3, s[8:9]
	v_add_u32_e32 v16, -3, v14
	v_mov_b32_e32 v21, v17
	global_load_dwordx2 v[70:71], v[40:41], off
	global_load_dwordx2 v[72:73], v[42:43], off
	v_lshl_add_u64 v[40:41], v[16:17], 3, s[8:9]
	v_add_u32_e32 v16, -2, v14
	v_lshl_add_u64 v[42:43], v[16:17], 3, s[8:9]
	global_load_dwordx2 v[74:75], v[40:41], off
	global_load_dwordx2 v[78:79], v[42:43], off
	v_add_u32_e32 v16, -1, v14
	v_lshl_add_u64 v[76:77], v[16:17], 3, s[8:9]
	v_add_u32_e32 v18, 64, v18
	v_cmp_ge_i32_e32 vcc, v18, v22
	s_or_b64 s[14:15], vcc, s[14:15]
	v_add_u32_e32 v14, 0x600, v14
	s_waitcnt vmcnt(19)
	v_subrev_u32_e32 v1, s12, v1
	v_lshlrev_b32_e32 v20, 3, v1
	v_lshl_add_u64 v[20:21], v[20:21], 3, s[10:11]
	global_load_dwordx4 v[40:43], v[20:21], off
	global_load_dwordx4 v[44:47], v[20:21], off offset:16
	s_waitcnt vmcnt(20)
	v_xor_b32_e32 v80, 0x80000000, v27
	v_mov_b32_e32 v81, v26
	s_waitcnt vmcnt(19)
	v_xor_b32_e32 v82, 0x80000000, v31
	v_mov_b32_e32 v83, v30
	s_waitcnt vmcnt(1)
	v_pk_fma_f32 v[12:13], v[24:25], v[40:41], v[12:13] op_sel_hi:[1,0,1]
	v_pk_fma_f32 v[84:85], v[26:27], v[40:41], v[10:11] op_sel_hi:[1,0,1]
	v_pk_fma_f32 v[24:25], v[24:25], v[40:41], v[12:13] op_sel:[1,1,0] op_sel_hi:[0,1,1] neg_lo:[1,0,0]
	global_load_dwordx4 v[10:13], v[20:21], off offset:32
	v_pk_fma_f32 v[8:9], v[28:29], v[40:41], v[8:9] op_sel_hi:[1,0,1]
	v_mov_b32_e32 v16, v43
	v_pk_fma_f32 v[8:9], v[28:29], v[40:41], v[8:9] op_sel:[1,1,0] op_sel_hi:[0,1,1] neg_lo:[1,0,0]
	v_pk_fma_f32 v[28:29], v[30:31], v[42:43], v[24:25] op_sel_hi:[1,0,1]
	global_load_dwordx4 v[24:27], v[20:21], off offset:48
	global_load_dwordx2 v[30:31], v[76:77], off
	v_pk_fma_f32 v[40:41], v[80:81], v[40:41], v[84:85] op_sel:[0,1,0]
	v_xor_b32_e32 v20, 0x80000000, v39
	v_mov_b32_e32 v21, v38
	v_pk_fma_f32 v[40:41], v[36:37], v[42:43], v[40:41] op_sel_hi:[1,0,1]
	v_pk_fma_f32 v[8:9], v[38:39], v[42:43], v[8:9] op_sel_hi:[1,0,1]
	v_pk_fma_f32 v[36:37], v[36:37], v[16:17], v[40:41] op_sel:[1,0,0] op_sel_hi:[0,0,1] neg_lo:[1,0,0]
	v_pk_fma_f32 v[28:29], v[82:83], v[16:17], v[28:29] op_sel_hi:[1,0,1]
	v_pk_fma_f32 v[8:9], v[20:21], v[16:17], v[8:9] op_sel_hi:[1,0,1]
	v_xor_b32_e32 v76, 0x80000000, v35
	v_mov_b32_e32 v77, v34
	s_waitcnt vmcnt(3)
	v_pk_fma_f32 v[20:21], v[32:33], v[44:45], v[28:29] op_sel_hi:[1,0,1]
	v_pk_fma_f32 v[28:29], v[34:35], v[44:45], v[36:37] op_sel_hi:[1,0,1]
	;; [unrolled: 1-line block ×3, first 2 shown]
	v_pk_fma_f32 v[20:21], v[32:33], v[44:45], v[20:21] op_sel:[1,1,0] op_sel_hi:[0,1,1] neg_lo:[1,0,0]
	v_pk_fma_f32 v[28:29], v[76:77], v[44:45], v[28:29] op_sel:[0,1,0]
	v_pk_fma_f32 v[8:9], v[50:51], v[44:45], v[8:9] op_sel:[1,1,0] op_sel_hi:[0,1,1] neg_lo:[1,0,0]
	v_mov_b32_e32 v38, v47
	v_pk_fma_f32 v[20:21], v[52:53], v[46:47], v[20:21] op_sel_hi:[1,0,1]
	v_pk_fma_f32 v[28:29], v[54:55], v[46:47], v[28:29] op_sel_hi:[1,0,1]
	;; [unrolled: 1-line block ×3, first 2 shown]
	v_pk_fma_f32 v[20:21], v[52:53], v[38:39], v[20:21] op_sel:[1,0,0] op_sel_hi:[0,0,1] neg_lo:[1,0,0]
	v_pk_fma_f32 v[28:29], v[54:55], v[38:39], v[28:29] op_sel:[1,0,0] op_sel_hi:[0,0,1] neg_lo:[1,0,0]
	;; [unrolled: 1-line block ×3, first 2 shown]
	s_waitcnt vmcnt(2)
	v_pk_fma_f32 v[20:21], v[58:59], v[10:11], v[20:21] op_sel_hi:[1,0,1]
	v_pk_fma_f32 v[28:29], v[60:61], v[10:11], v[28:29] op_sel_hi:[1,0,1]
	;; [unrolled: 1-line block ×3, first 2 shown]
	v_pk_fma_f32 v[20:21], v[58:59], v[10:11], v[20:21] op_sel:[1,1,0] op_sel_hi:[0,1,1] neg_lo:[1,0,0]
	v_pk_fma_f32 v[28:29], v[60:61], v[10:11], v[28:29] op_sel:[1,1,0] op_sel_hi:[0,1,1] neg_lo:[1,0,0]
	;; [unrolled: 1-line block ×3, first 2 shown]
	v_mov_b32_e32 v40, v13
	v_pk_fma_f32 v[10:11], v[64:65], v[12:13], v[20:21] op_sel_hi:[1,0,1]
	v_pk_fma_f32 v[20:21], v[66:67], v[12:13], v[28:29] op_sel_hi:[1,0,1]
	;; [unrolled: 1-line block ×3, first 2 shown]
	v_pk_fma_f32 v[10:11], v[64:65], v[40:41], v[10:11] op_sel:[1,0,0] op_sel_hi:[0,0,1] neg_lo:[1,0,0]
	v_pk_fma_f32 v[12:13], v[66:67], v[40:41], v[20:21] op_sel:[1,0,0] op_sel_hi:[0,0,1] neg_lo:[1,0,0]
	;; [unrolled: 1-line block ×3, first 2 shown]
	s_waitcnt vmcnt(1)
	v_pk_fma_f32 v[10:11], v[70:71], v[24:25], v[10:11] op_sel_hi:[1,0,1]
	v_pk_fma_f32 v[12:13], v[72:73], v[24:25], v[12:13] op_sel_hi:[1,0,1]
	;; [unrolled: 1-line block ×3, first 2 shown]
	v_pk_fma_f32 v[10:11], v[70:71], v[24:25], v[10:11] op_sel:[1,1,0] op_sel_hi:[0,1,1] neg_lo:[1,0,0]
	v_pk_fma_f32 v[12:13], v[72:73], v[24:25], v[12:13] op_sel:[1,1,0] op_sel_hi:[0,1,1] neg_lo:[1,0,0]
	;; [unrolled: 1-line block ×3, first 2 shown]
	v_mov_b32_e32 v42, v27
	v_pk_fma_f32 v[10:11], v[78:79], v[26:27], v[10:11] op_sel_hi:[1,0,1]
	s_waitcnt vmcnt(0)
	v_pk_fma_f32 v[20:21], v[30:31], v[26:27], v[12:13] op_sel_hi:[1,0,1]
	v_pk_fma_f32 v[8:9], v[48:49], v[26:27], v[8:9] op_sel_hi:[1,0,1]
	v_pk_fma_f32 v[12:13], v[78:79], v[42:43], v[10:11] op_sel:[1,0,0] op_sel_hi:[0,0,1] neg_lo:[1,0,0]
	v_pk_fma_f32 v[10:11], v[30:31], v[42:43], v[20:21] op_sel:[1,0,0] op_sel_hi:[0,0,1] neg_lo:[1,0,0]
	;; [unrolled: 1-line block ×3, first 2 shown]
	s_andn2_b64 exec, exec, s[14:15]
	s_cbranch_execnz .LBB108_13
; %bb.14:
	s_or_b64 exec, exec, s[14:15]
.LBB108_15:
	s_or_b64 exec, exec, s[4:5]
	s_cbranch_execz .LBB108_19
	s_branch .LBB108_24
.LBB108_16:
	v_mov_b64_e32 v[4:5], s[8:9]
	flat_load_dword v3, v[4:5] offset:4
	s_and_b64 vcc, exec, s[4:5]
	v_mov_b32_e32 v4, s6
	s_cbranch_vccnz .LBB108_4
.LBB108_17:
	v_mov_b64_e32 v[4:5], s[6:7]
	flat_load_dword v4, v[4:5]
	s_and_b64 vcc, exec, s[4:5]
	v_mov_b32_e32 v5, s7
	s_cbranch_vccz .LBB108_5
	s_branch .LBB108_6
.LBB108_18:
                                        ; implicit-def: $vgpr13
                                        ; implicit-def: $vgpr9
                                        ; implicit-def: $vgpr11
.LBB108_19:
	v_mov_b32_e32 v13, 0
	v_mov_b32_e32 v12, v13
	;; [unrolled: 1-line block ×6, first 2 shown]
	s_and_saveexec_b64 s[4:5], s[2:3]
	s_cbranch_execz .LBB108_23
; %bb.20:
	v_mad_u64_u32 v[14:15], s[2:3], v0, 24, 23
	v_mov_b32_e32 v17, 0
	s_mov_b64 s[2:3], 0
	v_mov_b32_e32 v8, v17
	v_mov_b32_e32 v9, v17
	;; [unrolled: 1-line block ×6, first 2 shown]
.LBB108_21:                             ; =>This Inner Loop Header: Depth=1
	v_ashrrev_i32_e32 v1, 31, v0
	v_subrev_u32_e32 v16, 23, v14
	v_add_u32_e32 v24, -7, v14
	v_mov_b32_e32 v25, v17
	v_lshl_add_u64 v[32:33], v[0:1], 2, s[6:7]
	v_lshl_add_u64 v[40:41], v[16:17], 3, s[8:9]
	;; [unrolled: 1-line block ×3, first 2 shown]
	global_load_dword v1, v[32:33], off
	global_load_dwordx4 v[24:27], v[40:41], off
	global_load_dwordx4 v[28:31], v[40:41], off offset:16
	v_add_u32_e32 v20, -15, v14
	v_mov_b32_e32 v21, v17
	v_add_u32_e32 v16, -14, v14
	v_mov_b32_e32 v15, v17
	v_lshl_add_u64 v[20:21], v[20:21], 3, s[8:9]
	v_lshl_add_u64 v[46:47], v[16:17], 3, s[8:9]
	v_add_u32_e32 v16, -6, v14
	v_lshl_add_u64 v[44:45], v[14:15], 3, s[8:9]
	global_load_dwordx4 v[32:35], v[40:41], off offset:48
	global_load_dwordx4 v[36:39], v[40:41], off offset:32
	global_load_dwordx2 v[48:49], v[20:21], off
	global_load_dwordx2 v[50:51], v[44:45], off
	v_lshl_add_u64 v[20:21], v[16:17], 3, s[8:9]
	v_add_u32_e32 v16, -13, v14
	v_lshl_add_u64 v[40:41], v[16:17], 3, s[8:9]
	v_add_u32_e32 v16, -5, v14
	global_load_dwordx2 v[44:45], v[46:47], off
	s_nop 0
	global_load_dwordx2 v[46:47], v[20:21], off
	global_load_dwordx2 v[52:53], v[42:43], off
	v_lshl_add_u64 v[20:21], v[16:17], 3, s[8:9]
	v_add_u32_e32 v16, -12, v14
	global_load_dwordx2 v[54:55], v[40:41], off
	global_load_dwordx2 v[56:57], v[20:21], off
	v_lshl_add_u64 v[40:41], v[16:17], 3, s[8:9]
	v_add_u32_e32 v16, -4, v14
	v_lshl_add_u64 v[20:21], v[16:17], 3, s[8:9]
	v_add_u32_e32 v16, -11, v14
	global_load_dwordx2 v[58:59], v[40:41], off
	global_load_dwordx2 v[60:61], v[20:21], off
	v_lshl_add_u64 v[40:41], v[16:17], 3, s[8:9]
	v_add_u32_e32 v16, -3, v14
	v_mov_b32_e32 v19, v17
	v_lshl_add_u64 v[62:63], v[16:17], 3, s[8:9]
	v_add_u32_e32 v16, -10, v14
	v_lshl_add_u64 v[20:21], v[16:17], 3, s[8:9]
	global_load_dwordx2 v[64:65], v[40:41], off
	global_load_dwordx2 v[68:69], v[20:21], off
	v_add_u32_e32 v16, -2, v14
	v_lshl_add_u64 v[66:67], v[16:17], 3, s[8:9]
	v_add_u32_e32 v16, -9, v14
	v_add_u32_e32 v0, 64, v0
	v_cmp_ge_i32_e32 vcc, v0, v22
	s_or_b64 s[2:3], vcc, s[2:3]
	s_waitcnt vmcnt(15)
	v_subrev_u32_e32 v1, s12, v1
	v_lshlrev_b32_e32 v18, 3, v1
	v_lshl_add_u64 v[72:73], v[18:19], 3, s[10:11]
	global_load_dwordx4 v[18:21], v[72:73], off
	global_load_dwordx4 v[40:43], v[72:73], off offset:16
	s_waitcnt vmcnt(16)
	v_xor_b32_e32 v70, 0x80000000, v27
	v_mov_b32_e32 v71, v26
	s_waitcnt vmcnt(1)
	v_pk_fma_f32 v[12:13], v[24:25], v[18:19], v[12:13] op_sel_hi:[1,0,1]
	v_pk_fma_f32 v[10:11], v[48:49], v[18:19], v[10:11] op_sel_hi:[1,0,1]
	v_pk_fma_f32 v[8:9], v[52:53], v[18:19], v[8:9] op_sel_hi:[1,0,1]
	v_pk_fma_f32 v[12:13], v[24:25], v[18:19], v[12:13] op_sel:[1,1,0] op_sel_hi:[0,1,1] neg_lo:[1,0,0]
	v_pk_fma_f32 v[10:11], v[48:49], v[18:19], v[10:11] op_sel:[1,1,0] op_sel_hi:[0,1,1] neg_lo:[1,0,0]
	;; [unrolled: 1-line block ×3, first 2 shown]
	v_pk_fma_f32 v[12:13], v[26:27], v[20:21], v[12:13] op_sel_hi:[1,0,1]
	global_load_dwordx2 v[26:27], v[66:67], off
	global_load_dwordx2 v[74:75], v[62:63], off
	v_pk_fma_f32 v[52:53], v[44:45], v[20:21], v[10:11] op_sel_hi:[1,0,1]
	v_pk_fma_f32 v[66:67], v[46:47], v[20:21], v[8:9] op_sel_hi:[1,0,1]
	global_load_dwordx4 v[8:11], v[72:73], off offset:32
	v_lshl_add_u64 v[24:25], v[16:17], 3, s[8:9]
	v_add_u32_e32 v16, -1, v14
	v_lshl_add_u64 v[62:63], v[16:17], 3, s[8:9]
	v_add_u32_e32 v16, -8, v14
	global_load_dwordx2 v[24:25], v[24:25], off
	v_lshl_add_u64 v[48:49], v[16:17], 3, s[8:9]
	global_load_dwordx2 v[62:63], v[62:63], off
	v_mov_b32_e32 v16, v21
	v_pk_fma_f32 v[12:13], v[70:71], v[16:17], v[12:13] op_sel_hi:[1,0,1]
	global_load_dwordx4 v[18:21], v[72:73], off offset:48
	global_load_dwordx2 v[70:71], v[48:49], off
	s_waitcnt vmcnt(7)
	v_pk_fma_f32 v[12:13], v[28:29], v[40:41], v[12:13] op_sel_hi:[1,0,1]
	v_pk_fma_f32 v[44:45], v[44:45], v[16:17], v[52:53] op_sel:[1,0,0] op_sel_hi:[0,0,1] neg_lo:[1,0,0]
	v_pk_fma_f32 v[46:47], v[46:47], v[16:17], v[66:67] op_sel:[1,0,0] op_sel_hi:[0,0,1] neg_lo:[1,0,0]
	;; [unrolled: 1-line block ×3, first 2 shown]
	v_xor_b32_e32 v48, 0x80000000, v31
	v_mov_b32_e32 v49, v30
	v_pk_fma_f32 v[12:13], v[30:31], v[42:43], v[12:13] op_sel_hi:[1,0,1]
	v_pk_fma_f32 v[30:31], v[54:55], v[40:41], v[44:45] op_sel_hi:[1,0,1]
	;; [unrolled: 1-line block ×3, first 2 shown]
	v_pk_fma_f32 v[30:31], v[54:55], v[40:41], v[30:31] op_sel:[1,1,0] op_sel_hi:[0,1,1] neg_lo:[1,0,0]
	v_pk_fma_f32 v[40:41], v[56:57], v[40:41], v[46:47] op_sel:[1,1,0] op_sel_hi:[0,1,1] neg_lo:[1,0,0]
	v_mov_b32_e32 v16, v43
	v_pk_fma_f32 v[30:31], v[58:59], v[42:43], v[30:31] op_sel_hi:[1,0,1]
	v_pk_fma_f32 v[40:41], v[60:61], v[42:43], v[40:41] op_sel_hi:[1,0,1]
	v_pk_fma_f32 v[12:13], v[48:49], v[16:17], v[12:13] op_sel_hi:[1,0,1]
	v_pk_fma_f32 v[30:31], v[58:59], v[16:17], v[30:31] op_sel:[1,0,0] op_sel_hi:[0,0,1] neg_lo:[1,0,0]
	v_pk_fma_f32 v[40:41], v[60:61], v[16:17], v[40:41] op_sel:[1,0,0] op_sel_hi:[0,0,1] neg_lo:[1,0,0]
	v_xor_b32_e32 v52, 0x80000000, v39
	v_mov_b32_e32 v53, v38
	v_xor_b32_e32 v66, 0x80000000, v35
	v_mov_b32_e32 v67, v34
	v_add_u32_e32 v14, 0x600, v14
	s_waitcnt vmcnt(4)
	v_pk_fma_f32 v[12:13], v[36:37], v[8:9], v[12:13] op_sel_hi:[1,0,1]
	v_pk_fma_f32 v[30:31], v[64:65], v[8:9], v[30:31] op_sel_hi:[1,0,1]
	;; [unrolled: 1-line block ×3, first 2 shown]
	v_pk_fma_f32 v[12:13], v[36:37], v[8:9], v[12:13] op_sel:[1,1,0] op_sel_hi:[0,1,1] neg_lo:[1,0,0]
	v_pk_fma_f32 v[30:31], v[64:65], v[8:9], v[30:31] op_sel:[1,1,0] op_sel_hi:[0,1,1] neg_lo:[1,0,0]
	;; [unrolled: 1-line block ×3, first 2 shown]
	v_mov_b32_e32 v28, v11
	v_pk_fma_f32 v[12:13], v[38:39], v[10:11], v[12:13] op_sel_hi:[1,0,1]
	v_pk_fma_f32 v[30:31], v[68:69], v[10:11], v[30:31] op_sel_hi:[1,0,1]
	;; [unrolled: 1-line block ×4, first 2 shown]
	v_pk_fma_f32 v[12:13], v[68:69], v[28:29], v[30:31] op_sel:[1,0,0] op_sel_hi:[0,0,1] neg_lo:[1,0,0]
	v_pk_fma_f32 v[8:9], v[26:27], v[28:29], v[8:9] op_sel:[1,0,0] op_sel_hi:[0,0,1] neg_lo:[1,0,0]
	s_waitcnt vmcnt(1)
	v_pk_fma_f32 v[10:11], v[32:33], v[18:19], v[10:11] op_sel_hi:[1,0,1]
	v_pk_fma_f32 v[12:13], v[24:25], v[18:19], v[12:13] op_sel_hi:[1,0,1]
	;; [unrolled: 1-line block ×3, first 2 shown]
	v_pk_fma_f32 v[10:11], v[32:33], v[18:19], v[10:11] op_sel:[1,1,0] op_sel_hi:[0,1,1] neg_lo:[1,0,0]
	v_pk_fma_f32 v[12:13], v[24:25], v[18:19], v[12:13] op_sel:[1,1,0] op_sel_hi:[0,1,1] neg_lo:[1,0,0]
	v_pk_fma_f32 v[8:9], v[62:63], v[18:19], v[8:9] op_sel:[1,1,0] op_sel_hi:[0,1,1] neg_lo:[1,0,0]
	v_mov_b32_e32 v44, v21
	v_pk_fma_f32 v[10:11], v[34:35], v[20:21], v[10:11] op_sel_hi:[1,0,1]
	s_waitcnt vmcnt(0)
	v_pk_fma_f32 v[18:19], v[70:71], v[20:21], v[12:13] op_sel_hi:[1,0,1]
	v_pk_fma_f32 v[8:9], v[50:51], v[20:21], v[8:9] op_sel_hi:[1,0,1]
	v_pk_fma_f32 v[12:13], v[66:67], v[44:45], v[10:11] op_sel_hi:[1,0,1]
	v_pk_fma_f32 v[10:11], v[70:71], v[44:45], v[18:19] op_sel:[1,0,0] op_sel_hi:[0,0,1] neg_lo:[1,0,0]
	v_pk_fma_f32 v[8:9], v[50:51], v[44:45], v[8:9] op_sel:[1,0,0] op_sel_hi:[0,0,1] neg_lo:[1,0,0]
	s_andn2_b64 exec, exec, s[2:3]
	s_cbranch_execnz .LBB108_21
; %bb.22:
	s_or_b64 exec, exec, s[2:3]
.LBB108_23:
	s_or_b64 exec, exec, s[4:5]
.LBB108_24:
	v_mov_b32_dpp v0, v12 row_shr:1 row_mask:0xf bank_mask:0xf
	v_add_f32_e32 v0, v12, v0
	v_mov_b32_dpp v12, v13 row_shr:1 row_mask:0xf bank_mask:0xf
	v_add_f32_e32 v12, v13, v12
	;; [unrolled: 2-line block ×8, first 2 shown]
	v_mov_b32_dpp v1, v0 row_bcast:15 row_mask:0xa bank_mask:0xf
	v_add_f32_e32 v0, v0, v1
	v_mov_b32_dpp v13, v12 row_bcast:15 row_mask:0xa bank_mask:0xf
	v_add_f32_e32 v13, v12, v13
	v_mov_b32_dpp v12, v10 row_shr:1 row_mask:0xf bank_mask:0xf
	v_add_f32_e32 v10, v10, v12
	v_mov_b32_dpp v1, v0 row_bcast:31 row_mask:0xc bank_mask:0xf
	v_mov_b32_dpp v14, v13 row_bcast:31 row_mask:0xc bank_mask:0xf
	v_mov_b32_dpp v12, v10 row_shr:2 row_mask:0xf bank_mask:0xf
	v_add_f32_e32 v10, v10, v12
	v_cmp_eq_u32_e32 vcc, 63, v7
	s_nop 0
	v_mov_b32_dpp v12, v10 row_shr:4 row_mask:0xf bank_mask:0xe
	v_add_f32_e32 v10, v10, v12
	s_nop 1
	v_mov_b32_dpp v12, v10 row_shr:8 row_mask:0xf bank_mask:0xc
	v_add_f32_e32 v10, v10, v12
	s_nop 1
	v_mov_b32_dpp v12, v10 row_bcast:15 row_mask:0xa bank_mask:0xf
	v_add_f32_e32 v10, v10, v12
	s_nop 0
	v_mov_b32_dpp v12, v11 row_shr:1 row_mask:0xf bank_mask:0xf
	v_add_f32_e32 v11, v11, v12
	v_mov_b32_dpp v15, v10 row_bcast:31 row_mask:0xc bank_mask:0xf
	s_nop 0
	v_mov_b32_dpp v12, v11 row_shr:2 row_mask:0xf bank_mask:0xf
	v_add_f32_e32 v11, v11, v12
	s_nop 1
	v_mov_b32_dpp v12, v11 row_shr:4 row_mask:0xf bank_mask:0xe
	v_add_f32_e32 v11, v11, v12
	s_nop 1
	v_mov_b32_dpp v12, v11 row_shr:8 row_mask:0xf bank_mask:0xc
	v_add_f32_e32 v11, v11, v12
	s_nop 1
	v_mov_b32_dpp v12, v11 row_bcast:15 row_mask:0xa bank_mask:0xf
	v_add_f32_e32 v11, v11, v12
	s_nop 0
	v_mov_b32_dpp v12, v8 row_shr:1 row_mask:0xf bank_mask:0xf
	v_add_f32_e32 v8, v8, v12
	v_mov_b32_dpp v17, v11 row_bcast:31 row_mask:0xc bank_mask:0xf
	s_nop 0
	v_mov_b32_dpp v12, v8 row_shr:2 row_mask:0xf bank_mask:0xf
	v_add_f32_e32 v8, v8, v12
	;; [unrolled: 16-line block ×3, first 2 shown]
	s_nop 1
	v_mov_b32_dpp v12, v9 row_shr:4 row_mask:0xf bank_mask:0xe
	v_add_f32_e32 v9, v9, v12
	s_nop 1
	v_mov_b32_dpp v12, v9 row_shr:8 row_mask:0xf bank_mask:0xc
	v_add_f32_e32 v9, v9, v12
	s_nop 1
	v_mov_b32_dpp v12, v9 row_bcast:15 row_mask:0xa bank_mask:0xf
	v_add_f32_e32 v9, v9, v12
	s_nop 1
	v_mov_b32_dpp v19, v9 row_bcast:31 row_mask:0xc bank_mask:0xf
	s_and_b64 exec, exec, vcc
	s_cbranch_execz .LBB108_29
; %bb.25:
	s_load_dwordx2 s[2:3], s[0:1], 0x38
	v_add_f32_e32 v12, v0, v1
	v_and_b32_e32 v1, 0x7fffffff, v4
	v_cmp_eq_u32_e32 vcc, 0, v1
	v_cmp_eq_f32_e64 s[0:1], 0, v5
	v_add_f32_e32 v16, v13, v14
	v_add_f32_e32 v10, v10, v15
	;; [unrolled: 1-line block ×5, first 2 shown]
	s_and_b64 s[0:1], vcc, s[0:1]
	s_and_saveexec_b64 s[4:5], s[0:1]
	s_xor_b64 s[0:1], exec, s[4:5]
	s_cbranch_execz .LBB108_27
; %bb.26:
	v_lshl_add_u32 v4, v6, 1, v6
	v_xor_b32_e32 v18, 0x80000000, v3
	v_ashrrev_i32_e32 v5, 31, v4
	v_mov_b32_e32 v19, v2
	s_waitcnt lgkmcnt(0)
	v_lshl_add_u64 v[20:21], v[4:5], 3, s[2:3]
	v_pk_mul_f32 v[4:5], v[16:17], v[18:19] op_sel_hi:[0,1]
	v_pk_mul_f32 v[6:7], v[14:15], v[18:19] op_sel_hi:[0,1]
	v_pk_fma_f32 v[4:5], v[2:3], v[12:13], v[4:5] op_sel_hi:[1,0,1]
	v_pk_fma_f32 v[6:7], v[2:3], v[10:11], v[6:7] op_sel_hi:[1,0,1]
	global_store_dwordx4 v[20:21], v[4:7], off
                                        ; implicit-def: $vgpr6
                                        ; implicit-def: $vgpr12
                                        ; implicit-def: $vgpr16
                                        ; implicit-def: $vgpr10
                                        ; implicit-def: $vgpr14
	s_nop 1
	v_pk_mul_f32 v[4:5], v[8:9], v[18:19] op_sel_hi:[0,1]
	v_pk_fma_f32 v[0:1], v[2:3], v[0:1], v[4:5] op_sel_hi:[1,0,1]
	global_store_dwordx2 v[20:21], v[0:1], off offset:16
                                        ; implicit-def: $vgpr3
                                        ; implicit-def: $vgpr4
                                        ; implicit-def: $vgpr0
                                        ; implicit-def: $vgpr8
.LBB108_27:
	s_andn2_saveexec_b64 s[0:1], s[0:1]
	s_cbranch_execz .LBB108_29
; %bb.28:
	v_lshl_add_u32 v6, v6, 1, v6
	v_ashrrev_i32_e32 v7, 31, v6
	s_waitcnt lgkmcnt(0)
	v_lshl_add_u64 v[6:7], v[6:7], 3, s[2:3]
	global_load_dwordx4 v[18:21], v[6:7], off
	global_load_dwordx2 v[22:23], v[6:7], off offset:16
	v_xor_b32_e32 v24, 0x80000000, v3
	v_mov_b32_e32 v25, v2
	v_pk_mul_f32 v[16:17], v[16:17], v[24:25] op_sel_hi:[0,1]
	v_pk_mul_f32 v[14:15], v[14:15], v[24:25] op_sel_hi:[0,1]
	;; [unrolled: 1-line block ×3, first 2 shown]
	v_pk_fma_f32 v[12:13], v[2:3], v[12:13], v[16:17] op_sel_hi:[1,0,1]
	v_pk_fma_f32 v[10:11], v[2:3], v[10:11], v[14:15] op_sel_hi:[1,0,1]
	v_xor_b32_e32 v26, 0x80000000, v5
	v_mov_b32_e32 v27, v4
	v_pk_fma_f32 v[0:1], v[2:3], v[0:1], v[8:9] op_sel_hi:[1,0,1]
	s_waitcnt vmcnt(1)
	v_pk_fma_f32 v[2:3], v[4:5], v[18:19], v[12:13] op_sel_hi:[1,0,1]
	v_pk_fma_f32 v[8:9], v[4:5], v[20:21], v[10:11] op_sel_hi:[1,0,1]
	v_mov_b32_e32 v10, v21
	s_waitcnt vmcnt(0)
	v_pk_fma_f32 v[4:5], v[4:5], v[22:23], v[0:1] op_sel_hi:[1,0,1]
	v_pk_fma_f32 v[0:1], v[26:27], v[18:19], v[2:3] op_sel:[0,1,0]
	v_pk_fma_f32 v[2:3], v[26:27], v[10:11], v[8:9] op_sel_hi:[1,0,1]
	v_pk_fma_f32 v[4:5], v[26:27], v[22:23], v[4:5] op_sel:[0,1,0]
	global_store_dwordx4 v[6:7], v[0:3], off
	global_store_dwordx2 v[6:7], v[4:5], off offset:16
.LBB108_29:
	s_endpgm
	.section	.rodata,"a",@progbits
	.p2align	6, 0x0
	.amdhsa_kernel _ZN9rocsparseL19gebsrmvn_3xn_kernelILj128ELj8ELj64E21rocsparse_complex_numIfEEEvi20rocsparse_direction_NS_24const_host_device_scalarIT2_EEPKiS8_PKS5_SA_S6_PS5_21rocsparse_index_base_b
		.amdhsa_group_segment_fixed_size 0
		.amdhsa_private_segment_fixed_size 0
		.amdhsa_kernarg_size 72
		.amdhsa_user_sgpr_count 2
		.amdhsa_user_sgpr_dispatch_ptr 0
		.amdhsa_user_sgpr_queue_ptr 0
		.amdhsa_user_sgpr_kernarg_segment_ptr 1
		.amdhsa_user_sgpr_dispatch_id 0
		.amdhsa_user_sgpr_kernarg_preload_length 0
		.amdhsa_user_sgpr_kernarg_preload_offset 0
		.amdhsa_user_sgpr_private_segment_size 0
		.amdhsa_uses_dynamic_stack 0
		.amdhsa_enable_private_segment 0
		.amdhsa_system_sgpr_workgroup_id_x 1
		.amdhsa_system_sgpr_workgroup_id_y 0
		.amdhsa_system_sgpr_workgroup_id_z 0
		.amdhsa_system_sgpr_workgroup_info 0
		.amdhsa_system_vgpr_workitem_id 0
		.amdhsa_next_free_vgpr 86
		.amdhsa_next_free_sgpr 16
		.amdhsa_accum_offset 88
		.amdhsa_reserve_vcc 1
		.amdhsa_float_round_mode_32 0
		.amdhsa_float_round_mode_16_64 0
		.amdhsa_float_denorm_mode_32 3
		.amdhsa_float_denorm_mode_16_64 3
		.amdhsa_dx10_clamp 1
		.amdhsa_ieee_mode 1
		.amdhsa_fp16_overflow 0
		.amdhsa_tg_split 0
		.amdhsa_exception_fp_ieee_invalid_op 0
		.amdhsa_exception_fp_denorm_src 0
		.amdhsa_exception_fp_ieee_div_zero 0
		.amdhsa_exception_fp_ieee_overflow 0
		.amdhsa_exception_fp_ieee_underflow 0
		.amdhsa_exception_fp_ieee_inexact 0
		.amdhsa_exception_int_div_zero 0
	.end_amdhsa_kernel
	.section	.text._ZN9rocsparseL19gebsrmvn_3xn_kernelILj128ELj8ELj64E21rocsparse_complex_numIfEEEvi20rocsparse_direction_NS_24const_host_device_scalarIT2_EEPKiS8_PKS5_SA_S6_PS5_21rocsparse_index_base_b,"axG",@progbits,_ZN9rocsparseL19gebsrmvn_3xn_kernelILj128ELj8ELj64E21rocsparse_complex_numIfEEEvi20rocsparse_direction_NS_24const_host_device_scalarIT2_EEPKiS8_PKS5_SA_S6_PS5_21rocsparse_index_base_b,comdat
.Lfunc_end108:
	.size	_ZN9rocsparseL19gebsrmvn_3xn_kernelILj128ELj8ELj64E21rocsparse_complex_numIfEEEvi20rocsparse_direction_NS_24const_host_device_scalarIT2_EEPKiS8_PKS5_SA_S6_PS5_21rocsparse_index_base_b, .Lfunc_end108-_ZN9rocsparseL19gebsrmvn_3xn_kernelILj128ELj8ELj64E21rocsparse_complex_numIfEEEvi20rocsparse_direction_NS_24const_host_device_scalarIT2_EEPKiS8_PKS5_SA_S6_PS5_21rocsparse_index_base_b
                                        ; -- End function
	.section	.AMDGPU.csdata,"",@progbits
; Kernel info:
; codeLenInByte = 3296
; NumSgprs: 22
; NumVgprs: 86
; NumAgprs: 0
; TotalNumVgprs: 86
; ScratchSize: 0
; MemoryBound: 0
; FloatMode: 240
; IeeeMode: 1
; LDSByteSize: 0 bytes/workgroup (compile time only)
; SGPRBlocks: 2
; VGPRBlocks: 10
; NumSGPRsForWavesPerEU: 22
; NumVGPRsForWavesPerEU: 86
; AccumOffset: 88
; Occupancy: 5
; WaveLimiterHint : 1
; COMPUTE_PGM_RSRC2:SCRATCH_EN: 0
; COMPUTE_PGM_RSRC2:USER_SGPR: 2
; COMPUTE_PGM_RSRC2:TRAP_HANDLER: 0
; COMPUTE_PGM_RSRC2:TGID_X_EN: 1
; COMPUTE_PGM_RSRC2:TGID_Y_EN: 0
; COMPUTE_PGM_RSRC2:TGID_Z_EN: 0
; COMPUTE_PGM_RSRC2:TIDIG_COMP_CNT: 0
; COMPUTE_PGM_RSRC3_GFX90A:ACCUM_OFFSET: 21
; COMPUTE_PGM_RSRC3_GFX90A:TG_SPLIT: 0
	.section	.text._ZN9rocsparseL23gebsrmvn_general_kernelILj48ELj16E21rocsparse_complex_numIfEEEvi20rocsparse_direction_NS_24const_host_device_scalarIT1_EEPKiS8_PKS5_iiSA_S6_PS5_21rocsparse_index_base_b,"axG",@progbits,_ZN9rocsparseL23gebsrmvn_general_kernelILj48ELj16E21rocsparse_complex_numIfEEEvi20rocsparse_direction_NS_24const_host_device_scalarIT1_EEPKiS8_PKS5_iiSA_S6_PS5_21rocsparse_index_base_b,comdat
	.globl	_ZN9rocsparseL23gebsrmvn_general_kernelILj48ELj16E21rocsparse_complex_numIfEEEvi20rocsparse_direction_NS_24const_host_device_scalarIT1_EEPKiS8_PKS5_iiSA_S6_PS5_21rocsparse_index_base_b ; -- Begin function _ZN9rocsparseL23gebsrmvn_general_kernelILj48ELj16E21rocsparse_complex_numIfEEEvi20rocsparse_direction_NS_24const_host_device_scalarIT1_EEPKiS8_PKS5_iiSA_S6_PS5_21rocsparse_index_base_b
	.p2align	8
	.type	_ZN9rocsparseL23gebsrmvn_general_kernelILj48ELj16E21rocsparse_complex_numIfEEEvi20rocsparse_direction_NS_24const_host_device_scalarIT1_EEPKiS8_PKS5_iiSA_S6_PS5_21rocsparse_index_base_b,@function
_ZN9rocsparseL23gebsrmvn_general_kernelILj48ELj16E21rocsparse_complex_numIfEEEvi20rocsparse_direction_NS_24const_host_device_scalarIT1_EEPKiS8_PKS5_iiSA_S6_PS5_21rocsparse_index_base_b: ; @_ZN9rocsparseL23gebsrmvn_general_kernelILj48ELj16E21rocsparse_complex_numIfEEEvi20rocsparse_direction_NS_24const_host_device_scalarIT1_EEPKiS8_PKS5_iiSA_S6_PS5_21rocsparse_index_base_b
; %bb.0:
	s_load_dwordx2 s[12:13], s[0:1], 0x48
	s_load_dwordx2 s[8:9], s[0:1], 0x8
	;; [unrolled: 1-line block ×3, first 2 shown]
	s_waitcnt lgkmcnt(0)
	s_bitcmp1_b32 s13, 0
	s_cselect_b64 s[4:5], -1, 0
	s_xor_b64 s[10:11], s[4:5], -1
	s_and_b64 vcc, exec, s[4:5]
	v_mov_b32_e32 v2, s8
	s_cbranch_vccnz .LBB109_2
; %bb.1:
	v_mov_b64_e32 v[2:3], s[8:9]
	flat_load_dword v2, v[2:3]
.LBB109_2:
	v_cndmask_b32_e64 v1, 0, 1, s[10:11]
	v_cmp_ne_u32_e64 s[4:5], 1, v1
	s_andn2_b64 vcc, exec, s[10:11]
	v_mov_b32_e32 v3, s9
	s_cbranch_vccz .LBB109_29
; %bb.3:
	s_and_b64 vcc, exec, s[4:5]
	v_mov_b32_e32 v4, s6
	s_cbranch_vccz .LBB109_30
.LBB109_4:
	s_and_b64 vcc, exec, s[4:5]
	v_mov_b32_e32 v5, s7
	s_cbranch_vccnz .LBB109_6
.LBB109_5:
	v_mov_b64_e32 v[6:7], s[6:7]
	flat_load_dword v5, v[6:7] offset:4
.LBB109_6:
	s_waitcnt vmcnt(0) lgkmcnt(0)
	v_and_b32_e32 v1, 0x7fffffff, v2
	v_cmp_eq_u32_e32 vcc, 0, v1
	v_cmp_eq_f32_e64 s[4:5], 0, v3
	s_and_b64 s[8:9], vcc, s[4:5]
	s_mov_b64 s[4:5], -1
	s_and_saveexec_b64 s[6:7], s[8:9]
; %bb.7:
	v_and_b32_e32 v1, 0x7fffffff, v5
	v_cmp_neq_f32_e32 vcc, 1.0, v4
	v_cmp_ne_u32_e64 s[4:5], 0, v1
	s_or_b64 s[4:5], vcc, s[4:5]
	s_orn2_b64 s[4:5], s[4:5], exec
; %bb.8:
	s_or_b64 exec, exec, s[6:7]
	s_and_saveexec_b64 s[6:7], s[4:5]
	s_cbranch_execz .LBB109_28
; %bb.9:
	s_load_dwordx2 s[14:15], s[0:1], 0x28
	v_lshrrev_b32_e32 v6, 4, v0
	s_waitcnt lgkmcnt(0)
	v_cmp_gt_i32_e32 vcc, s14, v6
	s_and_b64 exec, exec, vcc
	s_cbranch_execz .LBB109_28
; %bb.10:
	s_load_dwordx4 s[8:11], s[0:1], 0x10
	s_load_dword s21, s[0:1], 0x4
	s_ashr_i32 s3, s2, 31
	s_lshl_b64 s[4:5], s[2:3], 2
	s_mul_i32 s36, s2, s14
	s_waitcnt lgkmcnt(0)
	s_add_u32 s4, s8, s4
	s_addc_u32 s5, s9, s5
	s_load_dwordx2 s[6:7], s[4:5], 0x0
	s_load_dwordx2 s[8:9], s[0:1], 0x20
	;; [unrolled: 1-line block ×4, first 2 shown]
	v_and_b32_e32 v7, 15, v0
	s_waitcnt lgkmcnt(0)
	s_sub_i32 s13, s6, s12
	s_sub_i32 s33, s7, s12
	s_cmp_lt_i32 s6, s7
	s_mul_i32 s2, s14, s13
	s_cselect_b64 s[26:27], -1, 0
	v_and_b32_e32 v0, 0x7fffffff, v4
	v_add_u32_e32 v10, s2, v6
	s_cmp_lg_u32 s21, 0
	v_cmp_eq_u32_e32 vcc, 0, v0
	v_cmp_eq_f32_e64 s[4:5], 0, v5
	v_mul_lo_u32 v16, s15, v10
	v_cndmask_b32_e64 v10, 0, 1, s[26:27]
	v_cmp_gt_i32_e64 s[0:1], s15, v7
	s_mov_b32 s20, 0
	s_cselect_b64 s[22:23], -1, 0
	v_cmp_eq_u32_e64 s[6:7], 15, v7
	s_and_b64 s[24:25], vcc, s[4:5]
	v_xor_b32_e32 v0, 0x80000000, v3
	v_xor_b32_e32 v8, 0x80000000, v5
	v_mov_b32_e32 v1, v2
	v_mov_b32_e32 v9, v4
	s_mul_i32 s37, s15, 3
	s_mul_i32 s38, s15, s14
	s_mov_b64 s[2:3], 0
	v_cmp_ne_u32_e64 s[4:5], 1, v10
	s_branch .LBB109_12
.LBB109_11:                             ;   in Loop: Header=BB109_12 Depth=1
	s_or_b64 exec, exec, s[26:27]
	v_add_u32_e32 v6, 3, v6
	v_cmp_le_i32_e32 vcc, s14, v6
	s_or_b64 s[2:3], vcc, s[2:3]
	v_add_u32_e32 v16, s37, v16
	s_andn2_b64 exec, exec, s[2:3]
	s_cbranch_execz .LBB109_28
.LBB109_12:                             ; =>This Loop Header: Depth=1
                                        ;     Child Loop BB109_16 Depth 2
                                        ;       Child Loop BB109_19 Depth 3
	s_mov_b32 s21, s20
	s_and_b64 vcc, exec, s[4:5]
	v_mov_b64_e32 v[10:11], s[20:21]
	s_cbranch_vccnz .LBB109_23
; %bb.13:                               ;   in Loop: Header=BB109_12 Depth=1
	v_mov_b64_e32 v[10:11], s[20:21]
	v_mov_b32_e32 v14, v16
	s_mov_b32 s26, s13
	s_branch .LBB109_16
.LBB109_14:                             ;   in Loop: Header=BB109_16 Depth=2
	s_or_b64 exec, exec, s[30:31]
.LBB109_15:                             ;   in Loop: Header=BB109_16 Depth=2
	s_or_b64 exec, exec, s[28:29]
	s_add_i32 s26, s26, 1
	s_cmp_ge_i32 s26, s33
	v_add_u32_e32 v14, s38, v14
	s_cbranch_scc1 .LBB109_23
.LBB109_16:                             ;   Parent Loop BB109_12 Depth=1
                                        ; =>  This Loop Header: Depth=2
                                        ;       Child Loop BB109_19 Depth 3
	s_and_saveexec_b64 s[28:29], s[0:1]
	s_cbranch_execz .LBB109_15
; %bb.17:                               ;   in Loop: Header=BB109_16 Depth=2
	s_ashr_i32 s27, s26, 31
	s_lshl_b64 s[30:31], s[26:27], 2
	s_add_u32 s30, s10, s30
	s_addc_u32 s31, s11, s31
	s_load_dword s27, s[30:31], 0x0
	s_mul_i32 s21, s26, s15
	s_mov_b64 s[30:31], 0
	v_mov_b32_e32 v15, v7
	s_waitcnt lgkmcnt(0)
	s_sub_i32 s27, s27, s12
	s_mul_i32 s27, s27, s15
	s_branch .LBB109_19
.LBB109_18:                             ;   in Loop: Header=BB109_19 Depth=3
	v_ashrrev_i32_e32 v13, 31, v12
	v_add_u32_e32 v18, s27, v15
	v_lshl_add_u64 v[12:13], v[12:13], 3, s[8:9]
	v_ashrrev_i32_e32 v19, 31, v18
	v_lshl_add_u64 v[18:19], v[18:19], 3, s[16:17]
	global_load_dwordx2 v[20:21], v[12:13], off
	global_load_dwordx2 v[22:23], v[18:19], off
	v_add_u32_e32 v15, 16, v15
	v_cmp_le_i32_e32 vcc, s15, v15
	s_or_b64 s[30:31], vcc, s[30:31]
	s_waitcnt vmcnt(0)
	v_pk_fma_f32 v[10:11], v[20:21], v[22:23], v[10:11] op_sel_hi:[1,0,1]
	s_nop 0
	v_pk_fma_f32 v[10:11], v[20:21], v[22:23], v[10:11] op_sel:[1,1,0] op_sel_hi:[0,1,1] neg_lo:[1,0,0]
	s_andn2_b64 exec, exec, s[30:31]
	s_cbranch_execz .LBB109_14
.LBB109_19:                             ;   Parent Loop BB109_12 Depth=1
                                        ;     Parent Loop BB109_16 Depth=2
                                        ; =>    This Inner Loop Header: Depth=3
	s_and_b64 vcc, exec, s[22:23]
	s_cbranch_vccz .LBB109_21
; %bb.20:                               ;   in Loop: Header=BB109_19 Depth=3
	v_add_u32_e32 v12, s21, v15
	v_mad_u64_u32 v[12:13], s[34:35], v12, s14, v[6:7]
	s_cbranch_execnz .LBB109_18
	s_branch .LBB109_22
.LBB109_21:                             ;   in Loop: Header=BB109_19 Depth=3
                                        ; implicit-def: $vgpr12
.LBB109_22:                             ;   in Loop: Header=BB109_19 Depth=3
	v_add_u32_e32 v12, v14, v15
	s_branch .LBB109_18
.LBB109_23:                             ;   in Loop: Header=BB109_12 Depth=1
	s_nop 0
	v_mov_b32_dpp v12, v10 row_shr:1 row_mask:0xf bank_mask:0xf
	v_mov_b32_dpp v13, v11 row_shr:1 row_mask:0xf bank_mask:0xf
	v_add_f32_e32 v10, v10, v12
	v_add_f32_e32 v11, v11, v13
	s_nop 0
	v_mov_b32_dpp v12, v10 row_shr:2 row_mask:0xf bank_mask:0xf
	v_mov_b32_dpp v13, v11 row_shr:2 row_mask:0xf bank_mask:0xf
	v_add_f32_e32 v10, v10, v12
	v_add_f32_e32 v11, v11, v13
	;; [unrolled: 5-line block ×3, first 2 shown]
	s_nop 0
	v_mov_b32_dpp v12, v10 row_shr:8 row_mask:0xf bank_mask:0xc
	v_mov_b32_dpp v13, v11 row_shr:8 row_mask:0xf bank_mask:0xc
	s_and_saveexec_b64 s[26:27], s[6:7]
	s_cbranch_execz .LBB109_11
; %bb.24:                               ;   in Loop: Header=BB109_12 Depth=1
	v_add_u32_e32 v14, s36, v6
	v_add_f32_e32 v10, v10, v12
	v_add_f32_e32 v12, v11, v13
	v_ashrrev_i32_e32 v15, 31, v14
	s_and_saveexec_b64 s[28:29], s[24:25]
	s_xor_b64 s[28:29], exec, s[28:29]
	s_cbranch_execz .LBB109_26
; %bb.25:                               ;   in Loop: Header=BB109_12 Depth=1
	v_pk_mul_f32 v[12:13], v[12:13], v[0:1] op_sel_hi:[0,1]
	v_lshl_add_u64 v[14:15], v[14:15], 3, s[18:19]
	v_pk_fma_f32 v[10:11], v[2:3], v[10:11], v[12:13] op_sel_hi:[1,0,1]
	global_store_dwordx2 v[14:15], v[10:11], off
                                        ; implicit-def: $vgpr14
                                        ; implicit-def: $vgpr12
                                        ; implicit-def: $vgpr10
.LBB109_26:                             ;   in Loop: Header=BB109_12 Depth=1
	s_andn2_saveexec_b64 s[28:29], s[28:29]
	s_cbranch_execz .LBB109_11
; %bb.27:                               ;   in Loop: Header=BB109_12 Depth=1
	v_lshl_add_u64 v[14:15], v[14:15], 3, s[18:19]
	global_load_dwordx2 v[18:19], v[14:15], off
	v_pk_mul_f32 v[12:13], v[12:13], v[0:1] op_sel_hi:[0,1]
	v_pk_fma_f32 v[10:11], v[2:3], v[10:11], v[12:13] op_sel_hi:[1,0,1]
	s_waitcnt vmcnt(0)
	v_pk_fma_f32 v[10:11], v[4:5], v[18:19], v[10:11] op_sel_hi:[1,0,1]
	s_nop 0
	v_pk_fma_f32 v[10:11], v[8:9], v[18:19], v[10:11] op_sel:[0,1,0]
	global_store_dwordx2 v[14:15], v[10:11], off
	s_branch .LBB109_11
.LBB109_28:
	s_endpgm
.LBB109_29:
	v_mov_b64_e32 v[4:5], s[8:9]
	flat_load_dword v3, v[4:5] offset:4
	s_and_b64 vcc, exec, s[4:5]
	v_mov_b32_e32 v4, s6
	s_cbranch_vccnz .LBB109_4
.LBB109_30:
	v_mov_b64_e32 v[4:5], s[6:7]
	flat_load_dword v4, v[4:5]
	s_and_b64 vcc, exec, s[4:5]
	v_mov_b32_e32 v5, s7
	s_cbranch_vccz .LBB109_5
	s_branch .LBB109_6
	.section	.rodata,"a",@progbits
	.p2align	6, 0x0
	.amdhsa_kernel _ZN9rocsparseL23gebsrmvn_general_kernelILj48ELj16E21rocsparse_complex_numIfEEEvi20rocsparse_direction_NS_24const_host_device_scalarIT1_EEPKiS8_PKS5_iiSA_S6_PS5_21rocsparse_index_base_b
		.amdhsa_group_segment_fixed_size 0
		.amdhsa_private_segment_fixed_size 0
		.amdhsa_kernarg_size 80
		.amdhsa_user_sgpr_count 2
		.amdhsa_user_sgpr_dispatch_ptr 0
		.amdhsa_user_sgpr_queue_ptr 0
		.amdhsa_user_sgpr_kernarg_segment_ptr 1
		.amdhsa_user_sgpr_dispatch_id 0
		.amdhsa_user_sgpr_kernarg_preload_length 0
		.amdhsa_user_sgpr_kernarg_preload_offset 0
		.amdhsa_user_sgpr_private_segment_size 0
		.amdhsa_uses_dynamic_stack 0
		.amdhsa_enable_private_segment 0
		.amdhsa_system_sgpr_workgroup_id_x 1
		.amdhsa_system_sgpr_workgroup_id_y 0
		.amdhsa_system_sgpr_workgroup_id_z 0
		.amdhsa_system_sgpr_workgroup_info 0
		.amdhsa_system_vgpr_workitem_id 0
		.amdhsa_next_free_vgpr 24
		.amdhsa_next_free_sgpr 39
		.amdhsa_accum_offset 24
		.amdhsa_reserve_vcc 1
		.amdhsa_float_round_mode_32 0
		.amdhsa_float_round_mode_16_64 0
		.amdhsa_float_denorm_mode_32 3
		.amdhsa_float_denorm_mode_16_64 3
		.amdhsa_dx10_clamp 1
		.amdhsa_ieee_mode 1
		.amdhsa_fp16_overflow 0
		.amdhsa_tg_split 0
		.amdhsa_exception_fp_ieee_invalid_op 0
		.amdhsa_exception_fp_denorm_src 0
		.amdhsa_exception_fp_ieee_div_zero 0
		.amdhsa_exception_fp_ieee_overflow 0
		.amdhsa_exception_fp_ieee_underflow 0
		.amdhsa_exception_fp_ieee_inexact 0
		.amdhsa_exception_int_div_zero 0
	.end_amdhsa_kernel
	.section	.text._ZN9rocsparseL23gebsrmvn_general_kernelILj48ELj16E21rocsparse_complex_numIfEEEvi20rocsparse_direction_NS_24const_host_device_scalarIT1_EEPKiS8_PKS5_iiSA_S6_PS5_21rocsparse_index_base_b,"axG",@progbits,_ZN9rocsparseL23gebsrmvn_general_kernelILj48ELj16E21rocsparse_complex_numIfEEEvi20rocsparse_direction_NS_24const_host_device_scalarIT1_EEPKiS8_PKS5_iiSA_S6_PS5_21rocsparse_index_base_b,comdat
.Lfunc_end109:
	.size	_ZN9rocsparseL23gebsrmvn_general_kernelILj48ELj16E21rocsparse_complex_numIfEEEvi20rocsparse_direction_NS_24const_host_device_scalarIT1_EEPKiS8_PKS5_iiSA_S6_PS5_21rocsparse_index_base_b, .Lfunc_end109-_ZN9rocsparseL23gebsrmvn_general_kernelILj48ELj16E21rocsparse_complex_numIfEEEvi20rocsparse_direction_NS_24const_host_device_scalarIT1_EEPKiS8_PKS5_iiSA_S6_PS5_21rocsparse_index_base_b
                                        ; -- End function
	.section	.AMDGPU.csdata,"",@progbits
; Kernel info:
; codeLenInByte = 1024
; NumSgprs: 45
; NumVgprs: 24
; NumAgprs: 0
; TotalNumVgprs: 24
; ScratchSize: 0
; MemoryBound: 0
; FloatMode: 240
; IeeeMode: 1
; LDSByteSize: 0 bytes/workgroup (compile time only)
; SGPRBlocks: 5
; VGPRBlocks: 2
; NumSGPRsForWavesPerEU: 45
; NumVGPRsForWavesPerEU: 24
; AccumOffset: 24
; Occupancy: 8
; WaveLimiterHint : 1
; COMPUTE_PGM_RSRC2:SCRATCH_EN: 0
; COMPUTE_PGM_RSRC2:USER_SGPR: 2
; COMPUTE_PGM_RSRC2:TRAP_HANDLER: 0
; COMPUTE_PGM_RSRC2:TGID_X_EN: 1
; COMPUTE_PGM_RSRC2:TGID_Y_EN: 0
; COMPUTE_PGM_RSRC2:TGID_Z_EN: 0
; COMPUTE_PGM_RSRC2:TIDIG_COMP_CNT: 0
; COMPUTE_PGM_RSRC3_GFX90A:ACCUM_OFFSET: 5
; COMPUTE_PGM_RSRC3_GFX90A:TG_SPLIT: 0
	.section	.text._ZN9rocsparseL23gebsrmvn_general_kernelILj96ELj32E21rocsparse_complex_numIfEEEvi20rocsparse_direction_NS_24const_host_device_scalarIT1_EEPKiS8_PKS5_iiSA_S6_PS5_21rocsparse_index_base_b,"axG",@progbits,_ZN9rocsparseL23gebsrmvn_general_kernelILj96ELj32E21rocsparse_complex_numIfEEEvi20rocsparse_direction_NS_24const_host_device_scalarIT1_EEPKiS8_PKS5_iiSA_S6_PS5_21rocsparse_index_base_b,comdat
	.globl	_ZN9rocsparseL23gebsrmvn_general_kernelILj96ELj32E21rocsparse_complex_numIfEEEvi20rocsparse_direction_NS_24const_host_device_scalarIT1_EEPKiS8_PKS5_iiSA_S6_PS5_21rocsparse_index_base_b ; -- Begin function _ZN9rocsparseL23gebsrmvn_general_kernelILj96ELj32E21rocsparse_complex_numIfEEEvi20rocsparse_direction_NS_24const_host_device_scalarIT1_EEPKiS8_PKS5_iiSA_S6_PS5_21rocsparse_index_base_b
	.p2align	8
	.type	_ZN9rocsparseL23gebsrmvn_general_kernelILj96ELj32E21rocsparse_complex_numIfEEEvi20rocsparse_direction_NS_24const_host_device_scalarIT1_EEPKiS8_PKS5_iiSA_S6_PS5_21rocsparse_index_base_b,@function
_ZN9rocsparseL23gebsrmvn_general_kernelILj96ELj32E21rocsparse_complex_numIfEEEvi20rocsparse_direction_NS_24const_host_device_scalarIT1_EEPKiS8_PKS5_iiSA_S6_PS5_21rocsparse_index_base_b: ; @_ZN9rocsparseL23gebsrmvn_general_kernelILj96ELj32E21rocsparse_complex_numIfEEEvi20rocsparse_direction_NS_24const_host_device_scalarIT1_EEPKiS8_PKS5_iiSA_S6_PS5_21rocsparse_index_base_b
; %bb.0:
	s_load_dwordx2 s[12:13], s[0:1], 0x48
	s_load_dwordx2 s[8:9], s[0:1], 0x8
	;; [unrolled: 1-line block ×3, first 2 shown]
	s_waitcnt lgkmcnt(0)
	s_bitcmp1_b32 s13, 0
	s_cselect_b64 s[4:5], -1, 0
	s_xor_b64 s[10:11], s[4:5], -1
	s_and_b64 vcc, exec, s[4:5]
	v_mov_b32_e32 v2, s8
	s_cbranch_vccnz .LBB110_2
; %bb.1:
	v_mov_b64_e32 v[2:3], s[8:9]
	flat_load_dword v2, v[2:3]
.LBB110_2:
	v_cndmask_b32_e64 v1, 0, 1, s[10:11]
	v_cmp_ne_u32_e64 s[4:5], 1, v1
	s_andn2_b64 vcc, exec, s[10:11]
	v_mov_b32_e32 v3, s9
	s_cbranch_vccz .LBB110_29
; %bb.3:
	s_and_b64 vcc, exec, s[4:5]
	v_mov_b32_e32 v4, s6
	s_cbranch_vccz .LBB110_30
.LBB110_4:
	s_and_b64 vcc, exec, s[4:5]
	v_mov_b32_e32 v5, s7
	s_cbranch_vccnz .LBB110_6
.LBB110_5:
	v_mov_b64_e32 v[6:7], s[6:7]
	flat_load_dword v5, v[6:7] offset:4
.LBB110_6:
	s_waitcnt vmcnt(0) lgkmcnt(0)
	v_and_b32_e32 v1, 0x7fffffff, v2
	v_cmp_eq_u32_e32 vcc, 0, v1
	v_cmp_eq_f32_e64 s[4:5], 0, v3
	s_and_b64 s[8:9], vcc, s[4:5]
	s_mov_b64 s[4:5], -1
	s_and_saveexec_b64 s[6:7], s[8:9]
; %bb.7:
	v_and_b32_e32 v1, 0x7fffffff, v5
	v_cmp_neq_f32_e32 vcc, 1.0, v4
	v_cmp_ne_u32_e64 s[4:5], 0, v1
	s_or_b64 s[4:5], vcc, s[4:5]
	s_orn2_b64 s[4:5], s[4:5], exec
; %bb.8:
	s_or_b64 exec, exec, s[6:7]
	s_and_saveexec_b64 s[6:7], s[4:5]
	s_cbranch_execz .LBB110_28
; %bb.9:
	s_load_dwordx2 s[14:15], s[0:1], 0x28
	v_lshrrev_b32_e32 v6, 5, v0
	s_waitcnt lgkmcnt(0)
	v_cmp_gt_i32_e32 vcc, s14, v6
	s_and_b64 exec, exec, vcc
	s_cbranch_execz .LBB110_28
; %bb.10:
	s_load_dwordx4 s[8:11], s[0:1], 0x10
	s_load_dword s21, s[0:1], 0x4
	s_ashr_i32 s3, s2, 31
	s_lshl_b64 s[4:5], s[2:3], 2
	s_mul_i32 s36, s2, s14
	s_waitcnt lgkmcnt(0)
	s_add_u32 s4, s8, s4
	s_addc_u32 s5, s9, s5
	s_load_dwordx2 s[6:7], s[4:5], 0x0
	s_load_dwordx2 s[8:9], s[0:1], 0x20
	;; [unrolled: 1-line block ×4, first 2 shown]
	v_and_b32_e32 v7, 31, v0
	s_waitcnt lgkmcnt(0)
	s_sub_i32 s13, s6, s12
	s_sub_i32 s33, s7, s12
	s_cmp_lt_i32 s6, s7
	s_mul_i32 s2, s14, s13
	s_cselect_b64 s[26:27], -1, 0
	v_and_b32_e32 v0, 0x7fffffff, v4
	v_add_u32_e32 v10, s2, v6
	s_cmp_lg_u32 s21, 0
	v_cmp_eq_u32_e32 vcc, 0, v0
	v_cmp_eq_f32_e64 s[4:5], 0, v5
	v_mul_lo_u32 v16, s15, v10
	v_cndmask_b32_e64 v10, 0, 1, s[26:27]
	v_cmp_gt_i32_e64 s[0:1], s15, v7
	s_mov_b32 s20, 0
	s_cselect_b64 s[22:23], -1, 0
	v_cmp_eq_u32_e64 s[6:7], 31, v7
	s_and_b64 s[24:25], vcc, s[4:5]
	v_xor_b32_e32 v0, 0x80000000, v3
	v_xor_b32_e32 v8, 0x80000000, v5
	v_mov_b32_e32 v1, v2
	v_mov_b32_e32 v9, v4
	s_mul_i32 s37, s15, 3
	s_mul_i32 s38, s15, s14
	s_mov_b64 s[2:3], 0
	v_cmp_ne_u32_e64 s[4:5], 1, v10
	s_branch .LBB110_12
.LBB110_11:                             ;   in Loop: Header=BB110_12 Depth=1
	s_or_b64 exec, exec, s[26:27]
	v_add_u32_e32 v6, 3, v6
	v_cmp_le_i32_e32 vcc, s14, v6
	s_or_b64 s[2:3], vcc, s[2:3]
	v_add_u32_e32 v16, s37, v16
	s_andn2_b64 exec, exec, s[2:3]
	s_cbranch_execz .LBB110_28
.LBB110_12:                             ; =>This Loop Header: Depth=1
                                        ;     Child Loop BB110_16 Depth 2
                                        ;       Child Loop BB110_19 Depth 3
	s_mov_b32 s21, s20
	s_and_b64 vcc, exec, s[4:5]
	v_mov_b64_e32 v[10:11], s[20:21]
	s_cbranch_vccnz .LBB110_23
; %bb.13:                               ;   in Loop: Header=BB110_12 Depth=1
	v_mov_b64_e32 v[10:11], s[20:21]
	v_mov_b32_e32 v14, v16
	s_mov_b32 s26, s13
	s_branch .LBB110_16
.LBB110_14:                             ;   in Loop: Header=BB110_16 Depth=2
	s_or_b64 exec, exec, s[30:31]
.LBB110_15:                             ;   in Loop: Header=BB110_16 Depth=2
	s_or_b64 exec, exec, s[28:29]
	s_add_i32 s26, s26, 1
	s_cmp_ge_i32 s26, s33
	v_add_u32_e32 v14, s38, v14
	s_cbranch_scc1 .LBB110_23
.LBB110_16:                             ;   Parent Loop BB110_12 Depth=1
                                        ; =>  This Loop Header: Depth=2
                                        ;       Child Loop BB110_19 Depth 3
	s_and_saveexec_b64 s[28:29], s[0:1]
	s_cbranch_execz .LBB110_15
; %bb.17:                               ;   in Loop: Header=BB110_16 Depth=2
	s_ashr_i32 s27, s26, 31
	s_lshl_b64 s[30:31], s[26:27], 2
	s_add_u32 s30, s10, s30
	s_addc_u32 s31, s11, s31
	s_load_dword s27, s[30:31], 0x0
	s_mul_i32 s21, s26, s15
	s_mov_b64 s[30:31], 0
	v_mov_b32_e32 v15, v7
	s_waitcnt lgkmcnt(0)
	s_sub_i32 s27, s27, s12
	s_mul_i32 s27, s27, s15
	s_branch .LBB110_19
.LBB110_18:                             ;   in Loop: Header=BB110_19 Depth=3
	v_ashrrev_i32_e32 v13, 31, v12
	v_add_u32_e32 v18, s27, v15
	v_lshl_add_u64 v[12:13], v[12:13], 3, s[8:9]
	v_ashrrev_i32_e32 v19, 31, v18
	v_lshl_add_u64 v[18:19], v[18:19], 3, s[16:17]
	global_load_dwordx2 v[20:21], v[12:13], off
	global_load_dwordx2 v[22:23], v[18:19], off
	v_add_u32_e32 v15, 32, v15
	v_cmp_le_i32_e32 vcc, s15, v15
	s_or_b64 s[30:31], vcc, s[30:31]
	s_waitcnt vmcnt(0)
	v_pk_fma_f32 v[10:11], v[20:21], v[22:23], v[10:11] op_sel_hi:[1,0,1]
	s_nop 0
	v_pk_fma_f32 v[10:11], v[20:21], v[22:23], v[10:11] op_sel:[1,1,0] op_sel_hi:[0,1,1] neg_lo:[1,0,0]
	s_andn2_b64 exec, exec, s[30:31]
	s_cbranch_execz .LBB110_14
.LBB110_19:                             ;   Parent Loop BB110_12 Depth=1
                                        ;     Parent Loop BB110_16 Depth=2
                                        ; =>    This Inner Loop Header: Depth=3
	s_and_b64 vcc, exec, s[22:23]
	s_cbranch_vccz .LBB110_21
; %bb.20:                               ;   in Loop: Header=BB110_19 Depth=3
	v_add_u32_e32 v12, s21, v15
	v_mad_u64_u32 v[12:13], s[34:35], v12, s14, v[6:7]
	s_cbranch_execnz .LBB110_18
	s_branch .LBB110_22
.LBB110_21:                             ;   in Loop: Header=BB110_19 Depth=3
                                        ; implicit-def: $vgpr12
.LBB110_22:                             ;   in Loop: Header=BB110_19 Depth=3
	v_add_u32_e32 v12, v14, v15
	s_branch .LBB110_18
.LBB110_23:                             ;   in Loop: Header=BB110_12 Depth=1
	s_nop 0
	v_mov_b32_dpp v12, v10 row_shr:1 row_mask:0xf bank_mask:0xf
	v_mov_b32_dpp v13, v11 row_shr:1 row_mask:0xf bank_mask:0xf
	v_add_f32_e32 v10, v10, v12
	v_add_f32_e32 v11, v11, v13
	s_nop 0
	v_mov_b32_dpp v12, v10 row_shr:2 row_mask:0xf bank_mask:0xf
	v_mov_b32_dpp v13, v11 row_shr:2 row_mask:0xf bank_mask:0xf
	v_add_f32_e32 v10, v10, v12
	v_add_f32_e32 v11, v11, v13
	;; [unrolled: 5-line block ×4, first 2 shown]
	s_nop 0
	v_mov_b32_dpp v12, v10 row_bcast:15 row_mask:0xa bank_mask:0xf
	v_mov_b32_dpp v13, v11 row_bcast:15 row_mask:0xa bank_mask:0xf
	s_and_saveexec_b64 s[26:27], s[6:7]
	s_cbranch_execz .LBB110_11
; %bb.24:                               ;   in Loop: Header=BB110_12 Depth=1
	v_add_u32_e32 v14, s36, v6
	v_add_f32_e32 v10, v10, v12
	v_add_f32_e32 v12, v11, v13
	v_ashrrev_i32_e32 v15, 31, v14
	s_and_saveexec_b64 s[28:29], s[24:25]
	s_xor_b64 s[28:29], exec, s[28:29]
	s_cbranch_execz .LBB110_26
; %bb.25:                               ;   in Loop: Header=BB110_12 Depth=1
	v_pk_mul_f32 v[12:13], v[12:13], v[0:1] op_sel_hi:[0,1]
	v_lshl_add_u64 v[14:15], v[14:15], 3, s[18:19]
	v_pk_fma_f32 v[10:11], v[2:3], v[10:11], v[12:13] op_sel_hi:[1,0,1]
	global_store_dwordx2 v[14:15], v[10:11], off
                                        ; implicit-def: $vgpr14
                                        ; implicit-def: $vgpr12
                                        ; implicit-def: $vgpr10
.LBB110_26:                             ;   in Loop: Header=BB110_12 Depth=1
	s_andn2_saveexec_b64 s[28:29], s[28:29]
	s_cbranch_execz .LBB110_11
; %bb.27:                               ;   in Loop: Header=BB110_12 Depth=1
	v_lshl_add_u64 v[14:15], v[14:15], 3, s[18:19]
	global_load_dwordx2 v[18:19], v[14:15], off
	v_pk_mul_f32 v[12:13], v[12:13], v[0:1] op_sel_hi:[0,1]
	v_pk_fma_f32 v[10:11], v[2:3], v[10:11], v[12:13] op_sel_hi:[1,0,1]
	s_waitcnt vmcnt(0)
	v_pk_fma_f32 v[10:11], v[4:5], v[18:19], v[10:11] op_sel_hi:[1,0,1]
	s_nop 0
	v_pk_fma_f32 v[10:11], v[8:9], v[18:19], v[10:11] op_sel:[0,1,0]
	global_store_dwordx2 v[14:15], v[10:11], off
	s_branch .LBB110_11
.LBB110_28:
	s_endpgm
.LBB110_29:
	v_mov_b64_e32 v[4:5], s[8:9]
	flat_load_dword v3, v[4:5] offset:4
	s_and_b64 vcc, exec, s[4:5]
	v_mov_b32_e32 v4, s6
	s_cbranch_vccnz .LBB110_4
.LBB110_30:
	v_mov_b64_e32 v[4:5], s[6:7]
	flat_load_dword v4, v[4:5]
	s_and_b64 vcc, exec, s[4:5]
	v_mov_b32_e32 v5, s7
	s_cbranch_vccz .LBB110_5
	s_branch .LBB110_6
	.section	.rodata,"a",@progbits
	.p2align	6, 0x0
	.amdhsa_kernel _ZN9rocsparseL23gebsrmvn_general_kernelILj96ELj32E21rocsparse_complex_numIfEEEvi20rocsparse_direction_NS_24const_host_device_scalarIT1_EEPKiS8_PKS5_iiSA_S6_PS5_21rocsparse_index_base_b
		.amdhsa_group_segment_fixed_size 0
		.amdhsa_private_segment_fixed_size 0
		.amdhsa_kernarg_size 80
		.amdhsa_user_sgpr_count 2
		.amdhsa_user_sgpr_dispatch_ptr 0
		.amdhsa_user_sgpr_queue_ptr 0
		.amdhsa_user_sgpr_kernarg_segment_ptr 1
		.amdhsa_user_sgpr_dispatch_id 0
		.amdhsa_user_sgpr_kernarg_preload_length 0
		.amdhsa_user_sgpr_kernarg_preload_offset 0
		.amdhsa_user_sgpr_private_segment_size 0
		.amdhsa_uses_dynamic_stack 0
		.amdhsa_enable_private_segment 0
		.amdhsa_system_sgpr_workgroup_id_x 1
		.amdhsa_system_sgpr_workgroup_id_y 0
		.amdhsa_system_sgpr_workgroup_id_z 0
		.amdhsa_system_sgpr_workgroup_info 0
		.amdhsa_system_vgpr_workitem_id 0
		.amdhsa_next_free_vgpr 24
		.amdhsa_next_free_sgpr 39
		.amdhsa_accum_offset 24
		.amdhsa_reserve_vcc 1
		.amdhsa_float_round_mode_32 0
		.amdhsa_float_round_mode_16_64 0
		.amdhsa_float_denorm_mode_32 3
		.amdhsa_float_denorm_mode_16_64 3
		.amdhsa_dx10_clamp 1
		.amdhsa_ieee_mode 1
		.amdhsa_fp16_overflow 0
		.amdhsa_tg_split 0
		.amdhsa_exception_fp_ieee_invalid_op 0
		.amdhsa_exception_fp_denorm_src 0
		.amdhsa_exception_fp_ieee_div_zero 0
		.amdhsa_exception_fp_ieee_overflow 0
		.amdhsa_exception_fp_ieee_underflow 0
		.amdhsa_exception_fp_ieee_inexact 0
		.amdhsa_exception_int_div_zero 0
	.end_amdhsa_kernel
	.section	.text._ZN9rocsparseL23gebsrmvn_general_kernelILj96ELj32E21rocsparse_complex_numIfEEEvi20rocsparse_direction_NS_24const_host_device_scalarIT1_EEPKiS8_PKS5_iiSA_S6_PS5_21rocsparse_index_base_b,"axG",@progbits,_ZN9rocsparseL23gebsrmvn_general_kernelILj96ELj32E21rocsparse_complex_numIfEEEvi20rocsparse_direction_NS_24const_host_device_scalarIT1_EEPKiS8_PKS5_iiSA_S6_PS5_21rocsparse_index_base_b,comdat
.Lfunc_end110:
	.size	_ZN9rocsparseL23gebsrmvn_general_kernelILj96ELj32E21rocsparse_complex_numIfEEEvi20rocsparse_direction_NS_24const_host_device_scalarIT1_EEPKiS8_PKS5_iiSA_S6_PS5_21rocsparse_index_base_b, .Lfunc_end110-_ZN9rocsparseL23gebsrmvn_general_kernelILj96ELj32E21rocsparse_complex_numIfEEEvi20rocsparse_direction_NS_24const_host_device_scalarIT1_EEPKiS8_PKS5_iiSA_S6_PS5_21rocsparse_index_base_b
                                        ; -- End function
	.section	.AMDGPU.csdata,"",@progbits
; Kernel info:
; codeLenInByte = 1052
; NumSgprs: 45
; NumVgprs: 24
; NumAgprs: 0
; TotalNumVgprs: 24
; ScratchSize: 0
; MemoryBound: 0
; FloatMode: 240
; IeeeMode: 1
; LDSByteSize: 0 bytes/workgroup (compile time only)
; SGPRBlocks: 5
; VGPRBlocks: 2
; NumSGPRsForWavesPerEU: 45
; NumVGPRsForWavesPerEU: 24
; AccumOffset: 24
; Occupancy: 8
; WaveLimiterHint : 1
; COMPUTE_PGM_RSRC2:SCRATCH_EN: 0
; COMPUTE_PGM_RSRC2:USER_SGPR: 2
; COMPUTE_PGM_RSRC2:TRAP_HANDLER: 0
; COMPUTE_PGM_RSRC2:TGID_X_EN: 1
; COMPUTE_PGM_RSRC2:TGID_Y_EN: 0
; COMPUTE_PGM_RSRC2:TGID_Z_EN: 0
; COMPUTE_PGM_RSRC2:TIDIG_COMP_CNT: 0
; COMPUTE_PGM_RSRC3_GFX90A:ACCUM_OFFSET: 5
; COMPUTE_PGM_RSRC3_GFX90A:TG_SPLIT: 0
	.section	.text._ZN9rocsparseL19gebsrmvn_3xn_kernelILj128ELj1ELj4E21rocsparse_complex_numIdEEEvi20rocsparse_direction_NS_24const_host_device_scalarIT2_EEPKiS8_PKS5_SA_S6_PS5_21rocsparse_index_base_b,"axG",@progbits,_ZN9rocsparseL19gebsrmvn_3xn_kernelILj128ELj1ELj4E21rocsparse_complex_numIdEEEvi20rocsparse_direction_NS_24const_host_device_scalarIT2_EEPKiS8_PKS5_SA_S6_PS5_21rocsparse_index_base_b,comdat
	.globl	_ZN9rocsparseL19gebsrmvn_3xn_kernelILj128ELj1ELj4E21rocsparse_complex_numIdEEEvi20rocsparse_direction_NS_24const_host_device_scalarIT2_EEPKiS8_PKS5_SA_S6_PS5_21rocsparse_index_base_b ; -- Begin function _ZN9rocsparseL19gebsrmvn_3xn_kernelILj128ELj1ELj4E21rocsparse_complex_numIdEEEvi20rocsparse_direction_NS_24const_host_device_scalarIT2_EEPKiS8_PKS5_SA_S6_PS5_21rocsparse_index_base_b
	.p2align	8
	.type	_ZN9rocsparseL19gebsrmvn_3xn_kernelILj128ELj1ELj4E21rocsparse_complex_numIdEEEvi20rocsparse_direction_NS_24const_host_device_scalarIT2_EEPKiS8_PKS5_SA_S6_PS5_21rocsparse_index_base_b,@function
_ZN9rocsparseL19gebsrmvn_3xn_kernelILj128ELj1ELj4E21rocsparse_complex_numIdEEEvi20rocsparse_direction_NS_24const_host_device_scalarIT2_EEPKiS8_PKS5_SA_S6_PS5_21rocsparse_index_base_b: ; @_ZN9rocsparseL19gebsrmvn_3xn_kernelILj128ELj1ELj4E21rocsparse_complex_numIdEEEvi20rocsparse_direction_NS_24const_host_device_scalarIT2_EEPKiS8_PKS5_SA_S6_PS5_21rocsparse_index_base_b
; %bb.0:
	s_load_dwordx2 s[16:17], s[2:3], 0x50
	s_load_dwordx4 s[12:15], s[2:3], 0x8
	s_load_dwordx4 s[8:11], s[2:3], 0x38
	s_load_dwordx2 s[18:19], s[0:1], 0x4
	s_mov_b64 s[6:7], src_shared_base
	s_waitcnt lgkmcnt(0)
	s_bitcmp1_b32 s17, 0
	s_cselect_b64 s[0:1], -1, 0
	s_and_b64 vcc, s[0:1], exec
	s_cselect_b32 s5, s7, s13
	s_lshr_b32 s6, s18, 16
	v_bfe_u32 v1, v0, 10, 10
	v_and_b32_e32 v10, 0x3ff, v0
	s_mul_i32 s6, s6, s19
	v_mul_u32_u24_e32 v1, s19, v1
	v_mad_u32_u24 v1, s6, v10, v1
	v_bfe_u32 v0, v0, 20, 10
	v_add_lshl_u32 v4, v1, v0, 3
	v_mov_b32_e32 v5, s12
	v_add_u32_e32 v6, 0x400, v4
	v_mov_b64_e32 v[0:1], s[12:13]
	v_mov_b64_e32 v[2:3], s[8:9]
	ds_write2st64_b64 v4, v[2:3], v[0:1] offset1:2
	v_cndmask_b32_e64 v0, v5, v6, s[0:1]
	v_mov_b32_e32 v1, s5
	flat_load_dwordx2 v[0:1], v[0:1]
	s_xor_b64 s[18:19], s[0:1], -1
	v_mov_b64_e32 v[2:3], s[14:15]
	s_cbranch_vccnz .LBB111_2
; %bb.1:
	v_mov_b64_e32 v[2:3], s[12:13]
	flat_load_dwordx2 v[2:3], v[2:3] offset:8
.LBB111_2:
	s_and_b64 s[12:13], s[0:1], exec
	s_cselect_b32 s5, s7, s9
	v_mov_b32_e32 v5, s8
	v_cndmask_b32_e64 v4, v5, v4, s[0:1]
	v_mov_b32_e32 v5, s5
	flat_load_dwordx2 v[4:5], v[4:5]
	s_andn2_b64 vcc, exec, s[18:19]
	v_mov_b64_e32 v[6:7], s[10:11]
	s_cbranch_vccnz .LBB111_4
; %bb.3:
	v_mov_b64_e32 v[6:7], s[8:9]
	flat_load_dwordx2 v[6:7], v[6:7] offset:8
.LBB111_4:
	s_waitcnt vmcnt(0) lgkmcnt(0)
	v_cmp_eq_f64_e32 vcc, 0, v[0:1]
	v_cmp_eq_f64_e64 s[0:1], 0, v[2:3]
	s_and_b64 s[8:9], vcc, s[0:1]
	s_mov_b64 s[0:1], -1
	s_and_saveexec_b64 s[6:7], s[8:9]
; %bb.5:
	v_cmp_neq_f64_e32 vcc, 1.0, v[4:5]
	v_cmp_neq_f64_e64 s[0:1], 0, v[6:7]
	s_or_b64 s[0:1], vcc, s[0:1]
	s_orn2_b64 s[0:1], s[0:1], exec
; %bb.6:
	s_or_b64 exec, exec, s[6:7]
	s_and_saveexec_b64 s[6:7], s[0:1]
	s_cbranch_execz .LBB111_25
; %bb.7:
	s_load_dwordx2 s[0:1], s[2:3], 0x0
	v_lshrrev_b32_e32 v8, 2, v10
	v_lshl_or_b32 v8, s4, 5, v8
	s_waitcnt lgkmcnt(0)
	v_cmp_gt_i32_e32 vcc, s0, v8
	s_and_b64 exec, exec, vcc
	s_cbranch_execz .LBB111_25
; %bb.8:
	s_load_dwordx8 s[4:11], s[2:3], 0x18
	v_ashrrev_i32_e32 v9, 31, v8
	s_cmp_lg_u32 s1, 0
	s_waitcnt lgkmcnt(0)
	v_lshl_add_u64 v[12:13], v[8:9], 2, s[4:5]
	global_load_dwordx2 v[12:13], v[12:13], off
	v_and_b32_e32 v9, 3, v10
	s_waitcnt vmcnt(0)
	v_subrev_u32_e32 v10, s16, v12
	v_subrev_u32_e32 v28, s16, v13
	v_add_u32_e32 v22, v10, v9
	v_cmp_lt_i32_e64 s[0:1], v22, v28
	s_cbranch_scc0 .LBB111_14
; %bb.9:
	v_mov_b64_e32 v[12:13], 0
	s_mov_b64 s[4:5], 0
	v_mov_b64_e32 v[18:19], v[12:13]
	v_mov_b64_e32 v[14:15], v[12:13]
	;; [unrolled: 1-line block ×5, first 2 shown]
	s_and_saveexec_b64 s[12:13], s[0:1]
	s_cbranch_execz .LBB111_13
; %bb.10:
	v_mov_b64_e32 v[12:13], 0
	v_lshl_add_u32 v24, v22, 1, v22
	s_mov_b64 s[14:15], 0
	v_mov_b32_e32 v25, 0
	v_mov_b32_e32 v26, v22
	v_mov_b64_e32 v[18:19], v[12:13]
	v_mov_b64_e32 v[14:15], v[12:13]
	;; [unrolled: 1-line block ×5, first 2 shown]
.LBB111_11:                             ; =>This Inner Loop Header: Depth=1
	v_ashrrev_i32_e32 v27, 31, v26
	v_lshl_add_u64 v[30:31], v[26:27], 2, s[6:7]
	global_load_dword v23, v[30:31], off
	v_mov_b32_e32 v43, v25
	v_add_u32_e32 v34, 1, v24
	v_mov_b32_e32 v35, v25
	v_lshl_add_u64 v[30:31], v[24:25], 4, s[8:9]
	v_add_u32_e32 v36, 2, v24
	v_mov_b32_e32 v37, v25
	v_lshl_add_u64 v[44:45], v[34:35], 4, s[8:9]
	global_load_dwordx4 v[30:33], v[30:31], off
	v_lshl_add_u64 v[46:47], v[36:37], 4, s[8:9]
	global_load_dwordx4 v[34:37], v[44:45], off
	global_load_dwordx4 v[38:41], v[46:47], off
	v_add_u32_e32 v26, 4, v26
	v_cmp_ge_i32_e32 vcc, v26, v28
	v_add_u32_e32 v24, 12, v24
	s_or_b64 s[14:15], vcc, s[14:15]
	s_waitcnt vmcnt(3)
	v_subrev_u32_e32 v42, s16, v23
	v_lshl_add_u64 v[42:43], v[42:43], 4, s[10:11]
	global_load_dwordx4 v[42:45], v[42:43], off
	s_waitcnt vmcnt(0)
	v_fmac_f64_e32 v[18:19], v[30:31], v[42:43]
	v_fmac_f64_e32 v[12:13], v[32:33], v[42:43]
	;; [unrolled: 1-line block ×6, first 2 shown]
	v_fma_f64 v[18:19], -v[32:33], v[44:45], v[18:19]
	v_fmac_f64_e32 v[12:13], v[30:31], v[44:45]
	v_fma_f64 v[20:21], -v[36:37], v[44:45], v[20:21]
	v_fmac_f64_e32 v[16:17], v[34:35], v[44:45]
	v_fma_f64 v[14:15], -v[40:41], v[44:45], v[14:15]
	v_fmac_f64_e32 v[10:11], v[38:39], v[44:45]
	s_andn2_b64 exec, exec, s[14:15]
	s_cbranch_execnz .LBB111_11
; %bb.12:
	s_or_b64 exec, exec, s[14:15]
.LBB111_13:
	s_or_b64 exec, exec, s[12:13]
	s_andn2_b64 vcc, exec, s[4:5]
	s_cbranch_vccz .LBB111_15
	s_branch .LBB111_20
.LBB111_14:
                                        ; implicit-def: $vgpr12_vgpr13
                                        ; implicit-def: $vgpr18_vgpr19
                                        ; implicit-def: $vgpr14_vgpr15
                                        ; implicit-def: $vgpr10_vgpr11
                                        ; implicit-def: $vgpr20_vgpr21
                                        ; implicit-def: $vgpr16_vgpr17
.LBB111_15:
	v_mov_b64_e32 v[12:13], 0
	v_mov_b64_e32 v[18:19], v[12:13]
	;; [unrolled: 1-line block ×6, first 2 shown]
	s_and_saveexec_b64 s[4:5], s[0:1]
	s_cbranch_execz .LBB111_19
; %bb.16:
	v_mov_b64_e32 v[12:13], 0
	v_lshl_add_u32 v24, v22, 1, v22
	s_mov_b64 s[0:1], 0
	v_mov_b32_e32 v25, 0
	v_mov_b64_e32 v[18:19], v[12:13]
	v_mov_b64_e32 v[14:15], v[12:13]
	;; [unrolled: 1-line block ×5, first 2 shown]
.LBB111_17:                             ; =>This Inner Loop Header: Depth=1
	v_ashrrev_i32_e32 v23, 31, v22
	v_lshl_add_u64 v[26:27], v[22:23], 2, s[6:7]
	global_load_dword v23, v[26:27], off
	v_lshl_add_u64 v[26:27], v[24:25], 4, s[8:9]
	v_add_u32_e32 v34, 1, v24
	v_mov_b32_e32 v35, v25
	v_mov_b32_e32 v43, v25
	v_add_u32_e32 v36, 2, v24
	v_mov_b32_e32 v37, v25
	global_load_dwordx4 v[30:33], v[26:27], off
	v_lshl_add_u64 v[26:27], v[34:35], 4, s[8:9]
	v_lshl_add_u64 v[44:45], v[36:37], 4, s[8:9]
	global_load_dwordx4 v[34:37], v[26:27], off
	global_load_dwordx4 v[38:41], v[44:45], off
	v_add_u32_e32 v22, 4, v22
	v_cmp_ge_i32_e32 vcc, v22, v28
	v_add_u32_e32 v24, 12, v24
	s_or_b64 s[0:1], vcc, s[0:1]
	s_waitcnt vmcnt(3)
	v_subrev_u32_e32 v42, s16, v23
	v_lshl_add_u64 v[26:27], v[42:43], 4, s[10:11]
	global_load_dwordx4 v[42:45], v[26:27], off
	s_waitcnt vmcnt(0)
	v_fmac_f64_e32 v[18:19], v[30:31], v[42:43]
	v_fmac_f64_e32 v[12:13], v[32:33], v[42:43]
	;; [unrolled: 1-line block ×6, first 2 shown]
	v_fma_f64 v[18:19], -v[32:33], v[44:45], v[18:19]
	v_fmac_f64_e32 v[12:13], v[30:31], v[44:45]
	v_fma_f64 v[20:21], -v[36:37], v[44:45], v[20:21]
	v_fmac_f64_e32 v[16:17], v[34:35], v[44:45]
	;; [unrolled: 2-line block ×3, first 2 shown]
	s_andn2_b64 exec, exec, s[0:1]
	s_cbranch_execnz .LBB111_17
; %bb.18:
	s_or_b64 exec, exec, s[0:1]
.LBB111_19:
	s_or_b64 exec, exec, s[4:5]
.LBB111_20:
	v_mov_b32_dpp v26, v20 row_shr:1 row_mask:0xf bank_mask:0xf
	v_mov_b32_dpp v27, v21 row_shr:1 row_mask:0xf bank_mask:0xf
	v_add_f64 v[26:27], v[20:21], v[26:27]
	v_mov_b32_dpp v20, v16 row_shr:1 row_mask:0xf bank_mask:0xf
	v_mov_b32_dpp v21, v17 row_shr:1 row_mask:0xf bank_mask:0xf
	v_add_f64 v[30:31], v[16:17], v[20:21]
	v_mov_b32_dpp v16, v14 row_shr:1 row_mask:0xf bank_mask:0xf
	v_mov_b32_dpp v17, v15 row_shr:1 row_mask:0xf bank_mask:0xf
	v_mov_b32_dpp v22, v18 row_shr:1 row_mask:0xf bank_mask:0xf
	v_mov_b32_dpp v23, v19 row_shr:1 row_mask:0xf bank_mask:0xf
	v_mov_b32_dpp v24, v12 row_shr:1 row_mask:0xf bank_mask:0xf
	v_mov_b32_dpp v25, v13 row_shr:1 row_mask:0xf bank_mask:0xf
	v_add_f64 v[14:15], v[14:15], v[16:17]
	v_mov_b32_dpp v16, v10 row_shr:1 row_mask:0xf bank_mask:0xf
	v_mov_b32_dpp v17, v11 row_shr:1 row_mask:0xf bank_mask:0xf
	v_add_f64 v[18:19], v[18:19], v[22:23]
	v_add_f64 v[12:13], v[12:13], v[24:25]
	;; [unrolled: 1-line block ×3, first 2 shown]
	v_mov_b32_dpp v22, v18 row_shr:2 row_mask:0xf bank_mask:0xf
	v_mov_b32_dpp v23, v19 row_shr:2 row_mask:0xf bank_mask:0xf
	;; [unrolled: 1-line block ×12, first 2 shown]
	v_cmp_eq_u32_e32 vcc, 3, v9
	s_and_b64 exec, exec, vcc
	s_cbranch_execz .LBB111_25
; %bb.21:
	s_load_dwordx2 s[2:3], s[2:3], 0x48
	v_cmp_eq_f64_e32 vcc, 0, v[4:5]
	v_cmp_eq_f64_e64 s[0:1], 0, v[6:7]
	v_add_f64 v[16:17], v[18:19], v[22:23]
	v_add_f64 v[20:21], v[12:13], v[24:25]
	;; [unrolled: 1-line block ×6, first 2 shown]
	s_and_b64 s[0:1], vcc, s[0:1]
	s_and_saveexec_b64 s[4:5], s[0:1]
	s_xor_b64 s[0:1], exec, s[4:5]
	s_cbranch_execz .LBB111_23
; %bb.22:
	v_lshl_add_u32 v8, v8, 1, v8
	v_mul_f64 v[4:5], v[20:21], -v[2:3]
	v_mul_f64 v[6:7], v[0:1], v[20:21]
	v_ashrrev_i32_e32 v9, 31, v8
	v_fmac_f64_e32 v[4:5], v[0:1], v[16:17]
	v_fmac_f64_e32 v[6:7], v[2:3], v[16:17]
	s_waitcnt lgkmcnt(0)
	v_lshl_add_u64 v[8:9], v[8:9], 4, s[2:3]
	global_store_dwordx4 v[8:9], v[4:7], off
                                        ; implicit-def: $vgpr16_vgpr17
                                        ; implicit-def: $vgpr20_vgpr21
	s_nop 1
	v_mul_f64 v[4:5], v[18:19], -v[2:3]
	v_mul_f64 v[6:7], v[0:1], v[18:19]
	v_fmac_f64_e32 v[4:5], v[0:1], v[12:13]
	v_fmac_f64_e32 v[6:7], v[2:3], v[12:13]
	global_store_dwordx4 v[8:9], v[4:7], off offset:16
                                        ; implicit-def: $vgpr12_vgpr13
                                        ; implicit-def: $vgpr18_vgpr19
	s_nop 1
	v_mul_f64 v[4:5], v[14:15], -v[2:3]
	v_mul_f64 v[6:7], v[0:1], v[14:15]
	v_fmac_f64_e32 v[4:5], v[0:1], v[10:11]
	v_fmac_f64_e32 v[6:7], v[2:3], v[10:11]
	global_store_dwordx4 v[8:9], v[4:7], off offset:32
                                        ; implicit-def: $vgpr0_vgpr1
                                        ; implicit-def: $vgpr2_vgpr3
                                        ; implicit-def: $vgpr4_vgpr5
                                        ; implicit-def: $vgpr6_vgpr7
                                        ; implicit-def: $vgpr8
                                        ; implicit-def: $vgpr10_vgpr11
                                        ; implicit-def: $vgpr14_vgpr15
.LBB111_23:
	s_andn2_saveexec_b64 s[0:1], s[0:1]
	s_cbranch_execz .LBB111_25
; %bb.24:
	v_lshl_add_u32 v8, v8, 1, v8
	v_ashrrev_i32_e32 v9, 31, v8
	s_waitcnt lgkmcnt(0)
	v_lshl_add_u64 v[38:39], v[8:9], 4, s[2:3]
	global_load_dwordx4 v[22:25], v[38:39], off
	global_load_dwordx4 v[26:29], v[38:39], off offset:16
	global_load_dwordx4 v[30:33], v[38:39], off offset:32
	v_mul_f64 v[34:35], v[20:21], -v[2:3]
	v_mul_f64 v[20:21], v[0:1], v[20:21]
	v_mul_f64 v[40:41], v[18:19], -v[2:3]
	v_mul_f64 v[36:37], v[0:1], v[18:19]
	;; [unrolled: 2-line block ×3, first 2 shown]
	v_fmac_f64_e32 v[34:35], v[0:1], v[16:17]
	v_fmac_f64_e32 v[20:21], v[2:3], v[16:17]
	;; [unrolled: 1-line block ×6, first 2 shown]
	s_waitcnt vmcnt(2)
	v_fmac_f64_e32 v[34:35], v[4:5], v[22:23]
	v_fmac_f64_e32 v[20:21], v[6:7], v[22:23]
	s_waitcnt vmcnt(1)
	v_fmac_f64_e32 v[40:41], v[4:5], v[26:27]
	v_fmac_f64_e32 v[36:37], v[6:7], v[26:27]
	;; [unrolled: 3-line block ×3, first 2 shown]
	v_fma_f64 v[18:19], -v[6:7], v[24:25], v[34:35]
	v_fmac_f64_e32 v[20:21], v[4:5], v[24:25]
	v_fma_f64 v[34:35], -v[6:7], v[28:29], v[40:41]
	v_fmac_f64_e32 v[36:37], v[4:5], v[28:29]
	;; [unrolled: 2-line block ×3, first 2 shown]
	global_store_dwordx4 v[38:39], v[18:21], off
	global_store_dwordx4 v[38:39], v[34:37], off offset:16
	global_store_dwordx4 v[38:39], v[6:9], off offset:32
.LBB111_25:
	s_endpgm
	.section	.rodata,"a",@progbits
	.p2align	6, 0x0
	.amdhsa_kernel _ZN9rocsparseL19gebsrmvn_3xn_kernelILj128ELj1ELj4E21rocsparse_complex_numIdEEEvi20rocsparse_direction_NS_24const_host_device_scalarIT2_EEPKiS8_PKS5_SA_S6_PS5_21rocsparse_index_base_b
		.amdhsa_group_segment_fixed_size 2048
		.amdhsa_private_segment_fixed_size 0
		.amdhsa_kernarg_size 88
		.amdhsa_user_sgpr_count 4
		.amdhsa_user_sgpr_dispatch_ptr 1
		.amdhsa_user_sgpr_queue_ptr 0
		.amdhsa_user_sgpr_kernarg_segment_ptr 1
		.amdhsa_user_sgpr_dispatch_id 0
		.amdhsa_user_sgpr_kernarg_preload_length 0
		.amdhsa_user_sgpr_kernarg_preload_offset 0
		.amdhsa_user_sgpr_private_segment_size 0
		.amdhsa_uses_dynamic_stack 0
		.amdhsa_enable_private_segment 0
		.amdhsa_system_sgpr_workgroup_id_x 1
		.amdhsa_system_sgpr_workgroup_id_y 0
		.amdhsa_system_sgpr_workgroup_id_z 0
		.amdhsa_system_sgpr_workgroup_info 0
		.amdhsa_system_vgpr_workitem_id 2
		.amdhsa_next_free_vgpr 48
		.amdhsa_next_free_sgpr 20
		.amdhsa_accum_offset 48
		.amdhsa_reserve_vcc 1
		.amdhsa_float_round_mode_32 0
		.amdhsa_float_round_mode_16_64 0
		.amdhsa_float_denorm_mode_32 3
		.amdhsa_float_denorm_mode_16_64 3
		.amdhsa_dx10_clamp 1
		.amdhsa_ieee_mode 1
		.amdhsa_fp16_overflow 0
		.amdhsa_tg_split 0
		.amdhsa_exception_fp_ieee_invalid_op 0
		.amdhsa_exception_fp_denorm_src 0
		.amdhsa_exception_fp_ieee_div_zero 0
		.amdhsa_exception_fp_ieee_overflow 0
		.amdhsa_exception_fp_ieee_underflow 0
		.amdhsa_exception_fp_ieee_inexact 0
		.amdhsa_exception_int_div_zero 0
	.end_amdhsa_kernel
	.section	.text._ZN9rocsparseL19gebsrmvn_3xn_kernelILj128ELj1ELj4E21rocsparse_complex_numIdEEEvi20rocsparse_direction_NS_24const_host_device_scalarIT2_EEPKiS8_PKS5_SA_S6_PS5_21rocsparse_index_base_b,"axG",@progbits,_ZN9rocsparseL19gebsrmvn_3xn_kernelILj128ELj1ELj4E21rocsparse_complex_numIdEEEvi20rocsparse_direction_NS_24const_host_device_scalarIT2_EEPKiS8_PKS5_SA_S6_PS5_21rocsparse_index_base_b,comdat
.Lfunc_end111:
	.size	_ZN9rocsparseL19gebsrmvn_3xn_kernelILj128ELj1ELj4E21rocsparse_complex_numIdEEEvi20rocsparse_direction_NS_24const_host_device_scalarIT2_EEPKiS8_PKS5_SA_S6_PS5_21rocsparse_index_base_b, .Lfunc_end111-_ZN9rocsparseL19gebsrmvn_3xn_kernelILj128ELj1ELj4E21rocsparse_complex_numIdEEEvi20rocsparse_direction_NS_24const_host_device_scalarIT2_EEPKiS8_PKS5_SA_S6_PS5_21rocsparse_index_base_b
                                        ; -- End function
	.section	.AMDGPU.csdata,"",@progbits
; Kernel info:
; codeLenInByte = 1672
; NumSgprs: 26
; NumVgprs: 48
; NumAgprs: 0
; TotalNumVgprs: 48
; ScratchSize: 0
; MemoryBound: 0
; FloatMode: 240
; IeeeMode: 1
; LDSByteSize: 2048 bytes/workgroup (compile time only)
; SGPRBlocks: 3
; VGPRBlocks: 5
; NumSGPRsForWavesPerEU: 26
; NumVGPRsForWavesPerEU: 48
; AccumOffset: 48
; Occupancy: 8
; WaveLimiterHint : 1
; COMPUTE_PGM_RSRC2:SCRATCH_EN: 0
; COMPUTE_PGM_RSRC2:USER_SGPR: 4
; COMPUTE_PGM_RSRC2:TRAP_HANDLER: 0
; COMPUTE_PGM_RSRC2:TGID_X_EN: 1
; COMPUTE_PGM_RSRC2:TGID_Y_EN: 0
; COMPUTE_PGM_RSRC2:TGID_Z_EN: 0
; COMPUTE_PGM_RSRC2:TIDIG_COMP_CNT: 2
; COMPUTE_PGM_RSRC3_GFX90A:ACCUM_OFFSET: 11
; COMPUTE_PGM_RSRC3_GFX90A:TG_SPLIT: 0
	.section	.text._ZN9rocsparseL19gebsrmvn_3xn_kernelILj128ELj1ELj8E21rocsparse_complex_numIdEEEvi20rocsparse_direction_NS_24const_host_device_scalarIT2_EEPKiS8_PKS5_SA_S6_PS5_21rocsparse_index_base_b,"axG",@progbits,_ZN9rocsparseL19gebsrmvn_3xn_kernelILj128ELj1ELj8E21rocsparse_complex_numIdEEEvi20rocsparse_direction_NS_24const_host_device_scalarIT2_EEPKiS8_PKS5_SA_S6_PS5_21rocsparse_index_base_b,comdat
	.globl	_ZN9rocsparseL19gebsrmvn_3xn_kernelILj128ELj1ELj8E21rocsparse_complex_numIdEEEvi20rocsparse_direction_NS_24const_host_device_scalarIT2_EEPKiS8_PKS5_SA_S6_PS5_21rocsparse_index_base_b ; -- Begin function _ZN9rocsparseL19gebsrmvn_3xn_kernelILj128ELj1ELj8E21rocsparse_complex_numIdEEEvi20rocsparse_direction_NS_24const_host_device_scalarIT2_EEPKiS8_PKS5_SA_S6_PS5_21rocsparse_index_base_b
	.p2align	8
	.type	_ZN9rocsparseL19gebsrmvn_3xn_kernelILj128ELj1ELj8E21rocsparse_complex_numIdEEEvi20rocsparse_direction_NS_24const_host_device_scalarIT2_EEPKiS8_PKS5_SA_S6_PS5_21rocsparse_index_base_b,@function
_ZN9rocsparseL19gebsrmvn_3xn_kernelILj128ELj1ELj8E21rocsparse_complex_numIdEEEvi20rocsparse_direction_NS_24const_host_device_scalarIT2_EEPKiS8_PKS5_SA_S6_PS5_21rocsparse_index_base_b: ; @_ZN9rocsparseL19gebsrmvn_3xn_kernelILj128ELj1ELj8E21rocsparse_complex_numIdEEEvi20rocsparse_direction_NS_24const_host_device_scalarIT2_EEPKiS8_PKS5_SA_S6_PS5_21rocsparse_index_base_b
; %bb.0:
	s_load_dwordx2 s[16:17], s[2:3], 0x50
	s_load_dwordx4 s[12:15], s[2:3], 0x8
	s_load_dwordx4 s[8:11], s[2:3], 0x38
	s_load_dwordx2 s[18:19], s[0:1], 0x4
	s_mov_b64 s[6:7], src_shared_base
	s_waitcnt lgkmcnt(0)
	s_bitcmp1_b32 s17, 0
	s_cselect_b64 s[0:1], -1, 0
	s_and_b64 vcc, s[0:1], exec
	s_cselect_b32 s5, s7, s13
	s_lshr_b32 s6, s18, 16
	v_bfe_u32 v1, v0, 10, 10
	v_and_b32_e32 v10, 0x3ff, v0
	s_mul_i32 s6, s6, s19
	v_mul_u32_u24_e32 v1, s19, v1
	v_mad_u32_u24 v1, s6, v10, v1
	v_bfe_u32 v0, v0, 20, 10
	v_add_lshl_u32 v4, v1, v0, 3
	v_mov_b32_e32 v5, s12
	v_add_u32_e32 v6, 0x400, v4
	v_mov_b64_e32 v[0:1], s[12:13]
	v_mov_b64_e32 v[2:3], s[8:9]
	ds_write2st64_b64 v4, v[2:3], v[0:1] offset1:2
	v_cndmask_b32_e64 v0, v5, v6, s[0:1]
	v_mov_b32_e32 v1, s5
	flat_load_dwordx2 v[0:1], v[0:1]
	s_xor_b64 s[18:19], s[0:1], -1
	v_mov_b64_e32 v[2:3], s[14:15]
	s_cbranch_vccnz .LBB112_2
; %bb.1:
	v_mov_b64_e32 v[2:3], s[12:13]
	flat_load_dwordx2 v[2:3], v[2:3] offset:8
.LBB112_2:
	s_and_b64 s[12:13], s[0:1], exec
	s_cselect_b32 s5, s7, s9
	v_mov_b32_e32 v5, s8
	v_cndmask_b32_e64 v4, v5, v4, s[0:1]
	v_mov_b32_e32 v5, s5
	flat_load_dwordx2 v[4:5], v[4:5]
	s_andn2_b64 vcc, exec, s[18:19]
	v_mov_b64_e32 v[6:7], s[10:11]
	s_cbranch_vccnz .LBB112_4
; %bb.3:
	v_mov_b64_e32 v[6:7], s[8:9]
	flat_load_dwordx2 v[6:7], v[6:7] offset:8
.LBB112_4:
	s_waitcnt vmcnt(0) lgkmcnt(0)
	v_cmp_eq_f64_e32 vcc, 0, v[0:1]
	v_cmp_eq_f64_e64 s[0:1], 0, v[2:3]
	s_and_b64 s[8:9], vcc, s[0:1]
	s_mov_b64 s[0:1], -1
	s_and_saveexec_b64 s[6:7], s[8:9]
; %bb.5:
	v_cmp_neq_f64_e32 vcc, 1.0, v[4:5]
	v_cmp_neq_f64_e64 s[0:1], 0, v[6:7]
	s_or_b64 s[0:1], vcc, s[0:1]
	s_orn2_b64 s[0:1], s[0:1], exec
; %bb.6:
	s_or_b64 exec, exec, s[6:7]
	s_and_saveexec_b64 s[6:7], s[0:1]
	s_cbranch_execz .LBB112_25
; %bb.7:
	s_load_dwordx2 s[0:1], s[2:3], 0x0
	v_lshrrev_b32_e32 v8, 3, v10
	v_lshl_or_b32 v8, s4, 4, v8
	s_waitcnt lgkmcnt(0)
	v_cmp_gt_i32_e32 vcc, s0, v8
	s_and_b64 exec, exec, vcc
	s_cbranch_execz .LBB112_25
; %bb.8:
	s_load_dwordx8 s[4:11], s[2:3], 0x18
	v_ashrrev_i32_e32 v9, 31, v8
	s_cmp_lg_u32 s1, 0
	s_waitcnt lgkmcnt(0)
	v_lshl_add_u64 v[12:13], v[8:9], 2, s[4:5]
	global_load_dwordx2 v[12:13], v[12:13], off
	v_and_b32_e32 v9, 7, v10
	s_waitcnt vmcnt(0)
	v_subrev_u32_e32 v10, s16, v12
	v_subrev_u32_e32 v28, s16, v13
	v_add_u32_e32 v22, v10, v9
	v_cmp_lt_i32_e64 s[0:1], v22, v28
	s_cbranch_scc0 .LBB112_14
; %bb.9:
	v_mov_b64_e32 v[14:15], 0
	s_mov_b64 s[4:5], 0
	v_mov_b64_e32 v[20:21], v[14:15]
	v_mov_b64_e32 v[12:13], v[14:15]
	;; [unrolled: 1-line block ×5, first 2 shown]
	s_and_saveexec_b64 s[12:13], s[0:1]
	s_cbranch_execz .LBB112_13
; %bb.10:
	v_mov_b64_e32 v[14:15], 0
	v_lshl_add_u32 v24, v22, 1, v22
	s_mov_b64 s[14:15], 0
	v_mov_b32_e32 v25, 0
	v_mov_b32_e32 v26, v22
	v_mov_b64_e32 v[20:21], v[14:15]
	v_mov_b64_e32 v[12:13], v[14:15]
	;; [unrolled: 1-line block ×5, first 2 shown]
.LBB112_11:                             ; =>This Inner Loop Header: Depth=1
	v_ashrrev_i32_e32 v27, 31, v26
	v_lshl_add_u64 v[30:31], v[26:27], 2, s[6:7]
	global_load_dword v23, v[30:31], off
	v_mov_b32_e32 v43, v25
	v_add_u32_e32 v34, 1, v24
	v_mov_b32_e32 v35, v25
	v_lshl_add_u64 v[30:31], v[24:25], 4, s[8:9]
	v_add_u32_e32 v36, 2, v24
	v_mov_b32_e32 v37, v25
	v_lshl_add_u64 v[44:45], v[34:35], 4, s[8:9]
	global_load_dwordx4 v[30:33], v[30:31], off
	v_lshl_add_u64 v[46:47], v[36:37], 4, s[8:9]
	global_load_dwordx4 v[34:37], v[44:45], off
	global_load_dwordx4 v[38:41], v[46:47], off
	v_add_u32_e32 v26, 8, v26
	v_cmp_ge_i32_e32 vcc, v26, v28
	v_add_u32_e32 v24, 24, v24
	s_or_b64 s[14:15], vcc, s[14:15]
	s_waitcnt vmcnt(3)
	v_subrev_u32_e32 v42, s16, v23
	v_lshl_add_u64 v[42:43], v[42:43], 4, s[10:11]
	global_load_dwordx4 v[42:45], v[42:43], off
	s_waitcnt vmcnt(0)
	v_fmac_f64_e32 v[20:21], v[30:31], v[42:43]
	v_fmac_f64_e32 v[14:15], v[32:33], v[42:43]
	;; [unrolled: 1-line block ×6, first 2 shown]
	v_fma_f64 v[20:21], -v[32:33], v[44:45], v[20:21]
	v_fmac_f64_e32 v[14:15], v[30:31], v[44:45]
	v_fma_f64 v[18:19], -v[36:37], v[44:45], v[18:19]
	v_fmac_f64_e32 v[16:17], v[34:35], v[44:45]
	;; [unrolled: 2-line block ×3, first 2 shown]
	s_andn2_b64 exec, exec, s[14:15]
	s_cbranch_execnz .LBB112_11
; %bb.12:
	s_or_b64 exec, exec, s[14:15]
.LBB112_13:
	s_or_b64 exec, exec, s[12:13]
	s_andn2_b64 vcc, exec, s[4:5]
	s_cbranch_vccz .LBB112_15
	s_branch .LBB112_20
.LBB112_14:
                                        ; implicit-def: $vgpr14_vgpr15
                                        ; implicit-def: $vgpr20_vgpr21
                                        ; implicit-def: $vgpr12_vgpr13
                                        ; implicit-def: $vgpr10_vgpr11
                                        ; implicit-def: $vgpr18_vgpr19
                                        ; implicit-def: $vgpr16_vgpr17
.LBB112_15:
	v_mov_b64_e32 v[14:15], 0
	v_mov_b64_e32 v[20:21], v[14:15]
	;; [unrolled: 1-line block ×6, first 2 shown]
	s_and_saveexec_b64 s[4:5], s[0:1]
	s_cbranch_execz .LBB112_19
; %bb.16:
	v_mov_b64_e32 v[14:15], 0
	v_lshl_add_u32 v24, v22, 1, v22
	s_mov_b64 s[0:1], 0
	v_mov_b32_e32 v25, 0
	v_mov_b64_e32 v[20:21], v[14:15]
	v_mov_b64_e32 v[12:13], v[14:15]
	;; [unrolled: 1-line block ×5, first 2 shown]
.LBB112_17:                             ; =>This Inner Loop Header: Depth=1
	v_ashrrev_i32_e32 v23, 31, v22
	v_lshl_add_u64 v[26:27], v[22:23], 2, s[6:7]
	global_load_dword v23, v[26:27], off
	v_lshl_add_u64 v[26:27], v[24:25], 4, s[8:9]
	v_add_u32_e32 v34, 1, v24
	v_mov_b32_e32 v35, v25
	v_mov_b32_e32 v43, v25
	v_add_u32_e32 v36, 2, v24
	v_mov_b32_e32 v37, v25
	global_load_dwordx4 v[30:33], v[26:27], off
	v_lshl_add_u64 v[26:27], v[34:35], 4, s[8:9]
	v_lshl_add_u64 v[44:45], v[36:37], 4, s[8:9]
	global_load_dwordx4 v[34:37], v[26:27], off
	global_load_dwordx4 v[38:41], v[44:45], off
	v_add_u32_e32 v22, 8, v22
	v_cmp_ge_i32_e32 vcc, v22, v28
	v_add_u32_e32 v24, 24, v24
	s_or_b64 s[0:1], vcc, s[0:1]
	s_waitcnt vmcnt(3)
	v_subrev_u32_e32 v42, s16, v23
	v_lshl_add_u64 v[26:27], v[42:43], 4, s[10:11]
	global_load_dwordx4 v[42:45], v[26:27], off
	s_waitcnt vmcnt(0)
	v_fmac_f64_e32 v[20:21], v[30:31], v[42:43]
	v_fmac_f64_e32 v[14:15], v[32:33], v[42:43]
	;; [unrolled: 1-line block ×6, first 2 shown]
	v_fma_f64 v[20:21], -v[32:33], v[44:45], v[20:21]
	v_fmac_f64_e32 v[14:15], v[30:31], v[44:45]
	v_fma_f64 v[18:19], -v[36:37], v[44:45], v[18:19]
	v_fmac_f64_e32 v[16:17], v[34:35], v[44:45]
	;; [unrolled: 2-line block ×3, first 2 shown]
	s_andn2_b64 exec, exec, s[0:1]
	s_cbranch_execnz .LBB112_17
; %bb.18:
	s_or_b64 exec, exec, s[0:1]
.LBB112_19:
	s_or_b64 exec, exec, s[4:5]
.LBB112_20:
	v_mov_b32_dpp v28, v16 row_shr:1 row_mask:0xf bank_mask:0xf
	v_mov_b32_dpp v29, v17 row_shr:1 row_mask:0xf bank_mask:0xf
	v_add_f64 v[16:17], v[16:17], v[28:29]
	v_mov_b32_dpp v22, v20 row_shr:1 row_mask:0xf bank_mask:0xf
	v_mov_b32_dpp v23, v21 row_shr:1 row_mask:0xf bank_mask:0xf
	;; [unrolled: 1-line block ×4, first 2 shown]
	v_add_f64 v[28:29], v[16:17], v[28:29]
	v_mov_b32_dpp v16, v12 row_shr:1 row_mask:0xf bank_mask:0xf
	v_mov_b32_dpp v17, v13 row_shr:1 row_mask:0xf bank_mask:0xf
	v_add_f64 v[12:13], v[12:13], v[16:17]
	v_mov_b32_dpp v24, v14 row_shr:1 row_mask:0xf bank_mask:0xf
	v_mov_b32_dpp v25, v15 row_shr:1 row_mask:0xf bank_mask:0xf
	;; [unrolled: 1-line block ×6, first 2 shown]
	v_add_f64 v[32:33], v[12:13], v[16:17]
	v_mov_b32_dpp v12, v10 row_shr:1 row_mask:0xf bank_mask:0xf
	v_mov_b32_dpp v13, v11 row_shr:1 row_mask:0xf bank_mask:0xf
	v_add_f64 v[20:21], v[20:21], v[22:23]
	v_add_f64 v[14:15], v[14:15], v[24:25]
	;; [unrolled: 1-line block ×4, first 2 shown]
	v_mov_b32_dpp v22, v20 row_shr:2 row_mask:0xf bank_mask:0xf
	v_mov_b32_dpp v23, v21 row_shr:2 row_mask:0xf bank_mask:0xf
	;; [unrolled: 1-line block ×8, first 2 shown]
	v_add_f64 v[20:21], v[20:21], v[22:23]
	v_add_f64 v[14:15], v[14:15], v[24:25]
	;; [unrolled: 1-line block ×4, first 2 shown]
	v_mov_b32_dpp v22, v20 row_shr:4 row_mask:0xf bank_mask:0xe
	v_mov_b32_dpp v23, v21 row_shr:4 row_mask:0xf bank_mask:0xe
	;; [unrolled: 1-line block ×12, first 2 shown]
	v_cmp_eq_u32_e32 vcc, 7, v9
	s_and_b64 exec, exec, vcc
	s_cbranch_execz .LBB112_25
; %bb.21:
	s_load_dwordx2 s[2:3], s[2:3], 0x48
	v_cmp_eq_f64_e32 vcc, 0, v[4:5]
	v_cmp_eq_f64_e64 s[0:1], 0, v[6:7]
	v_add_f64 v[16:17], v[20:21], v[22:23]
	v_add_f64 v[20:21], v[14:15], v[24:25]
	;; [unrolled: 1-line block ×6, first 2 shown]
	s_and_b64 s[0:1], vcc, s[0:1]
	s_and_saveexec_b64 s[4:5], s[0:1]
	s_xor_b64 s[0:1], exec, s[4:5]
	s_cbranch_execz .LBB112_23
; %bb.22:
	v_lshl_add_u32 v8, v8, 1, v8
	v_mul_f64 v[4:5], v[20:21], -v[2:3]
	v_mul_f64 v[6:7], v[0:1], v[20:21]
	v_ashrrev_i32_e32 v9, 31, v8
	v_fmac_f64_e32 v[4:5], v[0:1], v[16:17]
	v_fmac_f64_e32 v[6:7], v[2:3], v[16:17]
	s_waitcnt lgkmcnt(0)
	v_lshl_add_u64 v[8:9], v[8:9], 4, s[2:3]
	global_store_dwordx4 v[8:9], v[4:7], off
                                        ; implicit-def: $vgpr16_vgpr17
                                        ; implicit-def: $vgpr20_vgpr21
	s_nop 1
	v_mul_f64 v[4:5], v[18:19], -v[2:3]
	v_mul_f64 v[6:7], v[0:1], v[18:19]
	v_fmac_f64_e32 v[4:5], v[0:1], v[12:13]
	v_fmac_f64_e32 v[6:7], v[2:3], v[12:13]
	global_store_dwordx4 v[8:9], v[4:7], off offset:16
                                        ; implicit-def: $vgpr12_vgpr13
                                        ; implicit-def: $vgpr18_vgpr19
	s_nop 1
	v_mul_f64 v[4:5], v[14:15], -v[2:3]
	v_mul_f64 v[6:7], v[0:1], v[14:15]
	v_fmac_f64_e32 v[4:5], v[0:1], v[10:11]
	v_fmac_f64_e32 v[6:7], v[2:3], v[10:11]
	global_store_dwordx4 v[8:9], v[4:7], off offset:32
                                        ; implicit-def: $vgpr0_vgpr1
                                        ; implicit-def: $vgpr2_vgpr3
                                        ; implicit-def: $vgpr4_vgpr5
                                        ; implicit-def: $vgpr6_vgpr7
                                        ; implicit-def: $vgpr8
                                        ; implicit-def: $vgpr10_vgpr11
                                        ; implicit-def: $vgpr14_vgpr15
.LBB112_23:
	s_andn2_saveexec_b64 s[0:1], s[0:1]
	s_cbranch_execz .LBB112_25
; %bb.24:
	v_lshl_add_u32 v8, v8, 1, v8
	v_ashrrev_i32_e32 v9, 31, v8
	s_waitcnt lgkmcnt(0)
	v_lshl_add_u64 v[38:39], v[8:9], 4, s[2:3]
	global_load_dwordx4 v[22:25], v[38:39], off
	global_load_dwordx4 v[26:29], v[38:39], off offset:16
	global_load_dwordx4 v[30:33], v[38:39], off offset:32
	v_mul_f64 v[34:35], v[20:21], -v[2:3]
	v_mul_f64 v[20:21], v[0:1], v[20:21]
	v_mul_f64 v[40:41], v[18:19], -v[2:3]
	v_mul_f64 v[36:37], v[0:1], v[18:19]
	;; [unrolled: 2-line block ×3, first 2 shown]
	v_fmac_f64_e32 v[34:35], v[0:1], v[16:17]
	v_fmac_f64_e32 v[20:21], v[2:3], v[16:17]
	;; [unrolled: 1-line block ×6, first 2 shown]
	s_waitcnt vmcnt(2)
	v_fmac_f64_e32 v[34:35], v[4:5], v[22:23]
	v_fmac_f64_e32 v[20:21], v[6:7], v[22:23]
	s_waitcnt vmcnt(1)
	v_fmac_f64_e32 v[40:41], v[4:5], v[26:27]
	v_fmac_f64_e32 v[36:37], v[6:7], v[26:27]
	;; [unrolled: 3-line block ×3, first 2 shown]
	v_fma_f64 v[18:19], -v[6:7], v[24:25], v[34:35]
	v_fmac_f64_e32 v[20:21], v[4:5], v[24:25]
	v_fma_f64 v[34:35], -v[6:7], v[28:29], v[40:41]
	v_fmac_f64_e32 v[36:37], v[4:5], v[28:29]
	;; [unrolled: 2-line block ×3, first 2 shown]
	global_store_dwordx4 v[38:39], v[18:21], off
	global_store_dwordx4 v[38:39], v[34:37], off offset:16
	global_store_dwordx4 v[38:39], v[6:9], off offset:32
.LBB112_25:
	s_endpgm
	.section	.rodata,"a",@progbits
	.p2align	6, 0x0
	.amdhsa_kernel _ZN9rocsparseL19gebsrmvn_3xn_kernelILj128ELj1ELj8E21rocsparse_complex_numIdEEEvi20rocsparse_direction_NS_24const_host_device_scalarIT2_EEPKiS8_PKS5_SA_S6_PS5_21rocsparse_index_base_b
		.amdhsa_group_segment_fixed_size 2048
		.amdhsa_private_segment_fixed_size 0
		.amdhsa_kernarg_size 88
		.amdhsa_user_sgpr_count 4
		.amdhsa_user_sgpr_dispatch_ptr 1
		.amdhsa_user_sgpr_queue_ptr 0
		.amdhsa_user_sgpr_kernarg_segment_ptr 1
		.amdhsa_user_sgpr_dispatch_id 0
		.amdhsa_user_sgpr_kernarg_preload_length 0
		.amdhsa_user_sgpr_kernarg_preload_offset 0
		.amdhsa_user_sgpr_private_segment_size 0
		.amdhsa_uses_dynamic_stack 0
		.amdhsa_enable_private_segment 0
		.amdhsa_system_sgpr_workgroup_id_x 1
		.amdhsa_system_sgpr_workgroup_id_y 0
		.amdhsa_system_sgpr_workgroup_id_z 0
		.amdhsa_system_sgpr_workgroup_info 0
		.amdhsa_system_vgpr_workitem_id 2
		.amdhsa_next_free_vgpr 48
		.amdhsa_next_free_sgpr 20
		.amdhsa_accum_offset 48
		.amdhsa_reserve_vcc 1
		.amdhsa_float_round_mode_32 0
		.amdhsa_float_round_mode_16_64 0
		.amdhsa_float_denorm_mode_32 3
		.amdhsa_float_denorm_mode_16_64 3
		.amdhsa_dx10_clamp 1
		.amdhsa_ieee_mode 1
		.amdhsa_fp16_overflow 0
		.amdhsa_tg_split 0
		.amdhsa_exception_fp_ieee_invalid_op 0
		.amdhsa_exception_fp_denorm_src 0
		.amdhsa_exception_fp_ieee_div_zero 0
		.amdhsa_exception_fp_ieee_overflow 0
		.amdhsa_exception_fp_ieee_underflow 0
		.amdhsa_exception_fp_ieee_inexact 0
		.amdhsa_exception_int_div_zero 0
	.end_amdhsa_kernel
	.section	.text._ZN9rocsparseL19gebsrmvn_3xn_kernelILj128ELj1ELj8E21rocsparse_complex_numIdEEEvi20rocsparse_direction_NS_24const_host_device_scalarIT2_EEPKiS8_PKS5_SA_S6_PS5_21rocsparse_index_base_b,"axG",@progbits,_ZN9rocsparseL19gebsrmvn_3xn_kernelILj128ELj1ELj8E21rocsparse_complex_numIdEEEvi20rocsparse_direction_NS_24const_host_device_scalarIT2_EEPKiS8_PKS5_SA_S6_PS5_21rocsparse_index_base_b,comdat
.Lfunc_end112:
	.size	_ZN9rocsparseL19gebsrmvn_3xn_kernelILj128ELj1ELj8E21rocsparse_complex_numIdEEEvi20rocsparse_direction_NS_24const_host_device_scalarIT2_EEPKiS8_PKS5_SA_S6_PS5_21rocsparse_index_base_b, .Lfunc_end112-_ZN9rocsparseL19gebsrmvn_3xn_kernelILj128ELj1ELj8E21rocsparse_complex_numIdEEEvi20rocsparse_direction_NS_24const_host_device_scalarIT2_EEPKiS8_PKS5_SA_S6_PS5_21rocsparse_index_base_b
                                        ; -- End function
	.section	.AMDGPU.csdata,"",@progbits
; Kernel info:
; codeLenInByte = 1816
; NumSgprs: 26
; NumVgprs: 48
; NumAgprs: 0
; TotalNumVgprs: 48
; ScratchSize: 0
; MemoryBound: 0
; FloatMode: 240
; IeeeMode: 1
; LDSByteSize: 2048 bytes/workgroup (compile time only)
; SGPRBlocks: 3
; VGPRBlocks: 5
; NumSGPRsForWavesPerEU: 26
; NumVGPRsForWavesPerEU: 48
; AccumOffset: 48
; Occupancy: 8
; WaveLimiterHint : 1
; COMPUTE_PGM_RSRC2:SCRATCH_EN: 0
; COMPUTE_PGM_RSRC2:USER_SGPR: 4
; COMPUTE_PGM_RSRC2:TRAP_HANDLER: 0
; COMPUTE_PGM_RSRC2:TGID_X_EN: 1
; COMPUTE_PGM_RSRC2:TGID_Y_EN: 0
; COMPUTE_PGM_RSRC2:TGID_Z_EN: 0
; COMPUTE_PGM_RSRC2:TIDIG_COMP_CNT: 2
; COMPUTE_PGM_RSRC3_GFX90A:ACCUM_OFFSET: 11
; COMPUTE_PGM_RSRC3_GFX90A:TG_SPLIT: 0
	.section	.text._ZN9rocsparseL19gebsrmvn_3xn_kernelILj128ELj1ELj16E21rocsparse_complex_numIdEEEvi20rocsparse_direction_NS_24const_host_device_scalarIT2_EEPKiS8_PKS5_SA_S6_PS5_21rocsparse_index_base_b,"axG",@progbits,_ZN9rocsparseL19gebsrmvn_3xn_kernelILj128ELj1ELj16E21rocsparse_complex_numIdEEEvi20rocsparse_direction_NS_24const_host_device_scalarIT2_EEPKiS8_PKS5_SA_S6_PS5_21rocsparse_index_base_b,comdat
	.globl	_ZN9rocsparseL19gebsrmvn_3xn_kernelILj128ELj1ELj16E21rocsparse_complex_numIdEEEvi20rocsparse_direction_NS_24const_host_device_scalarIT2_EEPKiS8_PKS5_SA_S6_PS5_21rocsparse_index_base_b ; -- Begin function _ZN9rocsparseL19gebsrmvn_3xn_kernelILj128ELj1ELj16E21rocsparse_complex_numIdEEEvi20rocsparse_direction_NS_24const_host_device_scalarIT2_EEPKiS8_PKS5_SA_S6_PS5_21rocsparse_index_base_b
	.p2align	8
	.type	_ZN9rocsparseL19gebsrmvn_3xn_kernelILj128ELj1ELj16E21rocsparse_complex_numIdEEEvi20rocsparse_direction_NS_24const_host_device_scalarIT2_EEPKiS8_PKS5_SA_S6_PS5_21rocsparse_index_base_b,@function
_ZN9rocsparseL19gebsrmvn_3xn_kernelILj128ELj1ELj16E21rocsparse_complex_numIdEEEvi20rocsparse_direction_NS_24const_host_device_scalarIT2_EEPKiS8_PKS5_SA_S6_PS5_21rocsparse_index_base_b: ; @_ZN9rocsparseL19gebsrmvn_3xn_kernelILj128ELj1ELj16E21rocsparse_complex_numIdEEEvi20rocsparse_direction_NS_24const_host_device_scalarIT2_EEPKiS8_PKS5_SA_S6_PS5_21rocsparse_index_base_b
; %bb.0:
	s_load_dwordx2 s[16:17], s[2:3], 0x50
	s_load_dwordx4 s[12:15], s[2:3], 0x8
	s_load_dwordx4 s[8:11], s[2:3], 0x38
	s_load_dwordx2 s[18:19], s[0:1], 0x4
	s_mov_b64 s[6:7], src_shared_base
	s_waitcnt lgkmcnt(0)
	s_bitcmp1_b32 s17, 0
	s_cselect_b64 s[0:1], -1, 0
	s_and_b64 vcc, s[0:1], exec
	s_cselect_b32 s5, s7, s13
	s_lshr_b32 s6, s18, 16
	v_bfe_u32 v1, v0, 10, 10
	v_and_b32_e32 v10, 0x3ff, v0
	s_mul_i32 s6, s6, s19
	v_mul_u32_u24_e32 v1, s19, v1
	v_mad_u32_u24 v1, s6, v10, v1
	v_bfe_u32 v0, v0, 20, 10
	v_add_lshl_u32 v4, v1, v0, 3
	v_mov_b32_e32 v5, s12
	v_add_u32_e32 v6, 0x400, v4
	v_mov_b64_e32 v[0:1], s[12:13]
	v_mov_b64_e32 v[2:3], s[8:9]
	ds_write2st64_b64 v4, v[2:3], v[0:1] offset1:2
	v_cndmask_b32_e64 v0, v5, v6, s[0:1]
	v_mov_b32_e32 v1, s5
	flat_load_dwordx2 v[0:1], v[0:1]
	s_xor_b64 s[18:19], s[0:1], -1
	v_mov_b64_e32 v[2:3], s[14:15]
	s_cbranch_vccnz .LBB113_2
; %bb.1:
	v_mov_b64_e32 v[2:3], s[12:13]
	flat_load_dwordx2 v[2:3], v[2:3] offset:8
.LBB113_2:
	s_and_b64 s[12:13], s[0:1], exec
	s_cselect_b32 s5, s7, s9
	v_mov_b32_e32 v5, s8
	v_cndmask_b32_e64 v4, v5, v4, s[0:1]
	v_mov_b32_e32 v5, s5
	flat_load_dwordx2 v[4:5], v[4:5]
	s_andn2_b64 vcc, exec, s[18:19]
	v_mov_b64_e32 v[6:7], s[10:11]
	s_cbranch_vccnz .LBB113_4
; %bb.3:
	v_mov_b64_e32 v[6:7], s[8:9]
	flat_load_dwordx2 v[6:7], v[6:7] offset:8
.LBB113_4:
	s_waitcnt vmcnt(0) lgkmcnt(0)
	v_cmp_eq_f64_e32 vcc, 0, v[0:1]
	v_cmp_eq_f64_e64 s[0:1], 0, v[2:3]
	s_and_b64 s[8:9], vcc, s[0:1]
	s_mov_b64 s[0:1], -1
	s_and_saveexec_b64 s[6:7], s[8:9]
; %bb.5:
	v_cmp_neq_f64_e32 vcc, 1.0, v[4:5]
	v_cmp_neq_f64_e64 s[0:1], 0, v[6:7]
	s_or_b64 s[0:1], vcc, s[0:1]
	s_orn2_b64 s[0:1], s[0:1], exec
; %bb.6:
	s_or_b64 exec, exec, s[6:7]
	s_and_saveexec_b64 s[6:7], s[0:1]
	s_cbranch_execz .LBB113_25
; %bb.7:
	s_load_dwordx2 s[0:1], s[2:3], 0x0
	v_lshrrev_b32_e32 v8, 4, v10
	v_lshl_or_b32 v8, s4, 3, v8
	s_waitcnt lgkmcnt(0)
	v_cmp_gt_i32_e32 vcc, s0, v8
	s_and_b64 exec, exec, vcc
	s_cbranch_execz .LBB113_25
; %bb.8:
	s_load_dwordx8 s[4:11], s[2:3], 0x18
	v_ashrrev_i32_e32 v9, 31, v8
	s_cmp_lg_u32 s1, 0
	s_waitcnt lgkmcnt(0)
	v_lshl_add_u64 v[12:13], v[8:9], 2, s[4:5]
	global_load_dwordx2 v[12:13], v[12:13], off
	v_and_b32_e32 v9, 15, v10
	s_waitcnt vmcnt(0)
	v_subrev_u32_e32 v10, s16, v12
	v_subrev_u32_e32 v28, s16, v13
	v_add_u32_e32 v22, v10, v9
	v_cmp_lt_i32_e64 s[0:1], v22, v28
	s_cbranch_scc0 .LBB113_14
; %bb.9:
	v_mov_b64_e32 v[14:15], 0
	s_mov_b64 s[4:5], 0
	v_mov_b64_e32 v[20:21], v[14:15]
	v_mov_b64_e32 v[12:13], v[14:15]
	;; [unrolled: 1-line block ×5, first 2 shown]
	s_and_saveexec_b64 s[12:13], s[0:1]
	s_cbranch_execz .LBB113_13
; %bb.10:
	v_mov_b64_e32 v[14:15], 0
	v_lshl_add_u32 v24, v22, 1, v22
	s_mov_b64 s[14:15], 0
	v_mov_b32_e32 v25, 0
	v_mov_b32_e32 v26, v22
	v_mov_b64_e32 v[20:21], v[14:15]
	v_mov_b64_e32 v[12:13], v[14:15]
	;; [unrolled: 1-line block ×5, first 2 shown]
.LBB113_11:                             ; =>This Inner Loop Header: Depth=1
	v_ashrrev_i32_e32 v27, 31, v26
	v_lshl_add_u64 v[30:31], v[26:27], 2, s[6:7]
	global_load_dword v23, v[30:31], off
	v_mov_b32_e32 v43, v25
	v_add_u32_e32 v34, 1, v24
	v_mov_b32_e32 v35, v25
	v_lshl_add_u64 v[30:31], v[24:25], 4, s[8:9]
	v_add_u32_e32 v36, 2, v24
	v_mov_b32_e32 v37, v25
	v_lshl_add_u64 v[44:45], v[34:35], 4, s[8:9]
	global_load_dwordx4 v[30:33], v[30:31], off
	v_lshl_add_u64 v[46:47], v[36:37], 4, s[8:9]
	global_load_dwordx4 v[34:37], v[44:45], off
	global_load_dwordx4 v[38:41], v[46:47], off
	v_add_u32_e32 v26, 16, v26
	v_cmp_ge_i32_e32 vcc, v26, v28
	v_add_u32_e32 v24, 48, v24
	s_or_b64 s[14:15], vcc, s[14:15]
	s_waitcnt vmcnt(3)
	v_subrev_u32_e32 v42, s16, v23
	v_lshl_add_u64 v[42:43], v[42:43], 4, s[10:11]
	global_load_dwordx4 v[42:45], v[42:43], off
	s_waitcnt vmcnt(0)
	v_fmac_f64_e32 v[20:21], v[30:31], v[42:43]
	v_fmac_f64_e32 v[14:15], v[32:33], v[42:43]
	;; [unrolled: 1-line block ×6, first 2 shown]
	v_fma_f64 v[20:21], -v[32:33], v[44:45], v[20:21]
	v_fmac_f64_e32 v[14:15], v[30:31], v[44:45]
	v_fma_f64 v[18:19], -v[36:37], v[44:45], v[18:19]
	v_fmac_f64_e32 v[16:17], v[34:35], v[44:45]
	;; [unrolled: 2-line block ×3, first 2 shown]
	s_andn2_b64 exec, exec, s[14:15]
	s_cbranch_execnz .LBB113_11
; %bb.12:
	s_or_b64 exec, exec, s[14:15]
.LBB113_13:
	s_or_b64 exec, exec, s[12:13]
	s_andn2_b64 vcc, exec, s[4:5]
	s_cbranch_vccz .LBB113_15
	s_branch .LBB113_20
.LBB113_14:
                                        ; implicit-def: $vgpr14_vgpr15
                                        ; implicit-def: $vgpr20_vgpr21
                                        ; implicit-def: $vgpr12_vgpr13
                                        ; implicit-def: $vgpr10_vgpr11
                                        ; implicit-def: $vgpr18_vgpr19
                                        ; implicit-def: $vgpr16_vgpr17
.LBB113_15:
	v_mov_b64_e32 v[14:15], 0
	v_mov_b64_e32 v[20:21], v[14:15]
	;; [unrolled: 1-line block ×6, first 2 shown]
	s_and_saveexec_b64 s[4:5], s[0:1]
	s_cbranch_execz .LBB113_19
; %bb.16:
	v_mov_b64_e32 v[14:15], 0
	v_lshl_add_u32 v24, v22, 1, v22
	s_mov_b64 s[0:1], 0
	v_mov_b32_e32 v25, 0
	v_mov_b64_e32 v[20:21], v[14:15]
	v_mov_b64_e32 v[12:13], v[14:15]
	;; [unrolled: 1-line block ×5, first 2 shown]
.LBB113_17:                             ; =>This Inner Loop Header: Depth=1
	v_ashrrev_i32_e32 v23, 31, v22
	v_lshl_add_u64 v[26:27], v[22:23], 2, s[6:7]
	global_load_dword v23, v[26:27], off
	v_lshl_add_u64 v[26:27], v[24:25], 4, s[8:9]
	v_add_u32_e32 v34, 1, v24
	v_mov_b32_e32 v35, v25
	v_mov_b32_e32 v43, v25
	v_add_u32_e32 v36, 2, v24
	v_mov_b32_e32 v37, v25
	global_load_dwordx4 v[30:33], v[26:27], off
	v_lshl_add_u64 v[26:27], v[34:35], 4, s[8:9]
	v_lshl_add_u64 v[44:45], v[36:37], 4, s[8:9]
	global_load_dwordx4 v[34:37], v[26:27], off
	global_load_dwordx4 v[38:41], v[44:45], off
	v_add_u32_e32 v22, 16, v22
	v_cmp_ge_i32_e32 vcc, v22, v28
	v_add_u32_e32 v24, 48, v24
	s_or_b64 s[0:1], vcc, s[0:1]
	s_waitcnt vmcnt(3)
	v_subrev_u32_e32 v42, s16, v23
	v_lshl_add_u64 v[26:27], v[42:43], 4, s[10:11]
	global_load_dwordx4 v[42:45], v[26:27], off
	s_waitcnt vmcnt(0)
	v_fmac_f64_e32 v[20:21], v[30:31], v[42:43]
	v_fmac_f64_e32 v[14:15], v[32:33], v[42:43]
	v_fmac_f64_e32 v[18:19], v[34:35], v[42:43]
	v_fmac_f64_e32 v[16:17], v[36:37], v[42:43]
	v_fmac_f64_e32 v[12:13], v[38:39], v[42:43]
	v_fmac_f64_e32 v[10:11], v[40:41], v[42:43]
	v_fma_f64 v[20:21], -v[32:33], v[44:45], v[20:21]
	v_fmac_f64_e32 v[14:15], v[30:31], v[44:45]
	v_fma_f64 v[18:19], -v[36:37], v[44:45], v[18:19]
	v_fmac_f64_e32 v[16:17], v[34:35], v[44:45]
	;; [unrolled: 2-line block ×3, first 2 shown]
	s_andn2_b64 exec, exec, s[0:1]
	s_cbranch_execnz .LBB113_17
; %bb.18:
	s_or_b64 exec, exec, s[0:1]
.LBB113_19:
	s_or_b64 exec, exec, s[4:5]
.LBB113_20:
	v_mov_b32_dpp v28, v16 row_shr:1 row_mask:0xf bank_mask:0xf
	v_mov_b32_dpp v29, v17 row_shr:1 row_mask:0xf bank_mask:0xf
	v_add_f64 v[16:17], v[16:17], v[28:29]
	v_mov_b32_dpp v22, v20 row_shr:1 row_mask:0xf bank_mask:0xf
	v_mov_b32_dpp v23, v21 row_shr:1 row_mask:0xf bank_mask:0xf
	v_mov_b32_dpp v28, v16 row_shr:2 row_mask:0xf bank_mask:0xf
	v_mov_b32_dpp v29, v17 row_shr:2 row_mask:0xf bank_mask:0xf
	v_add_f64 v[16:17], v[16:17], v[28:29]
	v_mov_b32_dpp v24, v14 row_shr:1 row_mask:0xf bank_mask:0xf
	v_mov_b32_dpp v25, v15 row_shr:1 row_mask:0xf bank_mask:0xf
	;; [unrolled: 5-line block ×3, first 2 shown]
	v_add_f64 v[12:13], v[12:13], v[16:17]
	v_mov_b32_dpp v26, v18 row_shr:1 row_mask:0xf bank_mask:0xf
	v_mov_b32_dpp v27, v19 row_shr:1 row_mask:0xf bank_mask:0xf
	;; [unrolled: 1-line block ×4, first 2 shown]
	v_add_f64 v[12:13], v[12:13], v[16:17]
	v_add_f64 v[20:21], v[20:21], v[22:23]
	;; [unrolled: 1-line block ×3, first 2 shown]
	v_mov_b32_dpp v16, v12 row_shr:4 row_mask:0xf bank_mask:0xe
	v_mov_b32_dpp v17, v13 row_shr:4 row_mask:0xf bank_mask:0xe
	v_add_f64 v[32:33], v[12:13], v[16:17]
	v_mov_b32_dpp v12, v10 row_shr:1 row_mask:0xf bank_mask:0xf
	v_mov_b32_dpp v13, v11 row_shr:1 row_mask:0xf bank_mask:0xf
	v_add_f64 v[18:19], v[18:19], v[26:27]
	v_add_f64 v[10:11], v[10:11], v[12:13]
	v_mov_b32_dpp v22, v20 row_shr:2 row_mask:0xf bank_mask:0xf
	v_mov_b32_dpp v23, v21 row_shr:2 row_mask:0xf bank_mask:0xf
	;; [unrolled: 1-line block ×8, first 2 shown]
	v_add_f64 v[20:21], v[20:21], v[22:23]
	v_add_f64 v[14:15], v[14:15], v[24:25]
	;; [unrolled: 1-line block ×4, first 2 shown]
	v_mov_b32_dpp v22, v20 row_shr:4 row_mask:0xf bank_mask:0xe
	v_mov_b32_dpp v23, v21 row_shr:4 row_mask:0xf bank_mask:0xe
	;; [unrolled: 1-line block ×8, first 2 shown]
	v_add_f64 v[20:21], v[20:21], v[22:23]
	v_add_f64 v[14:15], v[14:15], v[24:25]
	;; [unrolled: 1-line block ×4, first 2 shown]
	v_mov_b32_dpp v22, v20 row_shr:8 row_mask:0xf bank_mask:0xc
	v_mov_b32_dpp v23, v21 row_shr:8 row_mask:0xf bank_mask:0xc
	;; [unrolled: 1-line block ×12, first 2 shown]
	v_cmp_eq_u32_e32 vcc, 15, v9
	s_and_b64 exec, exec, vcc
	s_cbranch_execz .LBB113_25
; %bb.21:
	s_load_dwordx2 s[2:3], s[2:3], 0x48
	v_cmp_eq_f64_e32 vcc, 0, v[4:5]
	v_cmp_eq_f64_e64 s[0:1], 0, v[6:7]
	v_add_f64 v[16:17], v[20:21], v[22:23]
	v_add_f64 v[20:21], v[14:15], v[24:25]
	;; [unrolled: 1-line block ×6, first 2 shown]
	s_and_b64 s[0:1], vcc, s[0:1]
	s_and_saveexec_b64 s[4:5], s[0:1]
	s_xor_b64 s[0:1], exec, s[4:5]
	s_cbranch_execz .LBB113_23
; %bb.22:
	v_lshl_add_u32 v8, v8, 1, v8
	v_mul_f64 v[4:5], v[20:21], -v[2:3]
	v_mul_f64 v[6:7], v[0:1], v[20:21]
	v_ashrrev_i32_e32 v9, 31, v8
	v_fmac_f64_e32 v[4:5], v[0:1], v[16:17]
	v_fmac_f64_e32 v[6:7], v[2:3], v[16:17]
	s_waitcnt lgkmcnt(0)
	v_lshl_add_u64 v[8:9], v[8:9], 4, s[2:3]
	global_store_dwordx4 v[8:9], v[4:7], off
                                        ; implicit-def: $vgpr16_vgpr17
                                        ; implicit-def: $vgpr20_vgpr21
	s_nop 1
	v_mul_f64 v[4:5], v[18:19], -v[2:3]
	v_mul_f64 v[6:7], v[0:1], v[18:19]
	v_fmac_f64_e32 v[4:5], v[0:1], v[12:13]
	v_fmac_f64_e32 v[6:7], v[2:3], v[12:13]
	global_store_dwordx4 v[8:9], v[4:7], off offset:16
                                        ; implicit-def: $vgpr12_vgpr13
                                        ; implicit-def: $vgpr18_vgpr19
	s_nop 1
	v_mul_f64 v[4:5], v[14:15], -v[2:3]
	v_mul_f64 v[6:7], v[0:1], v[14:15]
	v_fmac_f64_e32 v[4:5], v[0:1], v[10:11]
	v_fmac_f64_e32 v[6:7], v[2:3], v[10:11]
	global_store_dwordx4 v[8:9], v[4:7], off offset:32
                                        ; implicit-def: $vgpr0_vgpr1
                                        ; implicit-def: $vgpr2_vgpr3
                                        ; implicit-def: $vgpr4_vgpr5
                                        ; implicit-def: $vgpr6_vgpr7
                                        ; implicit-def: $vgpr8
                                        ; implicit-def: $vgpr10_vgpr11
                                        ; implicit-def: $vgpr14_vgpr15
.LBB113_23:
	s_andn2_saveexec_b64 s[0:1], s[0:1]
	s_cbranch_execz .LBB113_25
; %bb.24:
	v_lshl_add_u32 v8, v8, 1, v8
	v_ashrrev_i32_e32 v9, 31, v8
	s_waitcnt lgkmcnt(0)
	v_lshl_add_u64 v[38:39], v[8:9], 4, s[2:3]
	global_load_dwordx4 v[22:25], v[38:39], off
	global_load_dwordx4 v[26:29], v[38:39], off offset:16
	global_load_dwordx4 v[30:33], v[38:39], off offset:32
	v_mul_f64 v[34:35], v[20:21], -v[2:3]
	v_mul_f64 v[20:21], v[0:1], v[20:21]
	v_mul_f64 v[40:41], v[18:19], -v[2:3]
	v_mul_f64 v[36:37], v[0:1], v[18:19]
	;; [unrolled: 2-line block ×3, first 2 shown]
	v_fmac_f64_e32 v[34:35], v[0:1], v[16:17]
	v_fmac_f64_e32 v[20:21], v[2:3], v[16:17]
	;; [unrolled: 1-line block ×6, first 2 shown]
	s_waitcnt vmcnt(2)
	v_fmac_f64_e32 v[34:35], v[4:5], v[22:23]
	v_fmac_f64_e32 v[20:21], v[6:7], v[22:23]
	s_waitcnt vmcnt(1)
	v_fmac_f64_e32 v[40:41], v[4:5], v[26:27]
	v_fmac_f64_e32 v[36:37], v[6:7], v[26:27]
	;; [unrolled: 3-line block ×3, first 2 shown]
	v_fma_f64 v[18:19], -v[6:7], v[24:25], v[34:35]
	v_fmac_f64_e32 v[20:21], v[4:5], v[24:25]
	v_fma_f64 v[34:35], -v[6:7], v[28:29], v[40:41]
	v_fmac_f64_e32 v[36:37], v[4:5], v[28:29]
	;; [unrolled: 2-line block ×3, first 2 shown]
	global_store_dwordx4 v[38:39], v[18:21], off
	global_store_dwordx4 v[38:39], v[34:37], off offset:16
	global_store_dwordx4 v[38:39], v[6:9], off offset:32
.LBB113_25:
	s_endpgm
	.section	.rodata,"a",@progbits
	.p2align	6, 0x0
	.amdhsa_kernel _ZN9rocsparseL19gebsrmvn_3xn_kernelILj128ELj1ELj16E21rocsparse_complex_numIdEEEvi20rocsparse_direction_NS_24const_host_device_scalarIT2_EEPKiS8_PKS5_SA_S6_PS5_21rocsparse_index_base_b
		.amdhsa_group_segment_fixed_size 2048
		.amdhsa_private_segment_fixed_size 0
		.amdhsa_kernarg_size 88
		.amdhsa_user_sgpr_count 4
		.amdhsa_user_sgpr_dispatch_ptr 1
		.amdhsa_user_sgpr_queue_ptr 0
		.amdhsa_user_sgpr_kernarg_segment_ptr 1
		.amdhsa_user_sgpr_dispatch_id 0
		.amdhsa_user_sgpr_kernarg_preload_length 0
		.amdhsa_user_sgpr_kernarg_preload_offset 0
		.amdhsa_user_sgpr_private_segment_size 0
		.amdhsa_uses_dynamic_stack 0
		.amdhsa_enable_private_segment 0
		.amdhsa_system_sgpr_workgroup_id_x 1
		.amdhsa_system_sgpr_workgroup_id_y 0
		.amdhsa_system_sgpr_workgroup_id_z 0
		.amdhsa_system_sgpr_workgroup_info 0
		.amdhsa_system_vgpr_workitem_id 2
		.amdhsa_next_free_vgpr 48
		.amdhsa_next_free_sgpr 20
		.amdhsa_accum_offset 48
		.amdhsa_reserve_vcc 1
		.amdhsa_float_round_mode_32 0
		.amdhsa_float_round_mode_16_64 0
		.amdhsa_float_denorm_mode_32 3
		.amdhsa_float_denorm_mode_16_64 3
		.amdhsa_dx10_clamp 1
		.amdhsa_ieee_mode 1
		.amdhsa_fp16_overflow 0
		.amdhsa_tg_split 0
		.amdhsa_exception_fp_ieee_invalid_op 0
		.amdhsa_exception_fp_denorm_src 0
		.amdhsa_exception_fp_ieee_div_zero 0
		.amdhsa_exception_fp_ieee_overflow 0
		.amdhsa_exception_fp_ieee_underflow 0
		.amdhsa_exception_fp_ieee_inexact 0
		.amdhsa_exception_int_div_zero 0
	.end_amdhsa_kernel
	.section	.text._ZN9rocsparseL19gebsrmvn_3xn_kernelILj128ELj1ELj16E21rocsparse_complex_numIdEEEvi20rocsparse_direction_NS_24const_host_device_scalarIT2_EEPKiS8_PKS5_SA_S6_PS5_21rocsparse_index_base_b,"axG",@progbits,_ZN9rocsparseL19gebsrmvn_3xn_kernelILj128ELj1ELj16E21rocsparse_complex_numIdEEEvi20rocsparse_direction_NS_24const_host_device_scalarIT2_EEPKiS8_PKS5_SA_S6_PS5_21rocsparse_index_base_b,comdat
.Lfunc_end113:
	.size	_ZN9rocsparseL19gebsrmvn_3xn_kernelILj128ELj1ELj16E21rocsparse_complex_numIdEEEvi20rocsparse_direction_NS_24const_host_device_scalarIT2_EEPKiS8_PKS5_SA_S6_PS5_21rocsparse_index_base_b, .Lfunc_end113-_ZN9rocsparseL19gebsrmvn_3xn_kernelILj128ELj1ELj16E21rocsparse_complex_numIdEEEvi20rocsparse_direction_NS_24const_host_device_scalarIT2_EEPKiS8_PKS5_SA_S6_PS5_21rocsparse_index_base_b
                                        ; -- End function
	.section	.AMDGPU.csdata,"",@progbits
; Kernel info:
; codeLenInByte = 1960
; NumSgprs: 26
; NumVgprs: 48
; NumAgprs: 0
; TotalNumVgprs: 48
; ScratchSize: 0
; MemoryBound: 0
; FloatMode: 240
; IeeeMode: 1
; LDSByteSize: 2048 bytes/workgroup (compile time only)
; SGPRBlocks: 3
; VGPRBlocks: 5
; NumSGPRsForWavesPerEU: 26
; NumVGPRsForWavesPerEU: 48
; AccumOffset: 48
; Occupancy: 8
; WaveLimiterHint : 1
; COMPUTE_PGM_RSRC2:SCRATCH_EN: 0
; COMPUTE_PGM_RSRC2:USER_SGPR: 4
; COMPUTE_PGM_RSRC2:TRAP_HANDLER: 0
; COMPUTE_PGM_RSRC2:TGID_X_EN: 1
; COMPUTE_PGM_RSRC2:TGID_Y_EN: 0
; COMPUTE_PGM_RSRC2:TGID_Z_EN: 0
; COMPUTE_PGM_RSRC2:TIDIG_COMP_CNT: 2
; COMPUTE_PGM_RSRC3_GFX90A:ACCUM_OFFSET: 11
; COMPUTE_PGM_RSRC3_GFX90A:TG_SPLIT: 0
	.section	.text._ZN9rocsparseL19gebsrmvn_3xn_kernelILj128ELj1ELj32E21rocsparse_complex_numIdEEEvi20rocsparse_direction_NS_24const_host_device_scalarIT2_EEPKiS8_PKS5_SA_S6_PS5_21rocsparse_index_base_b,"axG",@progbits,_ZN9rocsparseL19gebsrmvn_3xn_kernelILj128ELj1ELj32E21rocsparse_complex_numIdEEEvi20rocsparse_direction_NS_24const_host_device_scalarIT2_EEPKiS8_PKS5_SA_S6_PS5_21rocsparse_index_base_b,comdat
	.globl	_ZN9rocsparseL19gebsrmvn_3xn_kernelILj128ELj1ELj32E21rocsparse_complex_numIdEEEvi20rocsparse_direction_NS_24const_host_device_scalarIT2_EEPKiS8_PKS5_SA_S6_PS5_21rocsparse_index_base_b ; -- Begin function _ZN9rocsparseL19gebsrmvn_3xn_kernelILj128ELj1ELj32E21rocsparse_complex_numIdEEEvi20rocsparse_direction_NS_24const_host_device_scalarIT2_EEPKiS8_PKS5_SA_S6_PS5_21rocsparse_index_base_b
	.p2align	8
	.type	_ZN9rocsparseL19gebsrmvn_3xn_kernelILj128ELj1ELj32E21rocsparse_complex_numIdEEEvi20rocsparse_direction_NS_24const_host_device_scalarIT2_EEPKiS8_PKS5_SA_S6_PS5_21rocsparse_index_base_b,@function
_ZN9rocsparseL19gebsrmvn_3xn_kernelILj128ELj1ELj32E21rocsparse_complex_numIdEEEvi20rocsparse_direction_NS_24const_host_device_scalarIT2_EEPKiS8_PKS5_SA_S6_PS5_21rocsparse_index_base_b: ; @_ZN9rocsparseL19gebsrmvn_3xn_kernelILj128ELj1ELj32E21rocsparse_complex_numIdEEEvi20rocsparse_direction_NS_24const_host_device_scalarIT2_EEPKiS8_PKS5_SA_S6_PS5_21rocsparse_index_base_b
; %bb.0:
	s_load_dwordx2 s[16:17], s[2:3], 0x50
	s_load_dwordx4 s[12:15], s[2:3], 0x8
	s_load_dwordx4 s[8:11], s[2:3], 0x38
	s_load_dwordx2 s[18:19], s[0:1], 0x4
	s_mov_b64 s[6:7], src_shared_base
	s_waitcnt lgkmcnt(0)
	s_bitcmp1_b32 s17, 0
	s_cselect_b64 s[0:1], -1, 0
	s_and_b64 vcc, s[0:1], exec
	s_cselect_b32 s5, s7, s13
	s_lshr_b32 s6, s18, 16
	v_bfe_u32 v1, v0, 10, 10
	v_and_b32_e32 v10, 0x3ff, v0
	s_mul_i32 s6, s6, s19
	v_mul_u32_u24_e32 v1, s19, v1
	v_mad_u32_u24 v1, s6, v10, v1
	v_bfe_u32 v0, v0, 20, 10
	v_add_lshl_u32 v4, v1, v0, 3
	v_mov_b32_e32 v5, s12
	v_add_u32_e32 v6, 0x400, v4
	v_mov_b64_e32 v[0:1], s[12:13]
	v_mov_b64_e32 v[2:3], s[8:9]
	ds_write2st64_b64 v4, v[2:3], v[0:1] offset1:2
	v_cndmask_b32_e64 v0, v5, v6, s[0:1]
	v_mov_b32_e32 v1, s5
	flat_load_dwordx2 v[0:1], v[0:1]
	s_xor_b64 s[18:19], s[0:1], -1
	v_mov_b64_e32 v[2:3], s[14:15]
	s_cbranch_vccnz .LBB114_2
; %bb.1:
	v_mov_b64_e32 v[2:3], s[12:13]
	flat_load_dwordx2 v[2:3], v[2:3] offset:8
.LBB114_2:
	s_and_b64 s[12:13], s[0:1], exec
	s_cselect_b32 s5, s7, s9
	v_mov_b32_e32 v5, s8
	v_cndmask_b32_e64 v4, v5, v4, s[0:1]
	v_mov_b32_e32 v5, s5
	flat_load_dwordx2 v[4:5], v[4:5]
	s_andn2_b64 vcc, exec, s[18:19]
	v_mov_b64_e32 v[6:7], s[10:11]
	s_cbranch_vccnz .LBB114_4
; %bb.3:
	v_mov_b64_e32 v[6:7], s[8:9]
	flat_load_dwordx2 v[6:7], v[6:7] offset:8
.LBB114_4:
	s_waitcnt vmcnt(0) lgkmcnt(0)
	v_cmp_eq_f64_e32 vcc, 0, v[0:1]
	v_cmp_eq_f64_e64 s[0:1], 0, v[2:3]
	s_and_b64 s[8:9], vcc, s[0:1]
	s_mov_b64 s[0:1], -1
	s_and_saveexec_b64 s[6:7], s[8:9]
; %bb.5:
	v_cmp_neq_f64_e32 vcc, 1.0, v[4:5]
	v_cmp_neq_f64_e64 s[0:1], 0, v[6:7]
	s_or_b64 s[0:1], vcc, s[0:1]
	s_orn2_b64 s[0:1], s[0:1], exec
; %bb.6:
	s_or_b64 exec, exec, s[6:7]
	s_and_saveexec_b64 s[6:7], s[0:1]
	s_cbranch_execz .LBB114_25
; %bb.7:
	s_load_dwordx2 s[0:1], s[2:3], 0x0
	v_lshrrev_b32_e32 v8, 5, v10
	v_lshl_or_b32 v8, s4, 2, v8
	s_waitcnt lgkmcnt(0)
	v_cmp_gt_i32_e32 vcc, s0, v8
	s_and_b64 exec, exec, vcc
	s_cbranch_execz .LBB114_25
; %bb.8:
	s_load_dwordx8 s[4:11], s[2:3], 0x18
	v_ashrrev_i32_e32 v9, 31, v8
	s_cmp_lg_u32 s1, 0
	s_waitcnt lgkmcnt(0)
	v_lshl_add_u64 v[12:13], v[8:9], 2, s[4:5]
	global_load_dwordx2 v[12:13], v[12:13], off
	v_and_b32_e32 v9, 31, v10
	s_waitcnt vmcnt(0)
	v_subrev_u32_e32 v10, s16, v12
	v_subrev_u32_e32 v28, s16, v13
	v_add_u32_e32 v22, v10, v9
	v_cmp_lt_i32_e64 s[0:1], v22, v28
	s_cbranch_scc0 .LBB114_14
; %bb.9:
	v_mov_b64_e32 v[16:17], 0
	s_mov_b64 s[4:5], 0
	v_mov_b64_e32 v[20:21], v[16:17]
	v_mov_b64_e32 v[12:13], v[16:17]
	;; [unrolled: 1-line block ×5, first 2 shown]
	s_and_saveexec_b64 s[12:13], s[0:1]
	s_cbranch_execz .LBB114_13
; %bb.10:
	v_mov_b64_e32 v[16:17], 0
	v_lshl_add_u32 v24, v22, 1, v22
	s_mov_b64 s[14:15], 0
	v_mov_b32_e32 v25, 0
	v_mov_b32_e32 v26, v22
	v_mov_b64_e32 v[20:21], v[16:17]
	v_mov_b64_e32 v[12:13], v[16:17]
	;; [unrolled: 1-line block ×5, first 2 shown]
.LBB114_11:                             ; =>This Inner Loop Header: Depth=1
	v_ashrrev_i32_e32 v27, 31, v26
	v_lshl_add_u64 v[30:31], v[26:27], 2, s[6:7]
	global_load_dword v23, v[30:31], off
	v_mov_b32_e32 v43, v25
	v_add_u32_e32 v34, 1, v24
	v_mov_b32_e32 v35, v25
	v_lshl_add_u64 v[30:31], v[24:25], 4, s[8:9]
	v_add_u32_e32 v36, 2, v24
	v_mov_b32_e32 v37, v25
	v_lshl_add_u64 v[44:45], v[34:35], 4, s[8:9]
	global_load_dwordx4 v[30:33], v[30:31], off
	v_lshl_add_u64 v[46:47], v[36:37], 4, s[8:9]
	global_load_dwordx4 v[34:37], v[44:45], off
	global_load_dwordx4 v[38:41], v[46:47], off
	v_add_u32_e32 v26, 32, v26
	v_cmp_ge_i32_e32 vcc, v26, v28
	v_add_u32_e32 v24, 0x60, v24
	s_or_b64 s[14:15], vcc, s[14:15]
	s_waitcnt vmcnt(3)
	v_subrev_u32_e32 v42, s16, v23
	v_lshl_add_u64 v[42:43], v[42:43], 4, s[10:11]
	global_load_dwordx4 v[42:45], v[42:43], off
	s_waitcnt vmcnt(0)
	v_fmac_f64_e32 v[20:21], v[30:31], v[42:43]
	v_fmac_f64_e32 v[16:17], v[32:33], v[42:43]
	v_fmac_f64_e32 v[18:19], v[34:35], v[42:43]
	v_fmac_f64_e32 v[14:15], v[36:37], v[42:43]
	v_fmac_f64_e32 v[12:13], v[38:39], v[42:43]
	v_fmac_f64_e32 v[10:11], v[40:41], v[42:43]
	v_fma_f64 v[20:21], -v[32:33], v[44:45], v[20:21]
	v_fmac_f64_e32 v[16:17], v[30:31], v[44:45]
	v_fma_f64 v[18:19], -v[36:37], v[44:45], v[18:19]
	v_fmac_f64_e32 v[14:15], v[34:35], v[44:45]
	;; [unrolled: 2-line block ×3, first 2 shown]
	s_andn2_b64 exec, exec, s[14:15]
	s_cbranch_execnz .LBB114_11
; %bb.12:
	s_or_b64 exec, exec, s[14:15]
.LBB114_13:
	s_or_b64 exec, exec, s[12:13]
	s_andn2_b64 vcc, exec, s[4:5]
	s_cbranch_vccz .LBB114_15
	s_branch .LBB114_20
.LBB114_14:
                                        ; implicit-def: $vgpr16_vgpr17
                                        ; implicit-def: $vgpr20_vgpr21
                                        ; implicit-def: $vgpr12_vgpr13
                                        ; implicit-def: $vgpr10_vgpr11
                                        ; implicit-def: $vgpr18_vgpr19
                                        ; implicit-def: $vgpr14_vgpr15
.LBB114_15:
	v_mov_b64_e32 v[16:17], 0
	v_mov_b64_e32 v[20:21], v[16:17]
	;; [unrolled: 1-line block ×6, first 2 shown]
	s_and_saveexec_b64 s[4:5], s[0:1]
	s_cbranch_execz .LBB114_19
; %bb.16:
	v_mov_b64_e32 v[16:17], 0
	v_lshl_add_u32 v24, v22, 1, v22
	s_mov_b64 s[0:1], 0
	v_mov_b32_e32 v25, 0
	v_mov_b64_e32 v[20:21], v[16:17]
	v_mov_b64_e32 v[12:13], v[16:17]
	;; [unrolled: 1-line block ×5, first 2 shown]
.LBB114_17:                             ; =>This Inner Loop Header: Depth=1
	v_ashrrev_i32_e32 v23, 31, v22
	v_lshl_add_u64 v[26:27], v[22:23], 2, s[6:7]
	global_load_dword v23, v[26:27], off
	v_lshl_add_u64 v[26:27], v[24:25], 4, s[8:9]
	v_add_u32_e32 v34, 1, v24
	v_mov_b32_e32 v35, v25
	v_mov_b32_e32 v43, v25
	v_add_u32_e32 v36, 2, v24
	v_mov_b32_e32 v37, v25
	global_load_dwordx4 v[30:33], v[26:27], off
	v_lshl_add_u64 v[26:27], v[34:35], 4, s[8:9]
	v_lshl_add_u64 v[44:45], v[36:37], 4, s[8:9]
	global_load_dwordx4 v[34:37], v[26:27], off
	global_load_dwordx4 v[38:41], v[44:45], off
	v_add_u32_e32 v22, 32, v22
	v_cmp_ge_i32_e32 vcc, v22, v28
	v_add_u32_e32 v24, 0x60, v24
	s_or_b64 s[0:1], vcc, s[0:1]
	s_waitcnt vmcnt(3)
	v_subrev_u32_e32 v42, s16, v23
	v_lshl_add_u64 v[26:27], v[42:43], 4, s[10:11]
	global_load_dwordx4 v[42:45], v[26:27], off
	s_waitcnt vmcnt(0)
	v_fmac_f64_e32 v[20:21], v[30:31], v[42:43]
	v_fmac_f64_e32 v[16:17], v[32:33], v[42:43]
	;; [unrolled: 1-line block ×6, first 2 shown]
	v_fma_f64 v[20:21], -v[32:33], v[44:45], v[20:21]
	v_fmac_f64_e32 v[16:17], v[30:31], v[44:45]
	v_fma_f64 v[18:19], -v[36:37], v[44:45], v[18:19]
	v_fmac_f64_e32 v[14:15], v[34:35], v[44:45]
	;; [unrolled: 2-line block ×3, first 2 shown]
	s_andn2_b64 exec, exec, s[0:1]
	s_cbranch_execnz .LBB114_17
; %bb.18:
	s_or_b64 exec, exec, s[0:1]
.LBB114_19:
	s_or_b64 exec, exec, s[4:5]
.LBB114_20:
	v_mov_b32_dpp v24, v16 row_shr:1 row_mask:0xf bank_mask:0xf
	v_mov_b32_dpp v25, v17 row_shr:1 row_mask:0xf bank_mask:0xf
	v_add_f64 v[16:17], v[16:17], v[24:25]
	v_mov_b32_dpp v22, v20 row_shr:1 row_mask:0xf bank_mask:0xf
	v_mov_b32_dpp v23, v21 row_shr:1 row_mask:0xf bank_mask:0xf
	;; [unrolled: 1-line block ×4, first 2 shown]
	v_add_f64 v[16:17], v[16:17], v[24:25]
	v_add_f64 v[20:21], v[20:21], v[22:23]
	v_cmp_eq_u32_e32 vcc, 31, v9
	v_mov_b32_dpp v24, v16 row_shr:4 row_mask:0xf bank_mask:0xe
	v_mov_b32_dpp v25, v17 row_shr:4 row_mask:0xf bank_mask:0xe
	v_add_f64 v[16:17], v[16:17], v[24:25]
	v_mov_b32_dpp v22, v20 row_shr:2 row_mask:0xf bank_mask:0xf
	v_mov_b32_dpp v23, v21 row_shr:2 row_mask:0xf bank_mask:0xf
	;; [unrolled: 1-line block ×4, first 2 shown]
	v_add_f64 v[24:25], v[16:17], v[24:25]
	v_mov_b32_dpp v16, v18 row_shr:1 row_mask:0xf bank_mask:0xf
	v_mov_b32_dpp v17, v19 row_shr:1 row_mask:0xf bank_mask:0xf
	v_add_f64 v[16:17], v[18:19], v[16:17]
	v_add_f64 v[20:21], v[20:21], v[22:23]
	v_mov_b32_dpp v26, v24 row_bcast:15 row_mask:0xa bank_mask:0xf
	v_mov_b32_dpp v18, v16 row_shr:2 row_mask:0xf bank_mask:0xf
	v_mov_b32_dpp v19, v17 row_shr:2 row_mask:0xf bank_mask:0xf
	v_add_f64 v[16:17], v[16:17], v[18:19]
	v_mov_b32_dpp v22, v20 row_shr:4 row_mask:0xf bank_mask:0xe
	v_mov_b32_dpp v23, v21 row_shr:4 row_mask:0xf bank_mask:0xe
	;; [unrolled: 1-line block ×4, first 2 shown]
	v_add_f64 v[16:17], v[16:17], v[18:19]
	v_add_f64 v[20:21], v[20:21], v[22:23]
	v_mov_b32_dpp v27, v25 row_bcast:15 row_mask:0xa bank_mask:0xf
	v_mov_b32_dpp v18, v16 row_shr:8 row_mask:0xf bank_mask:0xc
	v_mov_b32_dpp v19, v17 row_shr:8 row_mask:0xf bank_mask:0xc
	v_add_f64 v[18:19], v[16:17], v[18:19]
	v_mov_b32_dpp v16, v14 row_shr:1 row_mask:0xf bank_mask:0xf
	v_mov_b32_dpp v17, v15 row_shr:1 row_mask:0xf bank_mask:0xf
	v_add_f64 v[14:15], v[14:15], v[16:17]
	v_mov_b32_dpp v22, v20 row_shr:8 row_mask:0xf bank_mask:0xc
	v_mov_b32_dpp v23, v21 row_shr:8 row_mask:0xf bank_mask:0xc
	;; [unrolled: 1-line block ×4, first 2 shown]
	v_add_f64 v[14:15], v[14:15], v[16:17]
	v_add_f64 v[20:21], v[20:21], v[22:23]
	v_mov_b32_dpp v28, v18 row_bcast:15 row_mask:0xa bank_mask:0xf
	v_mov_b32_dpp v16, v14 row_shr:4 row_mask:0xf bank_mask:0xe
	v_mov_b32_dpp v17, v15 row_shr:4 row_mask:0xf bank_mask:0xe
	v_add_f64 v[14:15], v[14:15], v[16:17]
	v_mov_b32_dpp v22, v20 row_bcast:15 row_mask:0xa bank_mask:0xf
	v_mov_b32_dpp v23, v21 row_bcast:15 row_mask:0xa bank_mask:0xf
	v_mov_b32_dpp v16, v14 row_shr:8 row_mask:0xf bank_mask:0xc
	v_mov_b32_dpp v17, v15 row_shr:8 row_mask:0xf bank_mask:0xc
	v_add_f64 v[14:15], v[14:15], v[16:17]
	v_mov_b32_dpp v16, v12 row_shr:1 row_mask:0xf bank_mask:0xf
	v_mov_b32_dpp v17, v13 row_shr:1 row_mask:0xf bank_mask:0xf
	v_add_f64 v[12:13], v[12:13], v[16:17]
	v_mov_b32_dpp v29, v19 row_bcast:15 row_mask:0xa bank_mask:0xf
	v_mov_b32_dpp v30, v14 row_bcast:15 row_mask:0xa bank_mask:0xf
	v_mov_b32_dpp v16, v12 row_shr:2 row_mask:0xf bank_mask:0xf
	v_mov_b32_dpp v17, v13 row_shr:2 row_mask:0xf bank_mask:0xf
	v_add_f64 v[12:13], v[12:13], v[16:17]
	v_mov_b32_dpp v31, v15 row_bcast:15 row_mask:0xa bank_mask:0xf
	s_nop 0
	v_mov_b32_dpp v16, v12 row_shr:4 row_mask:0xf bank_mask:0xe
	v_mov_b32_dpp v17, v13 row_shr:4 row_mask:0xf bank_mask:0xe
	v_add_f64 v[12:13], v[12:13], v[16:17]
	s_nop 1
	v_mov_b32_dpp v16, v12 row_shr:8 row_mask:0xf bank_mask:0xc
	v_mov_b32_dpp v17, v13 row_shr:8 row_mask:0xf bank_mask:0xc
	v_add_f64 v[32:33], v[12:13], v[16:17]
	v_mov_b32_dpp v12, v10 row_shr:1 row_mask:0xf bank_mask:0xf
	v_mov_b32_dpp v13, v11 row_shr:1 row_mask:0xf bank_mask:0xf
	v_add_f64 v[10:11], v[10:11], v[12:13]
	v_mov_b32_dpp v34, v32 row_bcast:15 row_mask:0xa bank_mask:0xf
	v_mov_b32_dpp v35, v33 row_bcast:15 row_mask:0xa bank_mask:0xf
	v_mov_b32_dpp v12, v10 row_shr:2 row_mask:0xf bank_mask:0xf
	v_mov_b32_dpp v13, v11 row_shr:2 row_mask:0xf bank_mask:0xf
	v_add_f64 v[10:11], v[10:11], v[12:13]
	s_nop 1
	v_mov_b32_dpp v12, v10 row_shr:4 row_mask:0xf bank_mask:0xe
	v_mov_b32_dpp v13, v11 row_shr:4 row_mask:0xf bank_mask:0xe
	v_add_f64 v[10:11], v[10:11], v[12:13]
	s_nop 1
	;; [unrolled: 4-line block ×3, first 2 shown]
	v_mov_b32_dpp v38, v36 row_bcast:15 row_mask:0xa bank_mask:0xf
	v_mov_b32_dpp v39, v37 row_bcast:15 row_mask:0xa bank_mask:0xf
	s_and_b64 exec, exec, vcc
	s_cbranch_execz .LBB114_25
; %bb.21:
	s_load_dwordx2 s[2:3], s[2:3], 0x48
	v_cmp_eq_f64_e32 vcc, 0, v[4:5]
	v_cmp_eq_f64_e64 s[0:1], 0, v[6:7]
	v_add_f64 v[16:17], v[20:21], v[22:23]
	v_add_f64 v[20:21], v[24:25], v[26:27]
	;; [unrolled: 1-line block ×6, first 2 shown]
	s_and_b64 s[0:1], vcc, s[0:1]
	s_and_saveexec_b64 s[4:5], s[0:1]
	s_xor_b64 s[0:1], exec, s[4:5]
	s_cbranch_execz .LBB114_23
; %bb.22:
	v_lshl_add_u32 v8, v8, 1, v8
	v_mul_f64 v[4:5], v[20:21], -v[2:3]
	v_mul_f64 v[6:7], v[0:1], v[20:21]
	v_ashrrev_i32_e32 v9, 31, v8
	v_fmac_f64_e32 v[4:5], v[0:1], v[16:17]
	v_fmac_f64_e32 v[6:7], v[2:3], v[16:17]
	s_waitcnt lgkmcnt(0)
	v_lshl_add_u64 v[8:9], v[8:9], 4, s[2:3]
	global_store_dwordx4 v[8:9], v[4:7], off
                                        ; implicit-def: $vgpr16_vgpr17
                                        ; implicit-def: $vgpr20_vgpr21
	s_nop 1
	v_mul_f64 v[4:5], v[18:19], -v[2:3]
	v_mul_f64 v[6:7], v[0:1], v[18:19]
	v_fmac_f64_e32 v[4:5], v[0:1], v[12:13]
	v_fmac_f64_e32 v[6:7], v[2:3], v[12:13]
	global_store_dwordx4 v[8:9], v[4:7], off offset:16
                                        ; implicit-def: $vgpr12_vgpr13
                                        ; implicit-def: $vgpr18_vgpr19
	s_nop 1
	v_mul_f64 v[4:5], v[14:15], -v[2:3]
	v_mul_f64 v[6:7], v[0:1], v[14:15]
	v_fmac_f64_e32 v[4:5], v[0:1], v[10:11]
	v_fmac_f64_e32 v[6:7], v[2:3], v[10:11]
	global_store_dwordx4 v[8:9], v[4:7], off offset:32
                                        ; implicit-def: $vgpr0_vgpr1
                                        ; implicit-def: $vgpr2_vgpr3
                                        ; implicit-def: $vgpr4_vgpr5
                                        ; implicit-def: $vgpr6_vgpr7
                                        ; implicit-def: $vgpr8
                                        ; implicit-def: $vgpr10_vgpr11
                                        ; implicit-def: $vgpr14_vgpr15
.LBB114_23:
	s_andn2_saveexec_b64 s[0:1], s[0:1]
	s_cbranch_execz .LBB114_25
; %bb.24:
	v_lshl_add_u32 v8, v8, 1, v8
	v_ashrrev_i32_e32 v9, 31, v8
	s_waitcnt lgkmcnt(0)
	v_lshl_add_u64 v[38:39], v[8:9], 4, s[2:3]
	global_load_dwordx4 v[22:25], v[38:39], off
	global_load_dwordx4 v[26:29], v[38:39], off offset:16
	global_load_dwordx4 v[30:33], v[38:39], off offset:32
	v_mul_f64 v[34:35], v[20:21], -v[2:3]
	v_mul_f64 v[20:21], v[0:1], v[20:21]
	v_mul_f64 v[40:41], v[18:19], -v[2:3]
	v_mul_f64 v[36:37], v[0:1], v[18:19]
	;; [unrolled: 2-line block ×3, first 2 shown]
	v_fmac_f64_e32 v[34:35], v[0:1], v[16:17]
	v_fmac_f64_e32 v[20:21], v[2:3], v[16:17]
	;; [unrolled: 1-line block ×6, first 2 shown]
	s_waitcnt vmcnt(2)
	v_fmac_f64_e32 v[34:35], v[4:5], v[22:23]
	v_fmac_f64_e32 v[20:21], v[6:7], v[22:23]
	s_waitcnt vmcnt(1)
	v_fmac_f64_e32 v[40:41], v[4:5], v[26:27]
	v_fmac_f64_e32 v[36:37], v[6:7], v[26:27]
	;; [unrolled: 3-line block ×3, first 2 shown]
	v_fma_f64 v[18:19], -v[6:7], v[24:25], v[34:35]
	v_fmac_f64_e32 v[20:21], v[4:5], v[24:25]
	v_fma_f64 v[34:35], -v[6:7], v[28:29], v[40:41]
	v_fmac_f64_e32 v[36:37], v[4:5], v[28:29]
	;; [unrolled: 2-line block ×3, first 2 shown]
	global_store_dwordx4 v[38:39], v[18:21], off
	global_store_dwordx4 v[38:39], v[34:37], off offset:16
	global_store_dwordx4 v[38:39], v[6:9], off offset:32
.LBB114_25:
	s_endpgm
	.section	.rodata,"a",@progbits
	.p2align	6, 0x0
	.amdhsa_kernel _ZN9rocsparseL19gebsrmvn_3xn_kernelILj128ELj1ELj32E21rocsparse_complex_numIdEEEvi20rocsparse_direction_NS_24const_host_device_scalarIT2_EEPKiS8_PKS5_SA_S6_PS5_21rocsparse_index_base_b
		.amdhsa_group_segment_fixed_size 2048
		.amdhsa_private_segment_fixed_size 0
		.amdhsa_kernarg_size 88
		.amdhsa_user_sgpr_count 4
		.amdhsa_user_sgpr_dispatch_ptr 1
		.amdhsa_user_sgpr_queue_ptr 0
		.amdhsa_user_sgpr_kernarg_segment_ptr 1
		.amdhsa_user_sgpr_dispatch_id 0
		.amdhsa_user_sgpr_kernarg_preload_length 0
		.amdhsa_user_sgpr_kernarg_preload_offset 0
		.amdhsa_user_sgpr_private_segment_size 0
		.amdhsa_uses_dynamic_stack 0
		.amdhsa_enable_private_segment 0
		.amdhsa_system_sgpr_workgroup_id_x 1
		.amdhsa_system_sgpr_workgroup_id_y 0
		.amdhsa_system_sgpr_workgroup_id_z 0
		.amdhsa_system_sgpr_workgroup_info 0
		.amdhsa_system_vgpr_workitem_id 2
		.amdhsa_next_free_vgpr 48
		.amdhsa_next_free_sgpr 20
		.amdhsa_accum_offset 48
		.amdhsa_reserve_vcc 1
		.amdhsa_float_round_mode_32 0
		.amdhsa_float_round_mode_16_64 0
		.amdhsa_float_denorm_mode_32 3
		.amdhsa_float_denorm_mode_16_64 3
		.amdhsa_dx10_clamp 1
		.amdhsa_ieee_mode 1
		.amdhsa_fp16_overflow 0
		.amdhsa_tg_split 0
		.amdhsa_exception_fp_ieee_invalid_op 0
		.amdhsa_exception_fp_denorm_src 0
		.amdhsa_exception_fp_ieee_div_zero 0
		.amdhsa_exception_fp_ieee_overflow 0
		.amdhsa_exception_fp_ieee_underflow 0
		.amdhsa_exception_fp_ieee_inexact 0
		.amdhsa_exception_int_div_zero 0
	.end_amdhsa_kernel
	.section	.text._ZN9rocsparseL19gebsrmvn_3xn_kernelILj128ELj1ELj32E21rocsparse_complex_numIdEEEvi20rocsparse_direction_NS_24const_host_device_scalarIT2_EEPKiS8_PKS5_SA_S6_PS5_21rocsparse_index_base_b,"axG",@progbits,_ZN9rocsparseL19gebsrmvn_3xn_kernelILj128ELj1ELj32E21rocsparse_complex_numIdEEEvi20rocsparse_direction_NS_24const_host_device_scalarIT2_EEPKiS8_PKS5_SA_S6_PS5_21rocsparse_index_base_b,comdat
.Lfunc_end114:
	.size	_ZN9rocsparseL19gebsrmvn_3xn_kernelILj128ELj1ELj32E21rocsparse_complex_numIdEEEvi20rocsparse_direction_NS_24const_host_device_scalarIT2_EEPKiS8_PKS5_SA_S6_PS5_21rocsparse_index_base_b, .Lfunc_end114-_ZN9rocsparseL19gebsrmvn_3xn_kernelILj128ELj1ELj32E21rocsparse_complex_numIdEEEvi20rocsparse_direction_NS_24const_host_device_scalarIT2_EEPKiS8_PKS5_SA_S6_PS5_21rocsparse_index_base_b
                                        ; -- End function
	.section	.AMDGPU.csdata,"",@progbits
; Kernel info:
; codeLenInByte = 2132
; NumSgprs: 26
; NumVgprs: 48
; NumAgprs: 0
; TotalNumVgprs: 48
; ScratchSize: 0
; MemoryBound: 0
; FloatMode: 240
; IeeeMode: 1
; LDSByteSize: 2048 bytes/workgroup (compile time only)
; SGPRBlocks: 3
; VGPRBlocks: 5
; NumSGPRsForWavesPerEU: 26
; NumVGPRsForWavesPerEU: 48
; AccumOffset: 48
; Occupancy: 8
; WaveLimiterHint : 1
; COMPUTE_PGM_RSRC2:SCRATCH_EN: 0
; COMPUTE_PGM_RSRC2:USER_SGPR: 4
; COMPUTE_PGM_RSRC2:TRAP_HANDLER: 0
; COMPUTE_PGM_RSRC2:TGID_X_EN: 1
; COMPUTE_PGM_RSRC2:TGID_Y_EN: 0
; COMPUTE_PGM_RSRC2:TGID_Z_EN: 0
; COMPUTE_PGM_RSRC2:TIDIG_COMP_CNT: 2
; COMPUTE_PGM_RSRC3_GFX90A:ACCUM_OFFSET: 11
; COMPUTE_PGM_RSRC3_GFX90A:TG_SPLIT: 0
	.section	.text._ZN9rocsparseL19gebsrmvn_3xn_kernelILj128ELj1ELj64E21rocsparse_complex_numIdEEEvi20rocsparse_direction_NS_24const_host_device_scalarIT2_EEPKiS8_PKS5_SA_S6_PS5_21rocsparse_index_base_b,"axG",@progbits,_ZN9rocsparseL19gebsrmvn_3xn_kernelILj128ELj1ELj64E21rocsparse_complex_numIdEEEvi20rocsparse_direction_NS_24const_host_device_scalarIT2_EEPKiS8_PKS5_SA_S6_PS5_21rocsparse_index_base_b,comdat
	.globl	_ZN9rocsparseL19gebsrmvn_3xn_kernelILj128ELj1ELj64E21rocsparse_complex_numIdEEEvi20rocsparse_direction_NS_24const_host_device_scalarIT2_EEPKiS8_PKS5_SA_S6_PS5_21rocsparse_index_base_b ; -- Begin function _ZN9rocsparseL19gebsrmvn_3xn_kernelILj128ELj1ELj64E21rocsparse_complex_numIdEEEvi20rocsparse_direction_NS_24const_host_device_scalarIT2_EEPKiS8_PKS5_SA_S6_PS5_21rocsparse_index_base_b
	.p2align	8
	.type	_ZN9rocsparseL19gebsrmvn_3xn_kernelILj128ELj1ELj64E21rocsparse_complex_numIdEEEvi20rocsparse_direction_NS_24const_host_device_scalarIT2_EEPKiS8_PKS5_SA_S6_PS5_21rocsparse_index_base_b,@function
_ZN9rocsparseL19gebsrmvn_3xn_kernelILj128ELj1ELj64E21rocsparse_complex_numIdEEEvi20rocsparse_direction_NS_24const_host_device_scalarIT2_EEPKiS8_PKS5_SA_S6_PS5_21rocsparse_index_base_b: ; @_ZN9rocsparseL19gebsrmvn_3xn_kernelILj128ELj1ELj64E21rocsparse_complex_numIdEEEvi20rocsparse_direction_NS_24const_host_device_scalarIT2_EEPKiS8_PKS5_SA_S6_PS5_21rocsparse_index_base_b
; %bb.0:
	s_load_dwordx2 s[16:17], s[2:3], 0x50
	s_load_dwordx4 s[12:15], s[2:3], 0x8
	s_load_dwordx4 s[8:11], s[2:3], 0x38
	s_load_dwordx2 s[18:19], s[0:1], 0x4
	s_mov_b64 s[6:7], src_shared_base
	s_waitcnt lgkmcnt(0)
	s_bitcmp1_b32 s17, 0
	s_cselect_b64 s[0:1], -1, 0
	s_and_b64 vcc, s[0:1], exec
	s_cselect_b32 s5, s7, s13
	s_lshr_b32 s6, s18, 16
	v_bfe_u32 v1, v0, 10, 10
	v_and_b32_e32 v10, 0x3ff, v0
	s_mul_i32 s6, s6, s19
	v_mul_u32_u24_e32 v1, s19, v1
	v_mad_u32_u24 v1, s6, v10, v1
	v_bfe_u32 v0, v0, 20, 10
	v_add_lshl_u32 v4, v1, v0, 3
	v_mov_b32_e32 v5, s12
	v_add_u32_e32 v6, 0x400, v4
	v_mov_b64_e32 v[0:1], s[12:13]
	v_mov_b64_e32 v[2:3], s[8:9]
	ds_write2st64_b64 v4, v[2:3], v[0:1] offset1:2
	v_cndmask_b32_e64 v0, v5, v6, s[0:1]
	v_mov_b32_e32 v1, s5
	flat_load_dwordx2 v[0:1], v[0:1]
	s_xor_b64 s[18:19], s[0:1], -1
	v_mov_b64_e32 v[2:3], s[14:15]
	s_cbranch_vccnz .LBB115_2
; %bb.1:
	v_mov_b64_e32 v[2:3], s[12:13]
	flat_load_dwordx2 v[2:3], v[2:3] offset:8
.LBB115_2:
	s_and_b64 s[12:13], s[0:1], exec
	s_cselect_b32 s5, s7, s9
	v_mov_b32_e32 v5, s8
	v_cndmask_b32_e64 v4, v5, v4, s[0:1]
	v_mov_b32_e32 v5, s5
	flat_load_dwordx2 v[4:5], v[4:5]
	s_andn2_b64 vcc, exec, s[18:19]
	v_mov_b64_e32 v[6:7], s[10:11]
	s_cbranch_vccnz .LBB115_4
; %bb.3:
	v_mov_b64_e32 v[6:7], s[8:9]
	flat_load_dwordx2 v[6:7], v[6:7] offset:8
.LBB115_4:
	s_waitcnt vmcnt(0) lgkmcnt(0)
	v_cmp_eq_f64_e32 vcc, 0, v[0:1]
	v_cmp_eq_f64_e64 s[0:1], 0, v[2:3]
	s_and_b64 s[8:9], vcc, s[0:1]
	s_mov_b64 s[0:1], -1
	s_and_saveexec_b64 s[6:7], s[8:9]
; %bb.5:
	v_cmp_neq_f64_e32 vcc, 1.0, v[4:5]
	v_cmp_neq_f64_e64 s[0:1], 0, v[6:7]
	s_or_b64 s[0:1], vcc, s[0:1]
	s_orn2_b64 s[0:1], s[0:1], exec
; %bb.6:
	s_or_b64 exec, exec, s[6:7]
	s_and_saveexec_b64 s[6:7], s[0:1]
	s_cbranch_execz .LBB115_25
; %bb.7:
	s_load_dwordx2 s[0:1], s[2:3], 0x0
	v_lshrrev_b32_e32 v8, 6, v10
	v_lshl_or_b32 v8, s4, 1, v8
	s_waitcnt lgkmcnt(0)
	v_cmp_gt_i32_e32 vcc, s0, v8
	s_and_b64 exec, exec, vcc
	s_cbranch_execz .LBB115_25
; %bb.8:
	s_load_dwordx8 s[4:11], s[2:3], 0x18
	v_ashrrev_i32_e32 v9, 31, v8
	s_cmp_lg_u32 s1, 0
	s_waitcnt lgkmcnt(0)
	v_lshl_add_u64 v[12:13], v[8:9], 2, s[4:5]
	global_load_dwordx2 v[12:13], v[12:13], off
	v_and_b32_e32 v9, 63, v10
	s_waitcnt vmcnt(0)
	v_subrev_u32_e32 v10, s16, v12
	v_subrev_u32_e32 v28, s16, v13
	v_add_u32_e32 v22, v10, v9
	v_cmp_lt_i32_e64 s[0:1], v22, v28
	s_cbranch_scc0 .LBB115_14
; %bb.9:
	v_mov_b64_e32 v[16:17], 0
	s_mov_b64 s[4:5], 0
	v_mov_b64_e32 v[20:21], v[16:17]
	v_mov_b64_e32 v[12:13], v[16:17]
	;; [unrolled: 1-line block ×5, first 2 shown]
	s_and_saveexec_b64 s[12:13], s[0:1]
	s_cbranch_execz .LBB115_13
; %bb.10:
	v_mov_b64_e32 v[16:17], 0
	v_lshl_add_u32 v24, v22, 1, v22
	s_mov_b64 s[14:15], 0
	v_mov_b32_e32 v25, 0
	v_mov_b32_e32 v26, v22
	v_mov_b64_e32 v[20:21], v[16:17]
	v_mov_b64_e32 v[12:13], v[16:17]
	;; [unrolled: 1-line block ×5, first 2 shown]
.LBB115_11:                             ; =>This Inner Loop Header: Depth=1
	v_ashrrev_i32_e32 v27, 31, v26
	v_lshl_add_u64 v[30:31], v[26:27], 2, s[6:7]
	global_load_dword v23, v[30:31], off
	v_mov_b32_e32 v43, v25
	v_add_u32_e32 v34, 1, v24
	v_mov_b32_e32 v35, v25
	v_lshl_add_u64 v[30:31], v[24:25], 4, s[8:9]
	v_add_u32_e32 v36, 2, v24
	v_mov_b32_e32 v37, v25
	v_lshl_add_u64 v[44:45], v[34:35], 4, s[8:9]
	global_load_dwordx4 v[30:33], v[30:31], off
	v_lshl_add_u64 v[46:47], v[36:37], 4, s[8:9]
	global_load_dwordx4 v[34:37], v[44:45], off
	global_load_dwordx4 v[38:41], v[46:47], off
	v_add_u32_e32 v26, 64, v26
	v_cmp_ge_i32_e32 vcc, v26, v28
	v_add_u32_e32 v24, 0xc0, v24
	s_or_b64 s[14:15], vcc, s[14:15]
	s_waitcnt vmcnt(3)
	v_subrev_u32_e32 v42, s16, v23
	v_lshl_add_u64 v[42:43], v[42:43], 4, s[10:11]
	global_load_dwordx4 v[42:45], v[42:43], off
	s_waitcnt vmcnt(0)
	v_fmac_f64_e32 v[20:21], v[30:31], v[42:43]
	v_fmac_f64_e32 v[16:17], v[32:33], v[42:43]
	;; [unrolled: 1-line block ×6, first 2 shown]
	v_fma_f64 v[20:21], -v[32:33], v[44:45], v[20:21]
	v_fmac_f64_e32 v[16:17], v[30:31], v[44:45]
	v_fma_f64 v[18:19], -v[36:37], v[44:45], v[18:19]
	v_fmac_f64_e32 v[14:15], v[34:35], v[44:45]
	;; [unrolled: 2-line block ×3, first 2 shown]
	s_andn2_b64 exec, exec, s[14:15]
	s_cbranch_execnz .LBB115_11
; %bb.12:
	s_or_b64 exec, exec, s[14:15]
.LBB115_13:
	s_or_b64 exec, exec, s[12:13]
	s_andn2_b64 vcc, exec, s[4:5]
	s_cbranch_vccz .LBB115_15
	s_branch .LBB115_20
.LBB115_14:
                                        ; implicit-def: $vgpr16_vgpr17
                                        ; implicit-def: $vgpr20_vgpr21
                                        ; implicit-def: $vgpr12_vgpr13
                                        ; implicit-def: $vgpr10_vgpr11
                                        ; implicit-def: $vgpr18_vgpr19
                                        ; implicit-def: $vgpr14_vgpr15
.LBB115_15:
	v_mov_b64_e32 v[16:17], 0
	v_mov_b64_e32 v[20:21], v[16:17]
	v_mov_b64_e32 v[12:13], v[16:17]
	v_mov_b64_e32 v[10:11], v[16:17]
	v_mov_b64_e32 v[18:19], v[16:17]
	v_mov_b64_e32 v[14:15], v[16:17]
	s_and_saveexec_b64 s[4:5], s[0:1]
	s_cbranch_execz .LBB115_19
; %bb.16:
	v_mov_b64_e32 v[16:17], 0
	v_lshl_add_u32 v24, v22, 1, v22
	s_mov_b64 s[0:1], 0
	v_mov_b32_e32 v25, 0
	v_mov_b64_e32 v[20:21], v[16:17]
	v_mov_b64_e32 v[12:13], v[16:17]
	;; [unrolled: 1-line block ×5, first 2 shown]
.LBB115_17:                             ; =>This Inner Loop Header: Depth=1
	v_ashrrev_i32_e32 v23, 31, v22
	v_lshl_add_u64 v[26:27], v[22:23], 2, s[6:7]
	global_load_dword v23, v[26:27], off
	v_lshl_add_u64 v[26:27], v[24:25], 4, s[8:9]
	v_add_u32_e32 v34, 1, v24
	v_mov_b32_e32 v35, v25
	v_mov_b32_e32 v43, v25
	v_add_u32_e32 v36, 2, v24
	v_mov_b32_e32 v37, v25
	global_load_dwordx4 v[30:33], v[26:27], off
	v_lshl_add_u64 v[26:27], v[34:35], 4, s[8:9]
	v_lshl_add_u64 v[44:45], v[36:37], 4, s[8:9]
	global_load_dwordx4 v[34:37], v[26:27], off
	global_load_dwordx4 v[38:41], v[44:45], off
	v_add_u32_e32 v22, 64, v22
	v_cmp_ge_i32_e32 vcc, v22, v28
	v_add_u32_e32 v24, 0xc0, v24
	s_or_b64 s[0:1], vcc, s[0:1]
	s_waitcnt vmcnt(3)
	v_subrev_u32_e32 v42, s16, v23
	v_lshl_add_u64 v[26:27], v[42:43], 4, s[10:11]
	global_load_dwordx4 v[42:45], v[26:27], off
	s_waitcnt vmcnt(0)
	v_fmac_f64_e32 v[20:21], v[30:31], v[42:43]
	v_fmac_f64_e32 v[16:17], v[32:33], v[42:43]
	;; [unrolled: 1-line block ×6, first 2 shown]
	v_fma_f64 v[20:21], -v[32:33], v[44:45], v[20:21]
	v_fmac_f64_e32 v[16:17], v[30:31], v[44:45]
	v_fma_f64 v[18:19], -v[36:37], v[44:45], v[18:19]
	v_fmac_f64_e32 v[14:15], v[34:35], v[44:45]
	;; [unrolled: 2-line block ×3, first 2 shown]
	s_andn2_b64 exec, exec, s[0:1]
	s_cbranch_execnz .LBB115_17
; %bb.18:
	s_or_b64 exec, exec, s[0:1]
.LBB115_19:
	s_or_b64 exec, exec, s[4:5]
.LBB115_20:
	v_mov_b32_dpp v24, v16 row_shr:1 row_mask:0xf bank_mask:0xf
	v_mov_b32_dpp v25, v17 row_shr:1 row_mask:0xf bank_mask:0xf
	v_add_f64 v[16:17], v[16:17], v[24:25]
	v_mov_b32_dpp v22, v20 row_shr:1 row_mask:0xf bank_mask:0xf
	v_mov_b32_dpp v23, v21 row_shr:1 row_mask:0xf bank_mask:0xf
	v_mov_b32_dpp v24, v16 row_shr:2 row_mask:0xf bank_mask:0xf
	v_mov_b32_dpp v25, v17 row_shr:2 row_mask:0xf bank_mask:0xf
	v_add_f64 v[16:17], v[16:17], v[24:25]
	v_add_f64 v[20:21], v[20:21], v[22:23]
	v_cmp_eq_u32_e32 vcc, 63, v9
	v_mov_b32_dpp v24, v16 row_shr:4 row_mask:0xf bank_mask:0xe
	v_mov_b32_dpp v25, v17 row_shr:4 row_mask:0xf bank_mask:0xe
	v_add_f64 v[16:17], v[16:17], v[24:25]
	v_mov_b32_dpp v22, v20 row_shr:2 row_mask:0xf bank_mask:0xf
	v_mov_b32_dpp v23, v21 row_shr:2 row_mask:0xf bank_mask:0xf
	;; [unrolled: 1-line block ×4, first 2 shown]
	v_add_f64 v[16:17], v[16:17], v[24:25]
	v_add_f64 v[20:21], v[20:21], v[22:23]
	s_nop 0
	v_mov_b32_dpp v24, v16 row_bcast:15 row_mask:0xa bank_mask:0xf
	v_mov_b32_dpp v25, v17 row_bcast:15 row_mask:0xa bank_mask:0xf
	v_add_f64 v[24:25], v[16:17], v[24:25]
	v_mov_b32_dpp v16, v18 row_shr:1 row_mask:0xf bank_mask:0xf
	v_mov_b32_dpp v17, v19 row_shr:1 row_mask:0xf bank_mask:0xf
	v_add_f64 v[16:17], v[18:19], v[16:17]
	v_mov_b32_dpp v22, v20 row_shr:4 row_mask:0xf bank_mask:0xe
	v_mov_b32_dpp v23, v21 row_shr:4 row_mask:0xf bank_mask:0xe
	;; [unrolled: 1-line block ×4, first 2 shown]
	v_add_f64 v[16:17], v[16:17], v[18:19]
	v_add_f64 v[20:21], v[20:21], v[22:23]
	v_mov_b32_dpp v26, v24 row_bcast:31 row_mask:0xc bank_mask:0xf
	v_mov_b32_dpp v18, v16 row_shr:4 row_mask:0xf bank_mask:0xe
	v_mov_b32_dpp v19, v17 row_shr:4 row_mask:0xf bank_mask:0xe
	v_add_f64 v[16:17], v[16:17], v[18:19]
	v_mov_b32_dpp v22, v20 row_shr:8 row_mask:0xf bank_mask:0xc
	v_mov_b32_dpp v23, v21 row_shr:8 row_mask:0xf bank_mask:0xc
	;; [unrolled: 1-line block ×4, first 2 shown]
	v_add_f64 v[16:17], v[16:17], v[18:19]
	v_add_f64 v[20:21], v[20:21], v[22:23]
	v_mov_b32_dpp v27, v25 row_bcast:31 row_mask:0xc bank_mask:0xf
	v_mov_b32_dpp v18, v16 row_bcast:15 row_mask:0xa bank_mask:0xf
	;; [unrolled: 1-line block ×3, first 2 shown]
	v_add_f64 v[18:19], v[16:17], v[18:19]
	v_mov_b32_dpp v16, v14 row_shr:1 row_mask:0xf bank_mask:0xf
	v_mov_b32_dpp v17, v15 row_shr:1 row_mask:0xf bank_mask:0xf
	v_add_f64 v[14:15], v[14:15], v[16:17]
	v_mov_b32_dpp v22, v20 row_bcast:15 row_mask:0xa bank_mask:0xf
	v_mov_b32_dpp v23, v21 row_bcast:15 row_mask:0xa bank_mask:0xf
	v_mov_b32_dpp v16, v14 row_shr:2 row_mask:0xf bank_mask:0xf
	v_mov_b32_dpp v17, v15 row_shr:2 row_mask:0xf bank_mask:0xf
	v_add_f64 v[14:15], v[14:15], v[16:17]
	v_add_f64 v[20:21], v[20:21], v[22:23]
	v_mov_b32_dpp v28, v18 row_bcast:31 row_mask:0xc bank_mask:0xf
	v_mov_b32_dpp v16, v14 row_shr:4 row_mask:0xf bank_mask:0xe
	v_mov_b32_dpp v17, v15 row_shr:4 row_mask:0xf bank_mask:0xe
	v_add_f64 v[14:15], v[14:15], v[16:17]
	v_mov_b32_dpp v22, v20 row_bcast:31 row_mask:0xc bank_mask:0xf
	v_mov_b32_dpp v23, v21 row_bcast:31 row_mask:0xc bank_mask:0xf
	v_mov_b32_dpp v16, v14 row_shr:8 row_mask:0xf bank_mask:0xc
	v_mov_b32_dpp v17, v15 row_shr:8 row_mask:0xf bank_mask:0xc
	v_add_f64 v[14:15], v[14:15], v[16:17]
	v_mov_b32_dpp v29, v19 row_bcast:31 row_mask:0xc bank_mask:0xf
	s_nop 0
	v_mov_b32_dpp v16, v14 row_bcast:15 row_mask:0xa bank_mask:0xf
	v_mov_b32_dpp v17, v15 row_bcast:15 row_mask:0xa bank_mask:0xf
	v_add_f64 v[14:15], v[14:15], v[16:17]
	v_mov_b32_dpp v16, v12 row_shr:1 row_mask:0xf bank_mask:0xf
	v_mov_b32_dpp v17, v13 row_shr:1 row_mask:0xf bank_mask:0xf
	v_add_f64 v[12:13], v[12:13], v[16:17]
	v_mov_b32_dpp v30, v14 row_bcast:31 row_mask:0xc bank_mask:0xf
	v_mov_b32_dpp v31, v15 row_bcast:31 row_mask:0xc bank_mask:0xf
	v_mov_b32_dpp v16, v12 row_shr:2 row_mask:0xf bank_mask:0xf
	v_mov_b32_dpp v17, v13 row_shr:2 row_mask:0xf bank_mask:0xf
	v_add_f64 v[12:13], v[12:13], v[16:17]
	s_nop 1
	v_mov_b32_dpp v16, v12 row_shr:4 row_mask:0xf bank_mask:0xe
	v_mov_b32_dpp v17, v13 row_shr:4 row_mask:0xf bank_mask:0xe
	v_add_f64 v[12:13], v[12:13], v[16:17]
	s_nop 1
	;; [unrolled: 4-line block ×3, first 2 shown]
	v_mov_b32_dpp v16, v12 row_bcast:15 row_mask:0xa bank_mask:0xf
	v_mov_b32_dpp v17, v13 row_bcast:15 row_mask:0xa bank_mask:0xf
	v_add_f64 v[32:33], v[12:13], v[16:17]
	v_mov_b32_dpp v12, v10 row_shr:1 row_mask:0xf bank_mask:0xf
	v_mov_b32_dpp v13, v11 row_shr:1 row_mask:0xf bank_mask:0xf
	v_add_f64 v[10:11], v[10:11], v[12:13]
	v_mov_b32_dpp v34, v32 row_bcast:31 row_mask:0xc bank_mask:0xf
	v_mov_b32_dpp v35, v33 row_bcast:31 row_mask:0xc bank_mask:0xf
	v_mov_b32_dpp v12, v10 row_shr:2 row_mask:0xf bank_mask:0xf
	v_mov_b32_dpp v13, v11 row_shr:2 row_mask:0xf bank_mask:0xf
	v_add_f64 v[10:11], v[10:11], v[12:13]
	s_nop 1
	v_mov_b32_dpp v12, v10 row_shr:4 row_mask:0xf bank_mask:0xe
	v_mov_b32_dpp v13, v11 row_shr:4 row_mask:0xf bank_mask:0xe
	v_add_f64 v[10:11], v[10:11], v[12:13]
	s_nop 1
	;; [unrolled: 4-line block ×3, first 2 shown]
	v_mov_b32_dpp v12, v10 row_bcast:15 row_mask:0xa bank_mask:0xf
	v_mov_b32_dpp v13, v11 row_bcast:15 row_mask:0xa bank_mask:0xf
	v_add_f64 v[36:37], v[10:11], v[12:13]
	s_nop 1
	v_mov_b32_dpp v38, v36 row_bcast:31 row_mask:0xc bank_mask:0xf
	v_mov_b32_dpp v39, v37 row_bcast:31 row_mask:0xc bank_mask:0xf
	s_and_b64 exec, exec, vcc
	s_cbranch_execz .LBB115_25
; %bb.21:
	s_load_dwordx2 s[2:3], s[2:3], 0x48
	v_cmp_eq_f64_e32 vcc, 0, v[4:5]
	v_cmp_eq_f64_e64 s[0:1], 0, v[6:7]
	v_add_f64 v[16:17], v[20:21], v[22:23]
	v_add_f64 v[20:21], v[24:25], v[26:27]
	v_add_f64 v[12:13], v[18:19], v[28:29]
	v_add_f64 v[18:19], v[14:15], v[30:31]
	v_add_f64 v[10:11], v[32:33], v[34:35]
	v_add_f64 v[14:15], v[36:37], v[38:39]
	s_and_b64 s[0:1], vcc, s[0:1]
	s_and_saveexec_b64 s[4:5], s[0:1]
	s_xor_b64 s[0:1], exec, s[4:5]
	s_cbranch_execz .LBB115_23
; %bb.22:
	v_lshl_add_u32 v8, v8, 1, v8
	v_mul_f64 v[4:5], v[20:21], -v[2:3]
	v_mul_f64 v[6:7], v[0:1], v[20:21]
	v_ashrrev_i32_e32 v9, 31, v8
	v_fmac_f64_e32 v[4:5], v[0:1], v[16:17]
	v_fmac_f64_e32 v[6:7], v[2:3], v[16:17]
	s_waitcnt lgkmcnt(0)
	v_lshl_add_u64 v[8:9], v[8:9], 4, s[2:3]
	global_store_dwordx4 v[8:9], v[4:7], off
                                        ; implicit-def: $vgpr16_vgpr17
                                        ; implicit-def: $vgpr20_vgpr21
	s_nop 1
	v_mul_f64 v[4:5], v[18:19], -v[2:3]
	v_mul_f64 v[6:7], v[0:1], v[18:19]
	v_fmac_f64_e32 v[4:5], v[0:1], v[12:13]
	v_fmac_f64_e32 v[6:7], v[2:3], v[12:13]
	global_store_dwordx4 v[8:9], v[4:7], off offset:16
                                        ; implicit-def: $vgpr12_vgpr13
                                        ; implicit-def: $vgpr18_vgpr19
	s_nop 1
	v_mul_f64 v[4:5], v[14:15], -v[2:3]
	v_mul_f64 v[6:7], v[0:1], v[14:15]
	v_fmac_f64_e32 v[4:5], v[0:1], v[10:11]
	v_fmac_f64_e32 v[6:7], v[2:3], v[10:11]
	global_store_dwordx4 v[8:9], v[4:7], off offset:32
                                        ; implicit-def: $vgpr0_vgpr1
                                        ; implicit-def: $vgpr2_vgpr3
                                        ; implicit-def: $vgpr4_vgpr5
                                        ; implicit-def: $vgpr6_vgpr7
                                        ; implicit-def: $vgpr8
                                        ; implicit-def: $vgpr10_vgpr11
                                        ; implicit-def: $vgpr14_vgpr15
.LBB115_23:
	s_andn2_saveexec_b64 s[0:1], s[0:1]
	s_cbranch_execz .LBB115_25
; %bb.24:
	v_lshl_add_u32 v8, v8, 1, v8
	v_ashrrev_i32_e32 v9, 31, v8
	s_waitcnt lgkmcnt(0)
	v_lshl_add_u64 v[38:39], v[8:9], 4, s[2:3]
	global_load_dwordx4 v[22:25], v[38:39], off
	global_load_dwordx4 v[26:29], v[38:39], off offset:16
	global_load_dwordx4 v[30:33], v[38:39], off offset:32
	v_mul_f64 v[34:35], v[20:21], -v[2:3]
	v_mul_f64 v[20:21], v[0:1], v[20:21]
	v_mul_f64 v[40:41], v[18:19], -v[2:3]
	v_mul_f64 v[36:37], v[0:1], v[18:19]
	;; [unrolled: 2-line block ×3, first 2 shown]
	v_fmac_f64_e32 v[34:35], v[0:1], v[16:17]
	v_fmac_f64_e32 v[20:21], v[2:3], v[16:17]
	;; [unrolled: 1-line block ×6, first 2 shown]
	s_waitcnt vmcnt(2)
	v_fmac_f64_e32 v[34:35], v[4:5], v[22:23]
	v_fmac_f64_e32 v[20:21], v[6:7], v[22:23]
	s_waitcnt vmcnt(1)
	v_fmac_f64_e32 v[40:41], v[4:5], v[26:27]
	v_fmac_f64_e32 v[36:37], v[6:7], v[26:27]
	;; [unrolled: 3-line block ×3, first 2 shown]
	v_fma_f64 v[18:19], -v[6:7], v[24:25], v[34:35]
	v_fmac_f64_e32 v[20:21], v[4:5], v[24:25]
	v_fma_f64 v[34:35], -v[6:7], v[28:29], v[40:41]
	v_fmac_f64_e32 v[36:37], v[4:5], v[28:29]
	;; [unrolled: 2-line block ×3, first 2 shown]
	global_store_dwordx4 v[38:39], v[18:21], off
	global_store_dwordx4 v[38:39], v[34:37], off offset:16
	global_store_dwordx4 v[38:39], v[6:9], off offset:32
.LBB115_25:
	s_endpgm
	.section	.rodata,"a",@progbits
	.p2align	6, 0x0
	.amdhsa_kernel _ZN9rocsparseL19gebsrmvn_3xn_kernelILj128ELj1ELj64E21rocsparse_complex_numIdEEEvi20rocsparse_direction_NS_24const_host_device_scalarIT2_EEPKiS8_PKS5_SA_S6_PS5_21rocsparse_index_base_b
		.amdhsa_group_segment_fixed_size 2048
		.amdhsa_private_segment_fixed_size 0
		.amdhsa_kernarg_size 88
		.amdhsa_user_sgpr_count 4
		.amdhsa_user_sgpr_dispatch_ptr 1
		.amdhsa_user_sgpr_queue_ptr 0
		.amdhsa_user_sgpr_kernarg_segment_ptr 1
		.amdhsa_user_sgpr_dispatch_id 0
		.amdhsa_user_sgpr_kernarg_preload_length 0
		.amdhsa_user_sgpr_kernarg_preload_offset 0
		.amdhsa_user_sgpr_private_segment_size 0
		.amdhsa_uses_dynamic_stack 0
		.amdhsa_enable_private_segment 0
		.amdhsa_system_sgpr_workgroup_id_x 1
		.amdhsa_system_sgpr_workgroup_id_y 0
		.amdhsa_system_sgpr_workgroup_id_z 0
		.amdhsa_system_sgpr_workgroup_info 0
		.amdhsa_system_vgpr_workitem_id 2
		.amdhsa_next_free_vgpr 48
		.amdhsa_next_free_sgpr 20
		.amdhsa_accum_offset 48
		.amdhsa_reserve_vcc 1
		.amdhsa_float_round_mode_32 0
		.amdhsa_float_round_mode_16_64 0
		.amdhsa_float_denorm_mode_32 3
		.amdhsa_float_denorm_mode_16_64 3
		.amdhsa_dx10_clamp 1
		.amdhsa_ieee_mode 1
		.amdhsa_fp16_overflow 0
		.amdhsa_tg_split 0
		.amdhsa_exception_fp_ieee_invalid_op 0
		.amdhsa_exception_fp_denorm_src 0
		.amdhsa_exception_fp_ieee_div_zero 0
		.amdhsa_exception_fp_ieee_overflow 0
		.amdhsa_exception_fp_ieee_underflow 0
		.amdhsa_exception_fp_ieee_inexact 0
		.amdhsa_exception_int_div_zero 0
	.end_amdhsa_kernel
	.section	.text._ZN9rocsparseL19gebsrmvn_3xn_kernelILj128ELj1ELj64E21rocsparse_complex_numIdEEEvi20rocsparse_direction_NS_24const_host_device_scalarIT2_EEPKiS8_PKS5_SA_S6_PS5_21rocsparse_index_base_b,"axG",@progbits,_ZN9rocsparseL19gebsrmvn_3xn_kernelILj128ELj1ELj64E21rocsparse_complex_numIdEEEvi20rocsparse_direction_NS_24const_host_device_scalarIT2_EEPKiS8_PKS5_SA_S6_PS5_21rocsparse_index_base_b,comdat
.Lfunc_end115:
	.size	_ZN9rocsparseL19gebsrmvn_3xn_kernelILj128ELj1ELj64E21rocsparse_complex_numIdEEEvi20rocsparse_direction_NS_24const_host_device_scalarIT2_EEPKiS8_PKS5_SA_S6_PS5_21rocsparse_index_base_b, .Lfunc_end115-_ZN9rocsparseL19gebsrmvn_3xn_kernelILj128ELj1ELj64E21rocsparse_complex_numIdEEEvi20rocsparse_direction_NS_24const_host_device_scalarIT2_EEPKiS8_PKS5_SA_S6_PS5_21rocsparse_index_base_b
                                        ; -- End function
	.section	.AMDGPU.csdata,"",@progbits
; Kernel info:
; codeLenInByte = 2292
; NumSgprs: 26
; NumVgprs: 48
; NumAgprs: 0
; TotalNumVgprs: 48
; ScratchSize: 0
; MemoryBound: 0
; FloatMode: 240
; IeeeMode: 1
; LDSByteSize: 2048 bytes/workgroup (compile time only)
; SGPRBlocks: 3
; VGPRBlocks: 5
; NumSGPRsForWavesPerEU: 26
; NumVGPRsForWavesPerEU: 48
; AccumOffset: 48
; Occupancy: 8
; WaveLimiterHint : 1
; COMPUTE_PGM_RSRC2:SCRATCH_EN: 0
; COMPUTE_PGM_RSRC2:USER_SGPR: 4
; COMPUTE_PGM_RSRC2:TRAP_HANDLER: 0
; COMPUTE_PGM_RSRC2:TGID_X_EN: 1
; COMPUTE_PGM_RSRC2:TGID_Y_EN: 0
; COMPUTE_PGM_RSRC2:TGID_Z_EN: 0
; COMPUTE_PGM_RSRC2:TIDIG_COMP_CNT: 2
; COMPUTE_PGM_RSRC3_GFX90A:ACCUM_OFFSET: 11
; COMPUTE_PGM_RSRC3_GFX90A:TG_SPLIT: 0
	.section	.text._ZN9rocsparseL19gebsrmvn_3xn_kernelILj128ELj2ELj4E21rocsparse_complex_numIdEEEvi20rocsparse_direction_NS_24const_host_device_scalarIT2_EEPKiS8_PKS5_SA_S6_PS5_21rocsparse_index_base_b,"axG",@progbits,_ZN9rocsparseL19gebsrmvn_3xn_kernelILj128ELj2ELj4E21rocsparse_complex_numIdEEEvi20rocsparse_direction_NS_24const_host_device_scalarIT2_EEPKiS8_PKS5_SA_S6_PS5_21rocsparse_index_base_b,comdat
	.globl	_ZN9rocsparseL19gebsrmvn_3xn_kernelILj128ELj2ELj4E21rocsparse_complex_numIdEEEvi20rocsparse_direction_NS_24const_host_device_scalarIT2_EEPKiS8_PKS5_SA_S6_PS5_21rocsparse_index_base_b ; -- Begin function _ZN9rocsparseL19gebsrmvn_3xn_kernelILj128ELj2ELj4E21rocsparse_complex_numIdEEEvi20rocsparse_direction_NS_24const_host_device_scalarIT2_EEPKiS8_PKS5_SA_S6_PS5_21rocsparse_index_base_b
	.p2align	8
	.type	_ZN9rocsparseL19gebsrmvn_3xn_kernelILj128ELj2ELj4E21rocsparse_complex_numIdEEEvi20rocsparse_direction_NS_24const_host_device_scalarIT2_EEPKiS8_PKS5_SA_S6_PS5_21rocsparse_index_base_b,@function
_ZN9rocsparseL19gebsrmvn_3xn_kernelILj128ELj2ELj4E21rocsparse_complex_numIdEEEvi20rocsparse_direction_NS_24const_host_device_scalarIT2_EEPKiS8_PKS5_SA_S6_PS5_21rocsparse_index_base_b: ; @_ZN9rocsparseL19gebsrmvn_3xn_kernelILj128ELj2ELj4E21rocsparse_complex_numIdEEEvi20rocsparse_direction_NS_24const_host_device_scalarIT2_EEPKiS8_PKS5_SA_S6_PS5_21rocsparse_index_base_b
; %bb.0:
	s_load_dwordx2 s[16:17], s[2:3], 0x50
	s_load_dwordx4 s[12:15], s[2:3], 0x8
	s_load_dwordx4 s[8:11], s[2:3], 0x38
	s_load_dwordx2 s[18:19], s[0:1], 0x4
	s_mov_b64 s[6:7], src_shared_base
	s_waitcnt lgkmcnt(0)
	s_bitcmp1_b32 s17, 0
	s_cselect_b64 s[0:1], -1, 0
	s_and_b64 vcc, s[0:1], exec
	s_cselect_b32 s5, s7, s13
	s_lshr_b32 s6, s18, 16
	v_bfe_u32 v1, v0, 10, 10
	v_and_b32_e32 v10, 0x3ff, v0
	s_mul_i32 s6, s6, s19
	v_mul_u32_u24_e32 v1, s19, v1
	v_mad_u32_u24 v1, s6, v10, v1
	v_bfe_u32 v0, v0, 20, 10
	v_add_lshl_u32 v4, v1, v0, 3
	v_mov_b32_e32 v5, s12
	v_add_u32_e32 v6, 0x400, v4
	v_mov_b64_e32 v[0:1], s[12:13]
	v_mov_b64_e32 v[2:3], s[8:9]
	ds_write2st64_b64 v4, v[2:3], v[0:1] offset1:2
	v_cndmask_b32_e64 v0, v5, v6, s[0:1]
	v_mov_b32_e32 v1, s5
	flat_load_dwordx2 v[0:1], v[0:1]
	s_xor_b64 s[18:19], s[0:1], -1
	v_mov_b64_e32 v[2:3], s[14:15]
	s_cbranch_vccnz .LBB116_2
; %bb.1:
	v_mov_b64_e32 v[2:3], s[12:13]
	flat_load_dwordx2 v[2:3], v[2:3] offset:8
.LBB116_2:
	s_and_b64 s[12:13], s[0:1], exec
	s_cselect_b32 s5, s7, s9
	v_mov_b32_e32 v5, s8
	v_cndmask_b32_e64 v4, v5, v4, s[0:1]
	v_mov_b32_e32 v5, s5
	flat_load_dwordx2 v[4:5], v[4:5]
	s_andn2_b64 vcc, exec, s[18:19]
	v_mov_b64_e32 v[6:7], s[10:11]
	s_cbranch_vccnz .LBB116_4
; %bb.3:
	v_mov_b64_e32 v[6:7], s[8:9]
	flat_load_dwordx2 v[6:7], v[6:7] offset:8
.LBB116_4:
	s_waitcnt vmcnt(0) lgkmcnt(0)
	v_cmp_eq_f64_e32 vcc, 0, v[0:1]
	v_cmp_eq_f64_e64 s[0:1], 0, v[2:3]
	s_and_b64 s[8:9], vcc, s[0:1]
	s_mov_b64 s[0:1], -1
	s_and_saveexec_b64 s[6:7], s[8:9]
; %bb.5:
	v_cmp_neq_f64_e32 vcc, 1.0, v[4:5]
	v_cmp_neq_f64_e64 s[0:1], 0, v[6:7]
	s_or_b64 s[0:1], vcc, s[0:1]
	s_orn2_b64 s[0:1], s[0:1], exec
; %bb.6:
	s_or_b64 exec, exec, s[6:7]
	s_and_saveexec_b64 s[6:7], s[0:1]
	s_cbranch_execz .LBB116_25
; %bb.7:
	s_load_dwordx2 s[0:1], s[2:3], 0x0
	v_lshrrev_b32_e32 v8, 2, v10
	v_lshl_or_b32 v8, s4, 5, v8
	s_waitcnt lgkmcnt(0)
	v_cmp_gt_i32_e32 vcc, s0, v8
	s_and_b64 exec, exec, vcc
	s_cbranch_execz .LBB116_25
; %bb.8:
	s_load_dwordx8 s[4:11], s[2:3], 0x18
	v_ashrrev_i32_e32 v9, 31, v8
	s_cmp_lg_u32 s1, 0
	s_waitcnt lgkmcnt(0)
	v_lshl_add_u64 v[12:13], v[8:9], 2, s[4:5]
	global_load_dwordx2 v[12:13], v[12:13], off
	v_and_b32_e32 v9, 3, v10
	s_waitcnt vmcnt(0)
	v_subrev_u32_e32 v10, s16, v12
	v_subrev_u32_e32 v30, s16, v13
	v_add_u32_e32 v18, v10, v9
	v_cmp_lt_i32_e64 s[0:1], v18, v30
	s_cbranch_scc0 .LBB116_14
; %bb.9:
	v_mov_b64_e32 v[12:13], 0
	s_mov_b64 s[4:5], 0
	v_mov_b64_e32 v[20:21], v[12:13]
	v_mov_b64_e32 v[16:17], v[12:13]
	;; [unrolled: 1-line block ×5, first 2 shown]
	s_and_saveexec_b64 s[12:13], s[0:1]
	s_cbranch_execz .LBB116_13
; %bb.10:
	v_mad_u64_u32 v[24:25], s[14:15], v18, 6, 5
	v_mov_b64_e32 v[12:13], 0
	s_mov_b64 s[14:15], 0
	v_mov_b32_e32 v27, 0
	v_mov_b32_e32 v28, v18
	v_mov_b64_e32 v[20:21], v[12:13]
	v_mov_b64_e32 v[16:17], v[12:13]
	;; [unrolled: 1-line block ×5, first 2 shown]
.LBB116_11:                             ; =>This Inner Loop Header: Depth=1
	v_ashrrev_i32_e32 v29, 31, v28
	v_lshl_add_u64 v[32:33], v[28:29], 2, s[6:7]
	global_load_dword v19, v[32:33], off
	v_add_u32_e32 v26, -5, v24
	v_lshl_add_u64 v[40:41], v[26:27], 4, s[8:9]
	v_add_u32_e32 v26, -3, v24
	v_lshl_add_u64 v[48:49], v[26:27], 4, s[8:9]
	v_add_u32_e32 v26, -2, v24
	v_mov_b32_e32 v53, v27
	global_load_dwordx4 v[32:35], v[40:41], off offset:16
	global_load_dwordx4 v[36:39], v[40:41], off
	v_lshl_add_u64 v[50:51], v[26:27], 4, s[8:9]
	v_add_u32_e32 v26, -1, v24
	v_mov_b32_e32 v25, v27
	global_load_dwordx4 v[40:43], v[48:49], off
	global_load_dwordx4 v[44:47], v[50:51], off
	v_lshl_add_u64 v[48:49], v[26:27], 4, s[8:9]
	v_lshl_add_u64 v[64:65], v[24:25], 4, s[8:9]
	global_load_dwordx4 v[48:51], v[48:49], off
	v_add_u32_e32 v28, 4, v28
	v_cmp_ge_i32_e32 vcc, v28, v30
	v_add_u32_e32 v24, 24, v24
	s_or_b64 s[14:15], vcc, s[14:15]
	s_waitcnt vmcnt(5)
	v_subrev_u32_e32 v19, s16, v19
	v_lshlrev_b32_e32 v52, 1, v19
	v_lshl_add_u64 v[66:67], v[52:53], 4, s[10:11]
	global_load_dwordx4 v[52:55], v[66:67], off
	global_load_dwordx4 v[56:59], v[66:67], off offset:16
	global_load_dwordx4 v[60:63], v[64:65], off
	s_waitcnt vmcnt(2)
	v_fmac_f64_e32 v[20:21], v[36:37], v[52:53]
	v_fmac_f64_e32 v[12:13], v[38:39], v[52:53]
	;; [unrolled: 1-line block ×6, first 2 shown]
	v_fma_f64 v[20:21], -v[38:39], v[54:55], v[20:21]
	v_fmac_f64_e32 v[12:13], v[36:37], v[54:55]
	v_fma_f64 v[22:23], -v[34:35], v[54:55], v[22:23]
	v_fmac_f64_e32 v[14:15], v[32:33], v[54:55]
	;; [unrolled: 2-line block ×3, first 2 shown]
	s_waitcnt vmcnt(1)
	v_fmac_f64_e32 v[20:21], v[44:45], v[56:57]
	v_fmac_f64_e32 v[12:13], v[46:47], v[56:57]
	;; [unrolled: 1-line block ×4, first 2 shown]
	s_waitcnt vmcnt(0)
	v_fmac_f64_e32 v[16:17], v[60:61], v[56:57]
	v_fmac_f64_e32 v[10:11], v[62:63], v[56:57]
	v_fma_f64 v[20:21], -v[46:47], v[58:59], v[20:21]
	v_fmac_f64_e32 v[12:13], v[44:45], v[58:59]
	v_fma_f64 v[22:23], -v[50:51], v[58:59], v[22:23]
	v_fmac_f64_e32 v[14:15], v[48:49], v[58:59]
	v_fma_f64 v[16:17], -v[62:63], v[58:59], v[16:17]
	v_fmac_f64_e32 v[10:11], v[60:61], v[58:59]
	s_andn2_b64 exec, exec, s[14:15]
	s_cbranch_execnz .LBB116_11
; %bb.12:
	s_or_b64 exec, exec, s[14:15]
.LBB116_13:
	s_or_b64 exec, exec, s[12:13]
	s_andn2_b64 vcc, exec, s[4:5]
	s_cbranch_vccz .LBB116_15
	s_branch .LBB116_20
.LBB116_14:
                                        ; implicit-def: $vgpr12_vgpr13
                                        ; implicit-def: $vgpr20_vgpr21
                                        ; implicit-def: $vgpr16_vgpr17
                                        ; implicit-def: $vgpr10_vgpr11
                                        ; implicit-def: $vgpr22_vgpr23
                                        ; implicit-def: $vgpr14_vgpr15
.LBB116_15:
	v_mov_b64_e32 v[12:13], 0
	v_mov_b64_e32 v[20:21], v[12:13]
	;; [unrolled: 1-line block ×6, first 2 shown]
	s_and_saveexec_b64 s[4:5], s[0:1]
	s_cbranch_execz .LBB116_19
; %bb.16:
	v_mad_u64_u32 v[24:25], s[0:1], v18, 6, 5
	v_mov_b64_e32 v[12:13], 0
	s_mov_b64 s[0:1], 0
	v_mov_b32_e32 v27, 0
	v_mov_b64_e32 v[20:21], v[12:13]
	v_mov_b64_e32 v[16:17], v[12:13]
	;; [unrolled: 1-line block ×5, first 2 shown]
.LBB116_17:                             ; =>This Inner Loop Header: Depth=1
	v_ashrrev_i32_e32 v19, 31, v18
	v_lshl_add_u64 v[28:29], v[18:19], 2, s[6:7]
	global_load_dword v19, v[28:29], off
	v_add_u32_e32 v26, -5, v24
	v_add_u32_e32 v28, -3, v24
	v_mov_b32_e32 v29, v27
	v_add_u32_e32 v32, -1, v24
	v_mov_b32_e32 v33, v27
	v_lshl_add_u64 v[48:49], v[26:27], 4, s[8:9]
	v_lshl_add_u64 v[28:29], v[28:29], 4, s[8:9]
	v_add_u32_e32 v26, -2, v24
	v_mov_b32_e32 v53, v27
	v_lshl_add_u64 v[50:51], v[32:33], 4, s[8:9]
	global_load_dwordx4 v[32:35], v[48:49], off offset:16
	global_load_dwordx4 v[36:39], v[48:49], off
	global_load_dwordx4 v[40:43], v[28:29], off
	;; [unrolled: 1-line block ×3, first 2 shown]
	v_lshl_add_u64 v[28:29], v[26:27], 4, s[8:9]
	v_mov_b32_e32 v25, v27
	global_load_dwordx4 v[48:51], v[28:29], off
	v_lshl_add_u64 v[64:65], v[24:25], 4, s[8:9]
	v_add_u32_e32 v18, 4, v18
	v_cmp_ge_i32_e32 vcc, v18, v30
	v_add_u32_e32 v24, 24, v24
	s_or_b64 s[0:1], vcc, s[0:1]
	s_waitcnt vmcnt(5)
	v_subrev_u32_e32 v19, s16, v19
	v_lshlrev_b32_e32 v52, 1, v19
	v_lshl_add_u64 v[28:29], v[52:53], 4, s[10:11]
	global_load_dwordx4 v[52:55], v[28:29], off
	global_load_dwordx4 v[56:59], v[28:29], off offset:16
	global_load_dwordx4 v[60:63], v[64:65], off
	s_waitcnt vmcnt(2)
	v_fmac_f64_e32 v[20:21], v[36:37], v[52:53]
	v_fmac_f64_e32 v[12:13], v[38:39], v[52:53]
	;; [unrolled: 1-line block ×6, first 2 shown]
	v_fma_f64 v[20:21], -v[38:39], v[54:55], v[20:21]
	v_fmac_f64_e32 v[12:13], v[36:37], v[54:55]
	v_fma_f64 v[22:23], -v[42:43], v[54:55], v[22:23]
	v_fmac_f64_e32 v[14:15], v[40:41], v[54:55]
	;; [unrolled: 2-line block ×3, first 2 shown]
	s_waitcnt vmcnt(1)
	v_fmac_f64_e32 v[20:21], v[32:33], v[56:57]
	v_fmac_f64_e32 v[12:13], v[34:35], v[56:57]
	v_fmac_f64_e32 v[22:23], v[48:49], v[56:57]
	v_fmac_f64_e32 v[14:15], v[50:51], v[56:57]
	s_waitcnt vmcnt(0)
	v_fmac_f64_e32 v[16:17], v[60:61], v[56:57]
	v_fmac_f64_e32 v[10:11], v[62:63], v[56:57]
	v_fma_f64 v[20:21], -v[34:35], v[58:59], v[20:21]
	v_fmac_f64_e32 v[12:13], v[32:33], v[58:59]
	v_fma_f64 v[22:23], -v[50:51], v[58:59], v[22:23]
	;; [unrolled: 2-line block ×3, first 2 shown]
	v_fmac_f64_e32 v[10:11], v[60:61], v[58:59]
	s_andn2_b64 exec, exec, s[0:1]
	s_cbranch_execnz .LBB116_17
; %bb.18:
	s_or_b64 exec, exec, s[0:1]
.LBB116_19:
	s_or_b64 exec, exec, s[4:5]
.LBB116_20:
	v_mov_b32_dpp v30, v16 row_shr:1 row_mask:0xf bank_mask:0xf
	v_mov_b32_dpp v31, v17 row_shr:1 row_mask:0xf bank_mask:0xf
	;; [unrolled: 1-line block ×10, first 2 shown]
	v_add_f64 v[30:31], v[16:17], v[30:31]
	v_mov_b32_dpp v16, v10 row_shr:1 row_mask:0xf bank_mask:0xf
	v_mov_b32_dpp v17, v11 row_shr:1 row_mask:0xf bank_mask:0xf
	v_add_f64 v[18:19], v[20:21], v[18:19]
	v_add_f64 v[12:13], v[12:13], v[24:25]
	;; [unrolled: 1-line block ×5, first 2 shown]
	v_mov_b32_dpp v20, v18 row_shr:2 row_mask:0xf bank_mask:0xf
	v_mov_b32_dpp v21, v19 row_shr:2 row_mask:0xf bank_mask:0xf
	v_mov_b32_dpp v24, v12 row_shr:2 row_mask:0xf bank_mask:0xf
	v_mov_b32_dpp v25, v13 row_shr:2 row_mask:0xf bank_mask:0xf
	v_mov_b32_dpp v26, v22 row_shr:2 row_mask:0xf bank_mask:0xf
	v_mov_b32_dpp v27, v23 row_shr:2 row_mask:0xf bank_mask:0xf
	v_mov_b32_dpp v28, v14 row_shr:2 row_mask:0xf bank_mask:0xf
	v_mov_b32_dpp v29, v15 row_shr:2 row_mask:0xf bank_mask:0xf
	v_mov_b32_dpp v32, v30 row_shr:2 row_mask:0xf bank_mask:0xf
	v_mov_b32_dpp v33, v31 row_shr:2 row_mask:0xf bank_mask:0xf
	v_mov_b32_dpp v36, v34 row_shr:2 row_mask:0xf bank_mask:0xf
	v_mov_b32_dpp v37, v35 row_shr:2 row_mask:0xf bank_mask:0xf
	v_cmp_eq_u32_e32 vcc, 3, v9
	s_and_b64 exec, exec, vcc
	s_cbranch_execz .LBB116_25
; %bb.21:
	s_load_dwordx2 s[2:3], s[2:3], 0x48
	v_cmp_eq_f64_e32 vcc, 0, v[4:5]
	v_cmp_eq_f64_e64 s[0:1], 0, v[6:7]
	v_add_f64 v[16:17], v[18:19], v[20:21]
	v_add_f64 v[20:21], v[12:13], v[24:25]
	;; [unrolled: 1-line block ×6, first 2 shown]
	s_and_b64 s[0:1], vcc, s[0:1]
	s_and_saveexec_b64 s[4:5], s[0:1]
	s_xor_b64 s[0:1], exec, s[4:5]
	s_cbranch_execz .LBB116_23
; %bb.22:
	v_lshl_add_u32 v8, v8, 1, v8
	v_mul_f64 v[4:5], v[20:21], -v[2:3]
	v_mul_f64 v[6:7], v[0:1], v[20:21]
	v_ashrrev_i32_e32 v9, 31, v8
	v_fmac_f64_e32 v[4:5], v[0:1], v[16:17]
	v_fmac_f64_e32 v[6:7], v[2:3], v[16:17]
	s_waitcnt lgkmcnt(0)
	v_lshl_add_u64 v[8:9], v[8:9], 4, s[2:3]
	global_store_dwordx4 v[8:9], v[4:7], off
                                        ; implicit-def: $vgpr16_vgpr17
                                        ; implicit-def: $vgpr20_vgpr21
	s_nop 1
	v_mul_f64 v[4:5], v[18:19], -v[2:3]
	v_mul_f64 v[6:7], v[0:1], v[18:19]
	v_fmac_f64_e32 v[4:5], v[0:1], v[12:13]
	v_fmac_f64_e32 v[6:7], v[2:3], v[12:13]
	global_store_dwordx4 v[8:9], v[4:7], off offset:16
                                        ; implicit-def: $vgpr12_vgpr13
                                        ; implicit-def: $vgpr18_vgpr19
	s_nop 1
	v_mul_f64 v[4:5], v[14:15], -v[2:3]
	v_mul_f64 v[6:7], v[0:1], v[14:15]
	v_fmac_f64_e32 v[4:5], v[0:1], v[10:11]
	v_fmac_f64_e32 v[6:7], v[2:3], v[10:11]
	global_store_dwordx4 v[8:9], v[4:7], off offset:32
                                        ; implicit-def: $vgpr0_vgpr1
                                        ; implicit-def: $vgpr2_vgpr3
                                        ; implicit-def: $vgpr4_vgpr5
                                        ; implicit-def: $vgpr6_vgpr7
                                        ; implicit-def: $vgpr8
                                        ; implicit-def: $vgpr10_vgpr11
                                        ; implicit-def: $vgpr14_vgpr15
.LBB116_23:
	s_andn2_saveexec_b64 s[0:1], s[0:1]
	s_cbranch_execz .LBB116_25
; %bb.24:
	v_lshl_add_u32 v8, v8, 1, v8
	v_ashrrev_i32_e32 v9, 31, v8
	s_waitcnt lgkmcnt(0)
	v_lshl_add_u64 v[38:39], v[8:9], 4, s[2:3]
	global_load_dwordx4 v[22:25], v[38:39], off
	global_load_dwordx4 v[26:29], v[38:39], off offset:16
	global_load_dwordx4 v[30:33], v[38:39], off offset:32
	v_mul_f64 v[34:35], v[20:21], -v[2:3]
	v_mul_f64 v[20:21], v[0:1], v[20:21]
	v_mul_f64 v[40:41], v[18:19], -v[2:3]
	v_mul_f64 v[36:37], v[0:1], v[18:19]
	;; [unrolled: 2-line block ×3, first 2 shown]
	v_fmac_f64_e32 v[34:35], v[0:1], v[16:17]
	v_fmac_f64_e32 v[20:21], v[2:3], v[16:17]
	;; [unrolled: 1-line block ×6, first 2 shown]
	s_waitcnt vmcnt(2)
	v_fmac_f64_e32 v[34:35], v[4:5], v[22:23]
	v_fmac_f64_e32 v[20:21], v[6:7], v[22:23]
	s_waitcnt vmcnt(1)
	v_fmac_f64_e32 v[40:41], v[4:5], v[26:27]
	v_fmac_f64_e32 v[36:37], v[6:7], v[26:27]
	;; [unrolled: 3-line block ×3, first 2 shown]
	v_fma_f64 v[18:19], -v[6:7], v[24:25], v[34:35]
	v_fmac_f64_e32 v[20:21], v[4:5], v[24:25]
	v_fma_f64 v[34:35], -v[6:7], v[28:29], v[40:41]
	v_fmac_f64_e32 v[36:37], v[4:5], v[28:29]
	;; [unrolled: 2-line block ×3, first 2 shown]
	global_store_dwordx4 v[38:39], v[18:21], off
	global_store_dwordx4 v[38:39], v[34:37], off offset:16
	global_store_dwordx4 v[38:39], v[6:9], off offset:32
.LBB116_25:
	s_endpgm
	.section	.rodata,"a",@progbits
	.p2align	6, 0x0
	.amdhsa_kernel _ZN9rocsparseL19gebsrmvn_3xn_kernelILj128ELj2ELj4E21rocsparse_complex_numIdEEEvi20rocsparse_direction_NS_24const_host_device_scalarIT2_EEPKiS8_PKS5_SA_S6_PS5_21rocsparse_index_base_b
		.amdhsa_group_segment_fixed_size 2048
		.amdhsa_private_segment_fixed_size 0
		.amdhsa_kernarg_size 88
		.amdhsa_user_sgpr_count 4
		.amdhsa_user_sgpr_dispatch_ptr 1
		.amdhsa_user_sgpr_queue_ptr 0
		.amdhsa_user_sgpr_kernarg_segment_ptr 1
		.amdhsa_user_sgpr_dispatch_id 0
		.amdhsa_user_sgpr_kernarg_preload_length 0
		.amdhsa_user_sgpr_kernarg_preload_offset 0
		.amdhsa_user_sgpr_private_segment_size 0
		.amdhsa_uses_dynamic_stack 0
		.amdhsa_enable_private_segment 0
		.amdhsa_system_sgpr_workgroup_id_x 1
		.amdhsa_system_sgpr_workgroup_id_y 0
		.amdhsa_system_sgpr_workgroup_id_z 0
		.amdhsa_system_sgpr_workgroup_info 0
		.amdhsa_system_vgpr_workitem_id 2
		.amdhsa_next_free_vgpr 68
		.amdhsa_next_free_sgpr 20
		.amdhsa_accum_offset 68
		.amdhsa_reserve_vcc 1
		.amdhsa_float_round_mode_32 0
		.amdhsa_float_round_mode_16_64 0
		.amdhsa_float_denorm_mode_32 3
		.amdhsa_float_denorm_mode_16_64 3
		.amdhsa_dx10_clamp 1
		.amdhsa_ieee_mode 1
		.amdhsa_fp16_overflow 0
		.amdhsa_tg_split 0
		.amdhsa_exception_fp_ieee_invalid_op 0
		.amdhsa_exception_fp_denorm_src 0
		.amdhsa_exception_fp_ieee_div_zero 0
		.amdhsa_exception_fp_ieee_overflow 0
		.amdhsa_exception_fp_ieee_underflow 0
		.amdhsa_exception_fp_ieee_inexact 0
		.amdhsa_exception_int_div_zero 0
	.end_amdhsa_kernel
	.section	.text._ZN9rocsparseL19gebsrmvn_3xn_kernelILj128ELj2ELj4E21rocsparse_complex_numIdEEEvi20rocsparse_direction_NS_24const_host_device_scalarIT2_EEPKiS8_PKS5_SA_S6_PS5_21rocsparse_index_base_b,"axG",@progbits,_ZN9rocsparseL19gebsrmvn_3xn_kernelILj128ELj2ELj4E21rocsparse_complex_numIdEEEvi20rocsparse_direction_NS_24const_host_device_scalarIT2_EEPKiS8_PKS5_SA_S6_PS5_21rocsparse_index_base_b,comdat
.Lfunc_end116:
	.size	_ZN9rocsparseL19gebsrmvn_3xn_kernelILj128ELj2ELj4E21rocsparse_complex_numIdEEEvi20rocsparse_direction_NS_24const_host_device_scalarIT2_EEPKiS8_PKS5_SA_S6_PS5_21rocsparse_index_base_b, .Lfunc_end116-_ZN9rocsparseL19gebsrmvn_3xn_kernelILj128ELj2ELj4E21rocsparse_complex_numIdEEEvi20rocsparse_direction_NS_24const_host_device_scalarIT2_EEPKiS8_PKS5_SA_S6_PS5_21rocsparse_index_base_b
                                        ; -- End function
	.section	.AMDGPU.csdata,"",@progbits
; Kernel info:
; codeLenInByte = 1928
; NumSgprs: 26
; NumVgprs: 68
; NumAgprs: 0
; TotalNumVgprs: 68
; ScratchSize: 0
; MemoryBound: 0
; FloatMode: 240
; IeeeMode: 1
; LDSByteSize: 2048 bytes/workgroup (compile time only)
; SGPRBlocks: 3
; VGPRBlocks: 8
; NumSGPRsForWavesPerEU: 26
; NumVGPRsForWavesPerEU: 68
; AccumOffset: 68
; Occupancy: 7
; WaveLimiterHint : 1
; COMPUTE_PGM_RSRC2:SCRATCH_EN: 0
; COMPUTE_PGM_RSRC2:USER_SGPR: 4
; COMPUTE_PGM_RSRC2:TRAP_HANDLER: 0
; COMPUTE_PGM_RSRC2:TGID_X_EN: 1
; COMPUTE_PGM_RSRC2:TGID_Y_EN: 0
; COMPUTE_PGM_RSRC2:TGID_Z_EN: 0
; COMPUTE_PGM_RSRC2:TIDIG_COMP_CNT: 2
; COMPUTE_PGM_RSRC3_GFX90A:ACCUM_OFFSET: 16
; COMPUTE_PGM_RSRC3_GFX90A:TG_SPLIT: 0
	.section	.text._ZN9rocsparseL19gebsrmvn_3xn_kernelILj128ELj2ELj8E21rocsparse_complex_numIdEEEvi20rocsparse_direction_NS_24const_host_device_scalarIT2_EEPKiS8_PKS5_SA_S6_PS5_21rocsparse_index_base_b,"axG",@progbits,_ZN9rocsparseL19gebsrmvn_3xn_kernelILj128ELj2ELj8E21rocsparse_complex_numIdEEEvi20rocsparse_direction_NS_24const_host_device_scalarIT2_EEPKiS8_PKS5_SA_S6_PS5_21rocsparse_index_base_b,comdat
	.globl	_ZN9rocsparseL19gebsrmvn_3xn_kernelILj128ELj2ELj8E21rocsparse_complex_numIdEEEvi20rocsparse_direction_NS_24const_host_device_scalarIT2_EEPKiS8_PKS5_SA_S6_PS5_21rocsparse_index_base_b ; -- Begin function _ZN9rocsparseL19gebsrmvn_3xn_kernelILj128ELj2ELj8E21rocsparse_complex_numIdEEEvi20rocsparse_direction_NS_24const_host_device_scalarIT2_EEPKiS8_PKS5_SA_S6_PS5_21rocsparse_index_base_b
	.p2align	8
	.type	_ZN9rocsparseL19gebsrmvn_3xn_kernelILj128ELj2ELj8E21rocsparse_complex_numIdEEEvi20rocsparse_direction_NS_24const_host_device_scalarIT2_EEPKiS8_PKS5_SA_S6_PS5_21rocsparse_index_base_b,@function
_ZN9rocsparseL19gebsrmvn_3xn_kernelILj128ELj2ELj8E21rocsparse_complex_numIdEEEvi20rocsparse_direction_NS_24const_host_device_scalarIT2_EEPKiS8_PKS5_SA_S6_PS5_21rocsparse_index_base_b: ; @_ZN9rocsparseL19gebsrmvn_3xn_kernelILj128ELj2ELj8E21rocsparse_complex_numIdEEEvi20rocsparse_direction_NS_24const_host_device_scalarIT2_EEPKiS8_PKS5_SA_S6_PS5_21rocsparse_index_base_b
; %bb.0:
	s_load_dwordx2 s[16:17], s[2:3], 0x50
	s_load_dwordx4 s[12:15], s[2:3], 0x8
	s_load_dwordx4 s[8:11], s[2:3], 0x38
	s_load_dwordx2 s[18:19], s[0:1], 0x4
	s_mov_b64 s[6:7], src_shared_base
	s_waitcnt lgkmcnt(0)
	s_bitcmp1_b32 s17, 0
	s_cselect_b64 s[0:1], -1, 0
	s_and_b64 vcc, s[0:1], exec
	s_cselect_b32 s5, s7, s13
	s_lshr_b32 s6, s18, 16
	v_bfe_u32 v1, v0, 10, 10
	v_and_b32_e32 v10, 0x3ff, v0
	s_mul_i32 s6, s6, s19
	v_mul_u32_u24_e32 v1, s19, v1
	v_mad_u32_u24 v1, s6, v10, v1
	v_bfe_u32 v0, v0, 20, 10
	v_add_lshl_u32 v4, v1, v0, 3
	v_mov_b32_e32 v5, s12
	v_add_u32_e32 v6, 0x400, v4
	v_mov_b64_e32 v[0:1], s[12:13]
	v_mov_b64_e32 v[2:3], s[8:9]
	ds_write2st64_b64 v4, v[2:3], v[0:1] offset1:2
	v_cndmask_b32_e64 v0, v5, v6, s[0:1]
	v_mov_b32_e32 v1, s5
	flat_load_dwordx2 v[0:1], v[0:1]
	s_xor_b64 s[18:19], s[0:1], -1
	v_mov_b64_e32 v[2:3], s[14:15]
	s_cbranch_vccnz .LBB117_2
; %bb.1:
	v_mov_b64_e32 v[2:3], s[12:13]
	flat_load_dwordx2 v[2:3], v[2:3] offset:8
.LBB117_2:
	s_and_b64 s[12:13], s[0:1], exec
	s_cselect_b32 s5, s7, s9
	v_mov_b32_e32 v5, s8
	v_cndmask_b32_e64 v4, v5, v4, s[0:1]
	v_mov_b32_e32 v5, s5
	flat_load_dwordx2 v[4:5], v[4:5]
	s_andn2_b64 vcc, exec, s[18:19]
	v_mov_b64_e32 v[6:7], s[10:11]
	s_cbranch_vccnz .LBB117_4
; %bb.3:
	v_mov_b64_e32 v[6:7], s[8:9]
	flat_load_dwordx2 v[6:7], v[6:7] offset:8
.LBB117_4:
	s_waitcnt vmcnt(0) lgkmcnt(0)
	v_cmp_eq_f64_e32 vcc, 0, v[0:1]
	v_cmp_eq_f64_e64 s[0:1], 0, v[2:3]
	s_and_b64 s[8:9], vcc, s[0:1]
	s_mov_b64 s[0:1], -1
	s_and_saveexec_b64 s[6:7], s[8:9]
; %bb.5:
	v_cmp_neq_f64_e32 vcc, 1.0, v[4:5]
	v_cmp_neq_f64_e64 s[0:1], 0, v[6:7]
	s_or_b64 s[0:1], vcc, s[0:1]
	s_orn2_b64 s[0:1], s[0:1], exec
; %bb.6:
	s_or_b64 exec, exec, s[6:7]
	s_and_saveexec_b64 s[6:7], s[0:1]
	s_cbranch_execz .LBB117_25
; %bb.7:
	s_load_dwordx2 s[0:1], s[2:3], 0x0
	v_lshrrev_b32_e32 v8, 3, v10
	v_lshl_or_b32 v8, s4, 4, v8
	s_waitcnt lgkmcnt(0)
	v_cmp_gt_i32_e32 vcc, s0, v8
	s_and_b64 exec, exec, vcc
	s_cbranch_execz .LBB117_25
; %bb.8:
	s_load_dwordx8 s[4:11], s[2:3], 0x18
	v_ashrrev_i32_e32 v9, 31, v8
	s_cmp_lg_u32 s1, 0
	s_waitcnt lgkmcnt(0)
	v_lshl_add_u64 v[12:13], v[8:9], 2, s[4:5]
	global_load_dwordx2 v[12:13], v[12:13], off
	v_and_b32_e32 v9, 7, v10
	s_waitcnt vmcnt(0)
	v_subrev_u32_e32 v10, s16, v12
	v_subrev_u32_e32 v30, s16, v13
	v_add_u32_e32 v18, v10, v9
	v_cmp_lt_i32_e64 s[0:1], v18, v30
	s_cbranch_scc0 .LBB117_14
; %bb.9:
	v_mov_b64_e32 v[12:13], 0
	s_mov_b64 s[4:5], 0
	v_mov_b64_e32 v[22:23], v[12:13]
	v_mov_b64_e32 v[14:15], v[12:13]
	;; [unrolled: 1-line block ×5, first 2 shown]
	s_and_saveexec_b64 s[12:13], s[0:1]
	s_cbranch_execz .LBB117_13
; %bb.10:
	v_mad_u64_u32 v[24:25], s[14:15], v18, 6, 5
	v_mov_b64_e32 v[12:13], 0
	s_mov_b64 s[14:15], 0
	v_mov_b32_e32 v27, 0
	v_mov_b32_e32 v28, v18
	v_mov_b64_e32 v[22:23], v[12:13]
	v_mov_b64_e32 v[14:15], v[12:13]
	;; [unrolled: 1-line block ×5, first 2 shown]
.LBB117_11:                             ; =>This Inner Loop Header: Depth=1
	v_ashrrev_i32_e32 v29, 31, v28
	v_lshl_add_u64 v[32:33], v[28:29], 2, s[6:7]
	global_load_dword v19, v[32:33], off
	v_add_u32_e32 v26, -5, v24
	v_lshl_add_u64 v[40:41], v[26:27], 4, s[8:9]
	v_add_u32_e32 v26, -3, v24
	v_lshl_add_u64 v[48:49], v[26:27], 4, s[8:9]
	v_add_u32_e32 v26, -2, v24
	v_mov_b32_e32 v53, v27
	global_load_dwordx4 v[32:35], v[40:41], off offset:16
	global_load_dwordx4 v[36:39], v[40:41], off
	v_lshl_add_u64 v[50:51], v[26:27], 4, s[8:9]
	v_add_u32_e32 v26, -1, v24
	v_mov_b32_e32 v25, v27
	global_load_dwordx4 v[40:43], v[48:49], off
	global_load_dwordx4 v[44:47], v[50:51], off
	v_lshl_add_u64 v[48:49], v[26:27], 4, s[8:9]
	v_lshl_add_u64 v[64:65], v[24:25], 4, s[8:9]
	global_load_dwordx4 v[48:51], v[48:49], off
	v_add_u32_e32 v28, 8, v28
	v_cmp_ge_i32_e32 vcc, v28, v30
	v_add_u32_e32 v24, 48, v24
	s_or_b64 s[14:15], vcc, s[14:15]
	s_waitcnt vmcnt(5)
	v_subrev_u32_e32 v19, s16, v19
	v_lshlrev_b32_e32 v52, 1, v19
	v_lshl_add_u64 v[66:67], v[52:53], 4, s[10:11]
	global_load_dwordx4 v[52:55], v[66:67], off
	global_load_dwordx4 v[56:59], v[66:67], off offset:16
	global_load_dwordx4 v[60:63], v[64:65], off
	s_waitcnt vmcnt(2)
	v_fmac_f64_e32 v[22:23], v[36:37], v[52:53]
	v_fmac_f64_e32 v[12:13], v[38:39], v[52:53]
	;; [unrolled: 1-line block ×6, first 2 shown]
	v_fma_f64 v[22:23], -v[38:39], v[54:55], v[22:23]
	v_fmac_f64_e32 v[12:13], v[36:37], v[54:55]
	v_fma_f64 v[20:21], -v[34:35], v[54:55], v[20:21]
	v_fmac_f64_e32 v[16:17], v[32:33], v[54:55]
	;; [unrolled: 2-line block ×3, first 2 shown]
	s_waitcnt vmcnt(1)
	v_fmac_f64_e32 v[22:23], v[44:45], v[56:57]
	v_fmac_f64_e32 v[12:13], v[46:47], v[56:57]
	;; [unrolled: 1-line block ×4, first 2 shown]
	s_waitcnt vmcnt(0)
	v_fmac_f64_e32 v[14:15], v[60:61], v[56:57]
	v_fmac_f64_e32 v[10:11], v[62:63], v[56:57]
	v_fma_f64 v[22:23], -v[46:47], v[58:59], v[22:23]
	v_fmac_f64_e32 v[12:13], v[44:45], v[58:59]
	v_fma_f64 v[20:21], -v[50:51], v[58:59], v[20:21]
	;; [unrolled: 2-line block ×3, first 2 shown]
	v_fmac_f64_e32 v[10:11], v[60:61], v[58:59]
	s_andn2_b64 exec, exec, s[14:15]
	s_cbranch_execnz .LBB117_11
; %bb.12:
	s_or_b64 exec, exec, s[14:15]
.LBB117_13:
	s_or_b64 exec, exec, s[12:13]
	s_andn2_b64 vcc, exec, s[4:5]
	s_cbranch_vccz .LBB117_15
	s_branch .LBB117_20
.LBB117_14:
                                        ; implicit-def: $vgpr12_vgpr13
                                        ; implicit-def: $vgpr22_vgpr23
                                        ; implicit-def: $vgpr14_vgpr15
                                        ; implicit-def: $vgpr10_vgpr11
                                        ; implicit-def: $vgpr20_vgpr21
                                        ; implicit-def: $vgpr16_vgpr17
.LBB117_15:
	v_mov_b64_e32 v[12:13], 0
	v_mov_b64_e32 v[22:23], v[12:13]
	v_mov_b64_e32 v[14:15], v[12:13]
	v_mov_b64_e32 v[10:11], v[12:13]
	v_mov_b64_e32 v[20:21], v[12:13]
	v_mov_b64_e32 v[16:17], v[12:13]
	s_and_saveexec_b64 s[4:5], s[0:1]
	s_cbranch_execz .LBB117_19
; %bb.16:
	v_mad_u64_u32 v[24:25], s[0:1], v18, 6, 5
	v_mov_b64_e32 v[12:13], 0
	s_mov_b64 s[0:1], 0
	v_mov_b32_e32 v27, 0
	v_mov_b64_e32 v[22:23], v[12:13]
	v_mov_b64_e32 v[14:15], v[12:13]
	;; [unrolled: 1-line block ×5, first 2 shown]
.LBB117_17:                             ; =>This Inner Loop Header: Depth=1
	v_ashrrev_i32_e32 v19, 31, v18
	v_lshl_add_u64 v[28:29], v[18:19], 2, s[6:7]
	global_load_dword v19, v[28:29], off
	v_add_u32_e32 v26, -5, v24
	v_add_u32_e32 v28, -3, v24
	v_mov_b32_e32 v29, v27
	v_add_u32_e32 v32, -1, v24
	v_mov_b32_e32 v33, v27
	v_lshl_add_u64 v[48:49], v[26:27], 4, s[8:9]
	v_lshl_add_u64 v[28:29], v[28:29], 4, s[8:9]
	v_add_u32_e32 v26, -2, v24
	v_mov_b32_e32 v53, v27
	v_lshl_add_u64 v[50:51], v[32:33], 4, s[8:9]
	global_load_dwordx4 v[32:35], v[48:49], off offset:16
	global_load_dwordx4 v[36:39], v[48:49], off
	global_load_dwordx4 v[40:43], v[28:29], off
	;; [unrolled: 1-line block ×3, first 2 shown]
	v_lshl_add_u64 v[28:29], v[26:27], 4, s[8:9]
	v_mov_b32_e32 v25, v27
	global_load_dwordx4 v[48:51], v[28:29], off
	v_lshl_add_u64 v[64:65], v[24:25], 4, s[8:9]
	v_add_u32_e32 v18, 8, v18
	v_cmp_ge_i32_e32 vcc, v18, v30
	v_add_u32_e32 v24, 48, v24
	s_or_b64 s[0:1], vcc, s[0:1]
	s_waitcnt vmcnt(5)
	v_subrev_u32_e32 v19, s16, v19
	v_lshlrev_b32_e32 v52, 1, v19
	v_lshl_add_u64 v[28:29], v[52:53], 4, s[10:11]
	global_load_dwordx4 v[52:55], v[28:29], off
	global_load_dwordx4 v[56:59], v[28:29], off offset:16
	global_load_dwordx4 v[60:63], v[64:65], off
	s_waitcnt vmcnt(2)
	v_fmac_f64_e32 v[22:23], v[36:37], v[52:53]
	v_fmac_f64_e32 v[12:13], v[38:39], v[52:53]
	;; [unrolled: 1-line block ×6, first 2 shown]
	v_fma_f64 v[22:23], -v[38:39], v[54:55], v[22:23]
	v_fmac_f64_e32 v[12:13], v[36:37], v[54:55]
	v_fma_f64 v[20:21], -v[42:43], v[54:55], v[20:21]
	v_fmac_f64_e32 v[16:17], v[40:41], v[54:55]
	;; [unrolled: 2-line block ×3, first 2 shown]
	s_waitcnt vmcnt(1)
	v_fmac_f64_e32 v[22:23], v[32:33], v[56:57]
	v_fmac_f64_e32 v[12:13], v[34:35], v[56:57]
	;; [unrolled: 1-line block ×4, first 2 shown]
	s_waitcnt vmcnt(0)
	v_fmac_f64_e32 v[14:15], v[60:61], v[56:57]
	v_fmac_f64_e32 v[10:11], v[62:63], v[56:57]
	v_fma_f64 v[22:23], -v[34:35], v[58:59], v[22:23]
	v_fmac_f64_e32 v[12:13], v[32:33], v[58:59]
	v_fma_f64 v[20:21], -v[50:51], v[58:59], v[20:21]
	;; [unrolled: 2-line block ×3, first 2 shown]
	v_fmac_f64_e32 v[10:11], v[60:61], v[58:59]
	s_andn2_b64 exec, exec, s[0:1]
	s_cbranch_execnz .LBB117_17
; %bb.18:
	s_or_b64 exec, exec, s[0:1]
.LBB117_19:
	s_or_b64 exec, exec, s[4:5]
.LBB117_20:
	v_mov_b32_dpp v26, v20 row_shr:1 row_mask:0xf bank_mask:0xf
	v_mov_b32_dpp v27, v21 row_shr:1 row_mask:0xf bank_mask:0xf
	v_add_f64 v[20:21], v[20:21], v[26:27]
	v_mov_b32_dpp v18, v22 row_shr:1 row_mask:0xf bank_mask:0xf
	v_mov_b32_dpp v19, v23 row_shr:1 row_mask:0xf bank_mask:0xf
	;; [unrolled: 1-line block ×4, first 2 shown]
	v_add_f64 v[26:27], v[20:21], v[26:27]
	v_mov_b32_dpp v20, v16 row_shr:1 row_mask:0xf bank_mask:0xf
	v_mov_b32_dpp v21, v17 row_shr:1 row_mask:0xf bank_mask:0xf
	v_add_f64 v[16:17], v[16:17], v[20:21]
	v_mov_b32_dpp v24, v12 row_shr:1 row_mask:0xf bank_mask:0xf
	v_mov_b32_dpp v25, v13 row_shr:1 row_mask:0xf bank_mask:0xf
	;; [unrolled: 1-line block ×4, first 2 shown]
	v_add_f64 v[30:31], v[16:17], v[20:21]
	v_mov_b32_dpp v16, v14 row_shr:1 row_mask:0xf bank_mask:0xf
	v_mov_b32_dpp v17, v15 row_shr:1 row_mask:0xf bank_mask:0xf
	v_add_f64 v[14:15], v[14:15], v[16:17]
	v_add_f64 v[18:19], v[22:23], v[18:19]
	;; [unrolled: 1-line block ×3, first 2 shown]
	v_mov_b32_dpp v16, v14 row_shr:2 row_mask:0xf bank_mask:0xf
	v_mov_b32_dpp v17, v15 row_shr:2 row_mask:0xf bank_mask:0xf
	v_add_f64 v[14:15], v[14:15], v[16:17]
	v_mov_b32_dpp v16, v10 row_shr:1 row_mask:0xf bank_mask:0xf
	v_mov_b32_dpp v17, v11 row_shr:1 row_mask:0xf bank_mask:0xf
	v_add_f64 v[10:11], v[10:11], v[16:17]
	v_mov_b32_dpp v22, v18 row_shr:2 row_mask:0xf bank_mask:0xf
	v_mov_b32_dpp v23, v19 row_shr:2 row_mask:0xf bank_mask:0xf
	;; [unrolled: 1-line block ×6, first 2 shown]
	v_add_f64 v[18:19], v[18:19], v[22:23]
	v_add_f64 v[12:13], v[12:13], v[24:25]
	;; [unrolled: 1-line block ×3, first 2 shown]
	v_mov_b32_dpp v22, v18 row_shr:4 row_mask:0xf bank_mask:0xe
	v_mov_b32_dpp v23, v19 row_shr:4 row_mask:0xf bank_mask:0xe
	;; [unrolled: 1-line block ×12, first 2 shown]
	v_cmp_eq_u32_e32 vcc, 7, v9
	s_and_b64 exec, exec, vcc
	s_cbranch_execz .LBB117_25
; %bb.21:
	s_load_dwordx2 s[2:3], s[2:3], 0x48
	v_cmp_eq_f64_e32 vcc, 0, v[4:5]
	v_cmp_eq_f64_e64 s[0:1], 0, v[6:7]
	v_add_f64 v[16:17], v[18:19], v[22:23]
	v_add_f64 v[20:21], v[12:13], v[24:25]
	;; [unrolled: 1-line block ×6, first 2 shown]
	s_and_b64 s[0:1], vcc, s[0:1]
	s_and_saveexec_b64 s[4:5], s[0:1]
	s_xor_b64 s[0:1], exec, s[4:5]
	s_cbranch_execz .LBB117_23
; %bb.22:
	v_lshl_add_u32 v8, v8, 1, v8
	v_mul_f64 v[4:5], v[20:21], -v[2:3]
	v_mul_f64 v[6:7], v[0:1], v[20:21]
	v_ashrrev_i32_e32 v9, 31, v8
	v_fmac_f64_e32 v[4:5], v[0:1], v[16:17]
	v_fmac_f64_e32 v[6:7], v[2:3], v[16:17]
	s_waitcnt lgkmcnt(0)
	v_lshl_add_u64 v[8:9], v[8:9], 4, s[2:3]
	global_store_dwordx4 v[8:9], v[4:7], off
                                        ; implicit-def: $vgpr16_vgpr17
                                        ; implicit-def: $vgpr20_vgpr21
	s_nop 1
	v_mul_f64 v[4:5], v[18:19], -v[2:3]
	v_mul_f64 v[6:7], v[0:1], v[18:19]
	v_fmac_f64_e32 v[4:5], v[0:1], v[12:13]
	v_fmac_f64_e32 v[6:7], v[2:3], v[12:13]
	global_store_dwordx4 v[8:9], v[4:7], off offset:16
                                        ; implicit-def: $vgpr12_vgpr13
                                        ; implicit-def: $vgpr18_vgpr19
	s_nop 1
	v_mul_f64 v[4:5], v[14:15], -v[2:3]
	v_mul_f64 v[6:7], v[0:1], v[14:15]
	v_fmac_f64_e32 v[4:5], v[0:1], v[10:11]
	v_fmac_f64_e32 v[6:7], v[2:3], v[10:11]
	global_store_dwordx4 v[8:9], v[4:7], off offset:32
                                        ; implicit-def: $vgpr0_vgpr1
                                        ; implicit-def: $vgpr2_vgpr3
                                        ; implicit-def: $vgpr4_vgpr5
                                        ; implicit-def: $vgpr6_vgpr7
                                        ; implicit-def: $vgpr8
                                        ; implicit-def: $vgpr10_vgpr11
                                        ; implicit-def: $vgpr14_vgpr15
.LBB117_23:
	s_andn2_saveexec_b64 s[0:1], s[0:1]
	s_cbranch_execz .LBB117_25
; %bb.24:
	v_lshl_add_u32 v8, v8, 1, v8
	v_ashrrev_i32_e32 v9, 31, v8
	s_waitcnt lgkmcnt(0)
	v_lshl_add_u64 v[38:39], v[8:9], 4, s[2:3]
	global_load_dwordx4 v[22:25], v[38:39], off
	global_load_dwordx4 v[26:29], v[38:39], off offset:16
	global_load_dwordx4 v[30:33], v[38:39], off offset:32
	v_mul_f64 v[34:35], v[20:21], -v[2:3]
	v_mul_f64 v[20:21], v[0:1], v[20:21]
	v_mul_f64 v[40:41], v[18:19], -v[2:3]
	v_mul_f64 v[36:37], v[0:1], v[18:19]
	;; [unrolled: 2-line block ×3, first 2 shown]
	v_fmac_f64_e32 v[34:35], v[0:1], v[16:17]
	v_fmac_f64_e32 v[20:21], v[2:3], v[16:17]
	;; [unrolled: 1-line block ×6, first 2 shown]
	s_waitcnt vmcnt(2)
	v_fmac_f64_e32 v[34:35], v[4:5], v[22:23]
	v_fmac_f64_e32 v[20:21], v[6:7], v[22:23]
	s_waitcnt vmcnt(1)
	v_fmac_f64_e32 v[40:41], v[4:5], v[26:27]
	v_fmac_f64_e32 v[36:37], v[6:7], v[26:27]
	;; [unrolled: 3-line block ×3, first 2 shown]
	v_fma_f64 v[18:19], -v[6:7], v[24:25], v[34:35]
	v_fmac_f64_e32 v[20:21], v[4:5], v[24:25]
	v_fma_f64 v[34:35], -v[6:7], v[28:29], v[40:41]
	v_fmac_f64_e32 v[36:37], v[4:5], v[28:29]
	;; [unrolled: 2-line block ×3, first 2 shown]
	global_store_dwordx4 v[38:39], v[18:21], off
	global_store_dwordx4 v[38:39], v[34:37], off offset:16
	global_store_dwordx4 v[38:39], v[6:9], off offset:32
.LBB117_25:
	s_endpgm
	.section	.rodata,"a",@progbits
	.p2align	6, 0x0
	.amdhsa_kernel _ZN9rocsparseL19gebsrmvn_3xn_kernelILj128ELj2ELj8E21rocsparse_complex_numIdEEEvi20rocsparse_direction_NS_24const_host_device_scalarIT2_EEPKiS8_PKS5_SA_S6_PS5_21rocsparse_index_base_b
		.amdhsa_group_segment_fixed_size 2048
		.amdhsa_private_segment_fixed_size 0
		.amdhsa_kernarg_size 88
		.amdhsa_user_sgpr_count 4
		.amdhsa_user_sgpr_dispatch_ptr 1
		.amdhsa_user_sgpr_queue_ptr 0
		.amdhsa_user_sgpr_kernarg_segment_ptr 1
		.amdhsa_user_sgpr_dispatch_id 0
		.amdhsa_user_sgpr_kernarg_preload_length 0
		.amdhsa_user_sgpr_kernarg_preload_offset 0
		.amdhsa_user_sgpr_private_segment_size 0
		.amdhsa_uses_dynamic_stack 0
		.amdhsa_enable_private_segment 0
		.amdhsa_system_sgpr_workgroup_id_x 1
		.amdhsa_system_sgpr_workgroup_id_y 0
		.amdhsa_system_sgpr_workgroup_id_z 0
		.amdhsa_system_sgpr_workgroup_info 0
		.amdhsa_system_vgpr_workitem_id 2
		.amdhsa_next_free_vgpr 68
		.amdhsa_next_free_sgpr 20
		.amdhsa_accum_offset 68
		.amdhsa_reserve_vcc 1
		.amdhsa_float_round_mode_32 0
		.amdhsa_float_round_mode_16_64 0
		.amdhsa_float_denorm_mode_32 3
		.amdhsa_float_denorm_mode_16_64 3
		.amdhsa_dx10_clamp 1
		.amdhsa_ieee_mode 1
		.amdhsa_fp16_overflow 0
		.amdhsa_tg_split 0
		.amdhsa_exception_fp_ieee_invalid_op 0
		.amdhsa_exception_fp_denorm_src 0
		.amdhsa_exception_fp_ieee_div_zero 0
		.amdhsa_exception_fp_ieee_overflow 0
		.amdhsa_exception_fp_ieee_underflow 0
		.amdhsa_exception_fp_ieee_inexact 0
		.amdhsa_exception_int_div_zero 0
	.end_amdhsa_kernel
	.section	.text._ZN9rocsparseL19gebsrmvn_3xn_kernelILj128ELj2ELj8E21rocsparse_complex_numIdEEEvi20rocsparse_direction_NS_24const_host_device_scalarIT2_EEPKiS8_PKS5_SA_S6_PS5_21rocsparse_index_base_b,"axG",@progbits,_ZN9rocsparseL19gebsrmvn_3xn_kernelILj128ELj2ELj8E21rocsparse_complex_numIdEEEvi20rocsparse_direction_NS_24const_host_device_scalarIT2_EEPKiS8_PKS5_SA_S6_PS5_21rocsparse_index_base_b,comdat
.Lfunc_end117:
	.size	_ZN9rocsparseL19gebsrmvn_3xn_kernelILj128ELj2ELj8E21rocsparse_complex_numIdEEEvi20rocsparse_direction_NS_24const_host_device_scalarIT2_EEPKiS8_PKS5_SA_S6_PS5_21rocsparse_index_base_b, .Lfunc_end117-_ZN9rocsparseL19gebsrmvn_3xn_kernelILj128ELj2ELj8E21rocsparse_complex_numIdEEEvi20rocsparse_direction_NS_24const_host_device_scalarIT2_EEPKiS8_PKS5_SA_S6_PS5_21rocsparse_index_base_b
                                        ; -- End function
	.section	.AMDGPU.csdata,"",@progbits
; Kernel info:
; codeLenInByte = 2072
; NumSgprs: 26
; NumVgprs: 68
; NumAgprs: 0
; TotalNumVgprs: 68
; ScratchSize: 0
; MemoryBound: 0
; FloatMode: 240
; IeeeMode: 1
; LDSByteSize: 2048 bytes/workgroup (compile time only)
; SGPRBlocks: 3
; VGPRBlocks: 8
; NumSGPRsForWavesPerEU: 26
; NumVGPRsForWavesPerEU: 68
; AccumOffset: 68
; Occupancy: 7
; WaveLimiterHint : 1
; COMPUTE_PGM_RSRC2:SCRATCH_EN: 0
; COMPUTE_PGM_RSRC2:USER_SGPR: 4
; COMPUTE_PGM_RSRC2:TRAP_HANDLER: 0
; COMPUTE_PGM_RSRC2:TGID_X_EN: 1
; COMPUTE_PGM_RSRC2:TGID_Y_EN: 0
; COMPUTE_PGM_RSRC2:TGID_Z_EN: 0
; COMPUTE_PGM_RSRC2:TIDIG_COMP_CNT: 2
; COMPUTE_PGM_RSRC3_GFX90A:ACCUM_OFFSET: 16
; COMPUTE_PGM_RSRC3_GFX90A:TG_SPLIT: 0
	.section	.text._ZN9rocsparseL19gebsrmvn_3xn_kernelILj128ELj2ELj16E21rocsparse_complex_numIdEEEvi20rocsparse_direction_NS_24const_host_device_scalarIT2_EEPKiS8_PKS5_SA_S6_PS5_21rocsparse_index_base_b,"axG",@progbits,_ZN9rocsparseL19gebsrmvn_3xn_kernelILj128ELj2ELj16E21rocsparse_complex_numIdEEEvi20rocsparse_direction_NS_24const_host_device_scalarIT2_EEPKiS8_PKS5_SA_S6_PS5_21rocsparse_index_base_b,comdat
	.globl	_ZN9rocsparseL19gebsrmvn_3xn_kernelILj128ELj2ELj16E21rocsparse_complex_numIdEEEvi20rocsparse_direction_NS_24const_host_device_scalarIT2_EEPKiS8_PKS5_SA_S6_PS5_21rocsparse_index_base_b ; -- Begin function _ZN9rocsparseL19gebsrmvn_3xn_kernelILj128ELj2ELj16E21rocsparse_complex_numIdEEEvi20rocsparse_direction_NS_24const_host_device_scalarIT2_EEPKiS8_PKS5_SA_S6_PS5_21rocsparse_index_base_b
	.p2align	8
	.type	_ZN9rocsparseL19gebsrmvn_3xn_kernelILj128ELj2ELj16E21rocsparse_complex_numIdEEEvi20rocsparse_direction_NS_24const_host_device_scalarIT2_EEPKiS8_PKS5_SA_S6_PS5_21rocsparse_index_base_b,@function
_ZN9rocsparseL19gebsrmvn_3xn_kernelILj128ELj2ELj16E21rocsparse_complex_numIdEEEvi20rocsparse_direction_NS_24const_host_device_scalarIT2_EEPKiS8_PKS5_SA_S6_PS5_21rocsparse_index_base_b: ; @_ZN9rocsparseL19gebsrmvn_3xn_kernelILj128ELj2ELj16E21rocsparse_complex_numIdEEEvi20rocsparse_direction_NS_24const_host_device_scalarIT2_EEPKiS8_PKS5_SA_S6_PS5_21rocsparse_index_base_b
; %bb.0:
	s_load_dwordx2 s[16:17], s[2:3], 0x50
	s_load_dwordx4 s[12:15], s[2:3], 0x8
	s_load_dwordx4 s[8:11], s[2:3], 0x38
	s_load_dwordx2 s[18:19], s[0:1], 0x4
	s_mov_b64 s[6:7], src_shared_base
	s_waitcnt lgkmcnt(0)
	s_bitcmp1_b32 s17, 0
	s_cselect_b64 s[0:1], -1, 0
	s_and_b64 vcc, s[0:1], exec
	s_cselect_b32 s5, s7, s13
	s_lshr_b32 s6, s18, 16
	v_bfe_u32 v1, v0, 10, 10
	v_and_b32_e32 v10, 0x3ff, v0
	s_mul_i32 s6, s6, s19
	v_mul_u32_u24_e32 v1, s19, v1
	v_mad_u32_u24 v1, s6, v10, v1
	v_bfe_u32 v0, v0, 20, 10
	v_add_lshl_u32 v4, v1, v0, 3
	v_mov_b32_e32 v5, s12
	v_add_u32_e32 v6, 0x400, v4
	v_mov_b64_e32 v[0:1], s[12:13]
	v_mov_b64_e32 v[2:3], s[8:9]
	ds_write2st64_b64 v4, v[2:3], v[0:1] offset1:2
	v_cndmask_b32_e64 v0, v5, v6, s[0:1]
	v_mov_b32_e32 v1, s5
	flat_load_dwordx2 v[0:1], v[0:1]
	s_xor_b64 s[18:19], s[0:1], -1
	v_mov_b64_e32 v[2:3], s[14:15]
	s_cbranch_vccnz .LBB118_2
; %bb.1:
	v_mov_b64_e32 v[2:3], s[12:13]
	flat_load_dwordx2 v[2:3], v[2:3] offset:8
.LBB118_2:
	s_and_b64 s[12:13], s[0:1], exec
	s_cselect_b32 s5, s7, s9
	v_mov_b32_e32 v5, s8
	v_cndmask_b32_e64 v4, v5, v4, s[0:1]
	v_mov_b32_e32 v5, s5
	flat_load_dwordx2 v[4:5], v[4:5]
	s_andn2_b64 vcc, exec, s[18:19]
	v_mov_b64_e32 v[6:7], s[10:11]
	s_cbranch_vccnz .LBB118_4
; %bb.3:
	v_mov_b64_e32 v[6:7], s[8:9]
	flat_load_dwordx2 v[6:7], v[6:7] offset:8
.LBB118_4:
	s_waitcnt vmcnt(0) lgkmcnt(0)
	v_cmp_eq_f64_e32 vcc, 0, v[0:1]
	v_cmp_eq_f64_e64 s[0:1], 0, v[2:3]
	s_and_b64 s[8:9], vcc, s[0:1]
	s_mov_b64 s[0:1], -1
	s_and_saveexec_b64 s[6:7], s[8:9]
; %bb.5:
	v_cmp_neq_f64_e32 vcc, 1.0, v[4:5]
	v_cmp_neq_f64_e64 s[0:1], 0, v[6:7]
	s_or_b64 s[0:1], vcc, s[0:1]
	s_orn2_b64 s[0:1], s[0:1], exec
; %bb.6:
	s_or_b64 exec, exec, s[6:7]
	s_and_saveexec_b64 s[6:7], s[0:1]
	s_cbranch_execz .LBB118_25
; %bb.7:
	s_load_dwordx2 s[0:1], s[2:3], 0x0
	v_lshrrev_b32_e32 v8, 4, v10
	v_lshl_or_b32 v8, s4, 3, v8
	s_waitcnt lgkmcnt(0)
	v_cmp_gt_i32_e32 vcc, s0, v8
	s_and_b64 exec, exec, vcc
	s_cbranch_execz .LBB118_25
; %bb.8:
	s_load_dwordx8 s[4:11], s[2:3], 0x18
	v_ashrrev_i32_e32 v9, 31, v8
	s_cmp_lg_u32 s1, 0
	s_waitcnt lgkmcnt(0)
	v_lshl_add_u64 v[12:13], v[8:9], 2, s[4:5]
	global_load_dwordx2 v[12:13], v[12:13], off
	v_and_b32_e32 v9, 15, v10
	s_waitcnt vmcnt(0)
	v_subrev_u32_e32 v10, s16, v12
	v_subrev_u32_e32 v30, s16, v13
	v_add_u32_e32 v18, v10, v9
	v_cmp_lt_i32_e64 s[0:1], v18, v30
	s_cbranch_scc0 .LBB118_14
; %bb.9:
	v_mov_b64_e32 v[14:15], 0
	s_mov_b64 s[4:5], 0
	v_mov_b64_e32 v[22:23], v[14:15]
	v_mov_b64_e32 v[12:13], v[14:15]
	;; [unrolled: 1-line block ×5, first 2 shown]
	s_and_saveexec_b64 s[12:13], s[0:1]
	s_cbranch_execz .LBB118_13
; %bb.10:
	v_mad_u64_u32 v[24:25], s[14:15], v18, 6, 5
	v_mov_b64_e32 v[14:15], 0
	s_mov_b64 s[14:15], 0
	v_mov_b32_e32 v27, 0
	v_mov_b32_e32 v28, v18
	v_mov_b64_e32 v[22:23], v[14:15]
	v_mov_b64_e32 v[12:13], v[14:15]
	;; [unrolled: 1-line block ×5, first 2 shown]
.LBB118_11:                             ; =>This Inner Loop Header: Depth=1
	v_ashrrev_i32_e32 v29, 31, v28
	v_lshl_add_u64 v[32:33], v[28:29], 2, s[6:7]
	global_load_dword v19, v[32:33], off
	v_add_u32_e32 v26, -5, v24
	v_lshl_add_u64 v[40:41], v[26:27], 4, s[8:9]
	v_add_u32_e32 v26, -3, v24
	v_lshl_add_u64 v[48:49], v[26:27], 4, s[8:9]
	v_add_u32_e32 v26, -2, v24
	v_mov_b32_e32 v53, v27
	global_load_dwordx4 v[32:35], v[40:41], off offset:16
	global_load_dwordx4 v[36:39], v[40:41], off
	v_lshl_add_u64 v[50:51], v[26:27], 4, s[8:9]
	v_add_u32_e32 v26, -1, v24
	v_mov_b32_e32 v25, v27
	global_load_dwordx4 v[40:43], v[48:49], off
	global_load_dwordx4 v[44:47], v[50:51], off
	v_lshl_add_u64 v[48:49], v[26:27], 4, s[8:9]
	v_lshl_add_u64 v[64:65], v[24:25], 4, s[8:9]
	global_load_dwordx4 v[48:51], v[48:49], off
	v_add_u32_e32 v28, 16, v28
	v_cmp_ge_i32_e32 vcc, v28, v30
	v_add_u32_e32 v24, 0x60, v24
	s_or_b64 s[14:15], vcc, s[14:15]
	s_waitcnt vmcnt(5)
	v_subrev_u32_e32 v19, s16, v19
	v_lshlrev_b32_e32 v52, 1, v19
	v_lshl_add_u64 v[66:67], v[52:53], 4, s[10:11]
	global_load_dwordx4 v[52:55], v[66:67], off
	global_load_dwordx4 v[56:59], v[66:67], off offset:16
	global_load_dwordx4 v[60:63], v[64:65], off
	s_waitcnt vmcnt(2)
	v_fmac_f64_e32 v[22:23], v[36:37], v[52:53]
	v_fmac_f64_e32 v[14:15], v[38:39], v[52:53]
	;; [unrolled: 1-line block ×6, first 2 shown]
	v_fma_f64 v[22:23], -v[38:39], v[54:55], v[22:23]
	v_fmac_f64_e32 v[14:15], v[36:37], v[54:55]
	v_fma_f64 v[20:21], -v[34:35], v[54:55], v[20:21]
	v_fmac_f64_e32 v[16:17], v[32:33], v[54:55]
	v_fma_f64 v[12:13], -v[42:43], v[54:55], v[12:13]
	v_fmac_f64_e32 v[10:11], v[40:41], v[54:55]
	s_waitcnt vmcnt(1)
	v_fmac_f64_e32 v[22:23], v[44:45], v[56:57]
	v_fmac_f64_e32 v[14:15], v[46:47], v[56:57]
	;; [unrolled: 1-line block ×4, first 2 shown]
	s_waitcnt vmcnt(0)
	v_fmac_f64_e32 v[12:13], v[60:61], v[56:57]
	v_fmac_f64_e32 v[10:11], v[62:63], v[56:57]
	v_fma_f64 v[22:23], -v[46:47], v[58:59], v[22:23]
	v_fmac_f64_e32 v[14:15], v[44:45], v[58:59]
	v_fma_f64 v[20:21], -v[50:51], v[58:59], v[20:21]
	;; [unrolled: 2-line block ×3, first 2 shown]
	v_fmac_f64_e32 v[10:11], v[60:61], v[58:59]
	s_andn2_b64 exec, exec, s[14:15]
	s_cbranch_execnz .LBB118_11
; %bb.12:
	s_or_b64 exec, exec, s[14:15]
.LBB118_13:
	s_or_b64 exec, exec, s[12:13]
	s_andn2_b64 vcc, exec, s[4:5]
	s_cbranch_vccz .LBB118_15
	s_branch .LBB118_20
.LBB118_14:
                                        ; implicit-def: $vgpr14_vgpr15
                                        ; implicit-def: $vgpr22_vgpr23
                                        ; implicit-def: $vgpr12_vgpr13
                                        ; implicit-def: $vgpr10_vgpr11
                                        ; implicit-def: $vgpr20_vgpr21
                                        ; implicit-def: $vgpr16_vgpr17
.LBB118_15:
	v_mov_b64_e32 v[14:15], 0
	v_mov_b64_e32 v[22:23], v[14:15]
	;; [unrolled: 1-line block ×6, first 2 shown]
	s_and_saveexec_b64 s[4:5], s[0:1]
	s_cbranch_execz .LBB118_19
; %bb.16:
	v_mad_u64_u32 v[24:25], s[0:1], v18, 6, 5
	v_mov_b64_e32 v[14:15], 0
	s_mov_b64 s[0:1], 0
	v_mov_b32_e32 v27, 0
	v_mov_b64_e32 v[22:23], v[14:15]
	v_mov_b64_e32 v[12:13], v[14:15]
	;; [unrolled: 1-line block ×5, first 2 shown]
.LBB118_17:                             ; =>This Inner Loop Header: Depth=1
	v_ashrrev_i32_e32 v19, 31, v18
	v_lshl_add_u64 v[28:29], v[18:19], 2, s[6:7]
	global_load_dword v19, v[28:29], off
	v_add_u32_e32 v26, -5, v24
	v_add_u32_e32 v28, -3, v24
	v_mov_b32_e32 v29, v27
	v_add_u32_e32 v32, -1, v24
	v_mov_b32_e32 v33, v27
	v_lshl_add_u64 v[48:49], v[26:27], 4, s[8:9]
	v_lshl_add_u64 v[28:29], v[28:29], 4, s[8:9]
	v_add_u32_e32 v26, -2, v24
	v_mov_b32_e32 v53, v27
	v_lshl_add_u64 v[50:51], v[32:33], 4, s[8:9]
	global_load_dwordx4 v[32:35], v[48:49], off offset:16
	global_load_dwordx4 v[36:39], v[48:49], off
	global_load_dwordx4 v[40:43], v[28:29], off
	;; [unrolled: 1-line block ×3, first 2 shown]
	v_lshl_add_u64 v[28:29], v[26:27], 4, s[8:9]
	v_mov_b32_e32 v25, v27
	global_load_dwordx4 v[48:51], v[28:29], off
	v_lshl_add_u64 v[64:65], v[24:25], 4, s[8:9]
	v_add_u32_e32 v18, 16, v18
	v_cmp_ge_i32_e32 vcc, v18, v30
	v_add_u32_e32 v24, 0x60, v24
	s_or_b64 s[0:1], vcc, s[0:1]
	s_waitcnt vmcnt(5)
	v_subrev_u32_e32 v19, s16, v19
	v_lshlrev_b32_e32 v52, 1, v19
	v_lshl_add_u64 v[28:29], v[52:53], 4, s[10:11]
	global_load_dwordx4 v[52:55], v[28:29], off
	global_load_dwordx4 v[56:59], v[28:29], off offset:16
	global_load_dwordx4 v[60:63], v[64:65], off
	s_waitcnt vmcnt(2)
	v_fmac_f64_e32 v[22:23], v[36:37], v[52:53]
	v_fmac_f64_e32 v[14:15], v[38:39], v[52:53]
	v_fmac_f64_e32 v[20:21], v[40:41], v[52:53]
	v_fmac_f64_e32 v[16:17], v[42:43], v[52:53]
	v_fmac_f64_e32 v[12:13], v[44:45], v[52:53]
	v_fmac_f64_e32 v[10:11], v[46:47], v[52:53]
	v_fma_f64 v[22:23], -v[38:39], v[54:55], v[22:23]
	v_fmac_f64_e32 v[14:15], v[36:37], v[54:55]
	v_fma_f64 v[20:21], -v[42:43], v[54:55], v[20:21]
	v_fmac_f64_e32 v[16:17], v[40:41], v[54:55]
	;; [unrolled: 2-line block ×3, first 2 shown]
	s_waitcnt vmcnt(1)
	v_fmac_f64_e32 v[22:23], v[32:33], v[56:57]
	v_fmac_f64_e32 v[14:15], v[34:35], v[56:57]
	;; [unrolled: 1-line block ×4, first 2 shown]
	s_waitcnt vmcnt(0)
	v_fmac_f64_e32 v[12:13], v[60:61], v[56:57]
	v_fmac_f64_e32 v[10:11], v[62:63], v[56:57]
	v_fma_f64 v[22:23], -v[34:35], v[58:59], v[22:23]
	v_fmac_f64_e32 v[14:15], v[32:33], v[58:59]
	v_fma_f64 v[20:21], -v[50:51], v[58:59], v[20:21]
	;; [unrolled: 2-line block ×3, first 2 shown]
	v_fmac_f64_e32 v[10:11], v[60:61], v[58:59]
	s_andn2_b64 exec, exec, s[0:1]
	s_cbranch_execnz .LBB118_17
; %bb.18:
	s_or_b64 exec, exec, s[0:1]
.LBB118_19:
	s_or_b64 exec, exec, s[4:5]
.LBB118_20:
	v_mov_b32_dpp v26, v20 row_shr:1 row_mask:0xf bank_mask:0xf
	v_mov_b32_dpp v27, v21 row_shr:1 row_mask:0xf bank_mask:0xf
	v_add_f64 v[20:21], v[20:21], v[26:27]
	v_mov_b32_dpp v18, v22 row_shr:1 row_mask:0xf bank_mask:0xf
	v_mov_b32_dpp v19, v23 row_shr:1 row_mask:0xf bank_mask:0xf
	v_mov_b32_dpp v26, v20 row_shr:2 row_mask:0xf bank_mask:0xf
	v_mov_b32_dpp v27, v21 row_shr:2 row_mask:0xf bank_mask:0xf
	v_add_f64 v[20:21], v[20:21], v[26:27]
	v_mov_b32_dpp v24, v14 row_shr:1 row_mask:0xf bank_mask:0xf
	v_mov_b32_dpp v25, v15 row_shr:1 row_mask:0xf bank_mask:0xf
	;; [unrolled: 5-line block ×3, first 2 shown]
	v_add_f64 v[16:17], v[16:17], v[20:21]
	v_add_f64 v[18:19], v[22:23], v[18:19]
	;; [unrolled: 1-line block ×3, first 2 shown]
	v_mov_b32_dpp v20, v16 row_shr:2 row_mask:0xf bank_mask:0xf
	v_mov_b32_dpp v21, v17 row_shr:2 row_mask:0xf bank_mask:0xf
	v_add_f64 v[16:17], v[16:17], v[20:21]
	v_mov_b32_dpp v22, v18 row_shr:2 row_mask:0xf bank_mask:0xf
	v_mov_b32_dpp v23, v19 row_shr:2 row_mask:0xf bank_mask:0xf
	;; [unrolled: 1-line block ×4, first 2 shown]
	v_add_f64 v[30:31], v[16:17], v[20:21]
	v_mov_b32_dpp v16, v12 row_shr:1 row_mask:0xf bank_mask:0xf
	v_mov_b32_dpp v17, v13 row_shr:1 row_mask:0xf bank_mask:0xf
	v_add_f64 v[12:13], v[12:13], v[16:17]
	v_mov_b32_dpp v24, v14 row_shr:2 row_mask:0xf bank_mask:0xf
	v_mov_b32_dpp v25, v15 row_shr:2 row_mask:0xf bank_mask:0xf
	;; [unrolled: 1-line block ×4, first 2 shown]
	v_add_f64 v[12:13], v[12:13], v[16:17]
	v_add_f64 v[18:19], v[18:19], v[22:23]
	;; [unrolled: 1-line block ×3, first 2 shown]
	v_mov_b32_dpp v16, v12 row_shr:4 row_mask:0xf bank_mask:0xe
	v_mov_b32_dpp v17, v13 row_shr:4 row_mask:0xf bank_mask:0xe
	v_add_f64 v[34:35], v[12:13], v[16:17]
	v_mov_b32_dpp v12, v10 row_shr:1 row_mask:0xf bank_mask:0xf
	v_mov_b32_dpp v13, v11 row_shr:1 row_mask:0xf bank_mask:0xf
	v_add_f64 v[10:11], v[10:11], v[12:13]
	v_mov_b32_dpp v22, v18 row_shr:4 row_mask:0xf bank_mask:0xe
	v_mov_b32_dpp v23, v19 row_shr:4 row_mask:0xf bank_mask:0xe
	;; [unrolled: 1-line block ×4, first 2 shown]
	v_add_f64 v[10:11], v[10:11], v[12:13]
	v_mov_b32_dpp v24, v14 row_shr:4 row_mask:0xf bank_mask:0xe
	v_mov_b32_dpp v25, v15 row_shr:4 row_mask:0xf bank_mask:0xe
	;; [unrolled: 1-line block ×4, first 2 shown]
	v_add_f64 v[18:19], v[18:19], v[22:23]
	v_add_f64 v[14:15], v[14:15], v[24:25]
	;; [unrolled: 1-line block ×3, first 2 shown]
	v_mov_b32_dpp v22, v18 row_shr:8 row_mask:0xf bank_mask:0xc
	v_mov_b32_dpp v23, v19 row_shr:8 row_mask:0xf bank_mask:0xc
	;; [unrolled: 1-line block ×12, first 2 shown]
	v_cmp_eq_u32_e32 vcc, 15, v9
	s_and_b64 exec, exec, vcc
	s_cbranch_execz .LBB118_25
; %bb.21:
	s_load_dwordx2 s[2:3], s[2:3], 0x48
	v_cmp_eq_f64_e32 vcc, 0, v[4:5]
	v_cmp_eq_f64_e64 s[0:1], 0, v[6:7]
	v_add_f64 v[16:17], v[18:19], v[22:23]
	v_add_f64 v[20:21], v[14:15], v[24:25]
	;; [unrolled: 1-line block ×6, first 2 shown]
	s_and_b64 s[0:1], vcc, s[0:1]
	s_and_saveexec_b64 s[4:5], s[0:1]
	s_xor_b64 s[0:1], exec, s[4:5]
	s_cbranch_execz .LBB118_23
; %bb.22:
	v_lshl_add_u32 v8, v8, 1, v8
	v_mul_f64 v[4:5], v[20:21], -v[2:3]
	v_mul_f64 v[6:7], v[0:1], v[20:21]
	v_ashrrev_i32_e32 v9, 31, v8
	v_fmac_f64_e32 v[4:5], v[0:1], v[16:17]
	v_fmac_f64_e32 v[6:7], v[2:3], v[16:17]
	s_waitcnt lgkmcnt(0)
	v_lshl_add_u64 v[8:9], v[8:9], 4, s[2:3]
	global_store_dwordx4 v[8:9], v[4:7], off
                                        ; implicit-def: $vgpr16_vgpr17
                                        ; implicit-def: $vgpr20_vgpr21
	s_nop 1
	v_mul_f64 v[4:5], v[18:19], -v[2:3]
	v_mul_f64 v[6:7], v[0:1], v[18:19]
	v_fmac_f64_e32 v[4:5], v[0:1], v[12:13]
	v_fmac_f64_e32 v[6:7], v[2:3], v[12:13]
	global_store_dwordx4 v[8:9], v[4:7], off offset:16
                                        ; implicit-def: $vgpr12_vgpr13
                                        ; implicit-def: $vgpr18_vgpr19
	s_nop 1
	v_mul_f64 v[4:5], v[14:15], -v[2:3]
	v_mul_f64 v[6:7], v[0:1], v[14:15]
	v_fmac_f64_e32 v[4:5], v[0:1], v[10:11]
	v_fmac_f64_e32 v[6:7], v[2:3], v[10:11]
	global_store_dwordx4 v[8:9], v[4:7], off offset:32
                                        ; implicit-def: $vgpr0_vgpr1
                                        ; implicit-def: $vgpr2_vgpr3
                                        ; implicit-def: $vgpr4_vgpr5
                                        ; implicit-def: $vgpr6_vgpr7
                                        ; implicit-def: $vgpr8
                                        ; implicit-def: $vgpr10_vgpr11
                                        ; implicit-def: $vgpr14_vgpr15
.LBB118_23:
	s_andn2_saveexec_b64 s[0:1], s[0:1]
	s_cbranch_execz .LBB118_25
; %bb.24:
	v_lshl_add_u32 v8, v8, 1, v8
	v_ashrrev_i32_e32 v9, 31, v8
	s_waitcnt lgkmcnt(0)
	v_lshl_add_u64 v[38:39], v[8:9], 4, s[2:3]
	global_load_dwordx4 v[22:25], v[38:39], off
	global_load_dwordx4 v[26:29], v[38:39], off offset:16
	global_load_dwordx4 v[30:33], v[38:39], off offset:32
	v_mul_f64 v[34:35], v[20:21], -v[2:3]
	v_mul_f64 v[20:21], v[0:1], v[20:21]
	v_mul_f64 v[40:41], v[18:19], -v[2:3]
	v_mul_f64 v[36:37], v[0:1], v[18:19]
	;; [unrolled: 2-line block ×3, first 2 shown]
	v_fmac_f64_e32 v[34:35], v[0:1], v[16:17]
	v_fmac_f64_e32 v[20:21], v[2:3], v[16:17]
	;; [unrolled: 1-line block ×6, first 2 shown]
	s_waitcnt vmcnt(2)
	v_fmac_f64_e32 v[34:35], v[4:5], v[22:23]
	v_fmac_f64_e32 v[20:21], v[6:7], v[22:23]
	s_waitcnt vmcnt(1)
	v_fmac_f64_e32 v[40:41], v[4:5], v[26:27]
	v_fmac_f64_e32 v[36:37], v[6:7], v[26:27]
	;; [unrolled: 3-line block ×3, first 2 shown]
	v_fma_f64 v[18:19], -v[6:7], v[24:25], v[34:35]
	v_fmac_f64_e32 v[20:21], v[4:5], v[24:25]
	v_fma_f64 v[34:35], -v[6:7], v[28:29], v[40:41]
	v_fmac_f64_e32 v[36:37], v[4:5], v[28:29]
	v_fma_f64 v[6:7], -v[6:7], v[32:33], v[42:43]
	v_fmac_f64_e32 v[8:9], v[4:5], v[32:33]
	global_store_dwordx4 v[38:39], v[18:21], off
	global_store_dwordx4 v[38:39], v[34:37], off offset:16
	global_store_dwordx4 v[38:39], v[6:9], off offset:32
.LBB118_25:
	s_endpgm
	.section	.rodata,"a",@progbits
	.p2align	6, 0x0
	.amdhsa_kernel _ZN9rocsparseL19gebsrmvn_3xn_kernelILj128ELj2ELj16E21rocsparse_complex_numIdEEEvi20rocsparse_direction_NS_24const_host_device_scalarIT2_EEPKiS8_PKS5_SA_S6_PS5_21rocsparse_index_base_b
		.amdhsa_group_segment_fixed_size 2048
		.amdhsa_private_segment_fixed_size 0
		.amdhsa_kernarg_size 88
		.amdhsa_user_sgpr_count 4
		.amdhsa_user_sgpr_dispatch_ptr 1
		.amdhsa_user_sgpr_queue_ptr 0
		.amdhsa_user_sgpr_kernarg_segment_ptr 1
		.amdhsa_user_sgpr_dispatch_id 0
		.amdhsa_user_sgpr_kernarg_preload_length 0
		.amdhsa_user_sgpr_kernarg_preload_offset 0
		.amdhsa_user_sgpr_private_segment_size 0
		.amdhsa_uses_dynamic_stack 0
		.amdhsa_enable_private_segment 0
		.amdhsa_system_sgpr_workgroup_id_x 1
		.amdhsa_system_sgpr_workgroup_id_y 0
		.amdhsa_system_sgpr_workgroup_id_z 0
		.amdhsa_system_sgpr_workgroup_info 0
		.amdhsa_system_vgpr_workitem_id 2
		.amdhsa_next_free_vgpr 68
		.amdhsa_next_free_sgpr 20
		.amdhsa_accum_offset 68
		.amdhsa_reserve_vcc 1
		.amdhsa_float_round_mode_32 0
		.amdhsa_float_round_mode_16_64 0
		.amdhsa_float_denorm_mode_32 3
		.amdhsa_float_denorm_mode_16_64 3
		.amdhsa_dx10_clamp 1
		.amdhsa_ieee_mode 1
		.amdhsa_fp16_overflow 0
		.amdhsa_tg_split 0
		.amdhsa_exception_fp_ieee_invalid_op 0
		.amdhsa_exception_fp_denorm_src 0
		.amdhsa_exception_fp_ieee_div_zero 0
		.amdhsa_exception_fp_ieee_overflow 0
		.amdhsa_exception_fp_ieee_underflow 0
		.amdhsa_exception_fp_ieee_inexact 0
		.amdhsa_exception_int_div_zero 0
	.end_amdhsa_kernel
	.section	.text._ZN9rocsparseL19gebsrmvn_3xn_kernelILj128ELj2ELj16E21rocsparse_complex_numIdEEEvi20rocsparse_direction_NS_24const_host_device_scalarIT2_EEPKiS8_PKS5_SA_S6_PS5_21rocsparse_index_base_b,"axG",@progbits,_ZN9rocsparseL19gebsrmvn_3xn_kernelILj128ELj2ELj16E21rocsparse_complex_numIdEEEvi20rocsparse_direction_NS_24const_host_device_scalarIT2_EEPKiS8_PKS5_SA_S6_PS5_21rocsparse_index_base_b,comdat
.Lfunc_end118:
	.size	_ZN9rocsparseL19gebsrmvn_3xn_kernelILj128ELj2ELj16E21rocsparse_complex_numIdEEEvi20rocsparse_direction_NS_24const_host_device_scalarIT2_EEPKiS8_PKS5_SA_S6_PS5_21rocsparse_index_base_b, .Lfunc_end118-_ZN9rocsparseL19gebsrmvn_3xn_kernelILj128ELj2ELj16E21rocsparse_complex_numIdEEEvi20rocsparse_direction_NS_24const_host_device_scalarIT2_EEPKiS8_PKS5_SA_S6_PS5_21rocsparse_index_base_b
                                        ; -- End function
	.section	.AMDGPU.csdata,"",@progbits
; Kernel info:
; codeLenInByte = 2224
; NumSgprs: 26
; NumVgprs: 68
; NumAgprs: 0
; TotalNumVgprs: 68
; ScratchSize: 0
; MemoryBound: 0
; FloatMode: 240
; IeeeMode: 1
; LDSByteSize: 2048 bytes/workgroup (compile time only)
; SGPRBlocks: 3
; VGPRBlocks: 8
; NumSGPRsForWavesPerEU: 26
; NumVGPRsForWavesPerEU: 68
; AccumOffset: 68
; Occupancy: 7
; WaveLimiterHint : 1
; COMPUTE_PGM_RSRC2:SCRATCH_EN: 0
; COMPUTE_PGM_RSRC2:USER_SGPR: 4
; COMPUTE_PGM_RSRC2:TRAP_HANDLER: 0
; COMPUTE_PGM_RSRC2:TGID_X_EN: 1
; COMPUTE_PGM_RSRC2:TGID_Y_EN: 0
; COMPUTE_PGM_RSRC2:TGID_Z_EN: 0
; COMPUTE_PGM_RSRC2:TIDIG_COMP_CNT: 2
; COMPUTE_PGM_RSRC3_GFX90A:ACCUM_OFFSET: 16
; COMPUTE_PGM_RSRC3_GFX90A:TG_SPLIT: 0
	.section	.text._ZN9rocsparseL19gebsrmvn_3xn_kernelILj128ELj2ELj32E21rocsparse_complex_numIdEEEvi20rocsparse_direction_NS_24const_host_device_scalarIT2_EEPKiS8_PKS5_SA_S6_PS5_21rocsparse_index_base_b,"axG",@progbits,_ZN9rocsparseL19gebsrmvn_3xn_kernelILj128ELj2ELj32E21rocsparse_complex_numIdEEEvi20rocsparse_direction_NS_24const_host_device_scalarIT2_EEPKiS8_PKS5_SA_S6_PS5_21rocsparse_index_base_b,comdat
	.globl	_ZN9rocsparseL19gebsrmvn_3xn_kernelILj128ELj2ELj32E21rocsparse_complex_numIdEEEvi20rocsparse_direction_NS_24const_host_device_scalarIT2_EEPKiS8_PKS5_SA_S6_PS5_21rocsparse_index_base_b ; -- Begin function _ZN9rocsparseL19gebsrmvn_3xn_kernelILj128ELj2ELj32E21rocsparse_complex_numIdEEEvi20rocsparse_direction_NS_24const_host_device_scalarIT2_EEPKiS8_PKS5_SA_S6_PS5_21rocsparse_index_base_b
	.p2align	8
	.type	_ZN9rocsparseL19gebsrmvn_3xn_kernelILj128ELj2ELj32E21rocsparse_complex_numIdEEEvi20rocsparse_direction_NS_24const_host_device_scalarIT2_EEPKiS8_PKS5_SA_S6_PS5_21rocsparse_index_base_b,@function
_ZN9rocsparseL19gebsrmvn_3xn_kernelILj128ELj2ELj32E21rocsparse_complex_numIdEEEvi20rocsparse_direction_NS_24const_host_device_scalarIT2_EEPKiS8_PKS5_SA_S6_PS5_21rocsparse_index_base_b: ; @_ZN9rocsparseL19gebsrmvn_3xn_kernelILj128ELj2ELj32E21rocsparse_complex_numIdEEEvi20rocsparse_direction_NS_24const_host_device_scalarIT2_EEPKiS8_PKS5_SA_S6_PS5_21rocsparse_index_base_b
; %bb.0:
	s_load_dwordx2 s[16:17], s[2:3], 0x50
	s_load_dwordx4 s[12:15], s[2:3], 0x8
	s_load_dwordx4 s[8:11], s[2:3], 0x38
	s_load_dwordx2 s[18:19], s[0:1], 0x4
	s_mov_b64 s[6:7], src_shared_base
	s_waitcnt lgkmcnt(0)
	s_bitcmp1_b32 s17, 0
	s_cselect_b64 s[0:1], -1, 0
	s_and_b64 vcc, s[0:1], exec
	s_cselect_b32 s5, s7, s13
	s_lshr_b32 s6, s18, 16
	v_bfe_u32 v1, v0, 10, 10
	v_and_b32_e32 v10, 0x3ff, v0
	s_mul_i32 s6, s6, s19
	v_mul_u32_u24_e32 v1, s19, v1
	v_mad_u32_u24 v1, s6, v10, v1
	v_bfe_u32 v0, v0, 20, 10
	v_add_lshl_u32 v4, v1, v0, 3
	v_mov_b32_e32 v5, s12
	v_add_u32_e32 v6, 0x400, v4
	v_mov_b64_e32 v[0:1], s[12:13]
	v_mov_b64_e32 v[2:3], s[8:9]
	ds_write2st64_b64 v4, v[2:3], v[0:1] offset1:2
	v_cndmask_b32_e64 v0, v5, v6, s[0:1]
	v_mov_b32_e32 v1, s5
	flat_load_dwordx2 v[0:1], v[0:1]
	s_xor_b64 s[18:19], s[0:1], -1
	v_mov_b64_e32 v[2:3], s[14:15]
	s_cbranch_vccnz .LBB119_2
; %bb.1:
	v_mov_b64_e32 v[2:3], s[12:13]
	flat_load_dwordx2 v[2:3], v[2:3] offset:8
.LBB119_2:
	s_and_b64 s[12:13], s[0:1], exec
	s_cselect_b32 s5, s7, s9
	v_mov_b32_e32 v5, s8
	v_cndmask_b32_e64 v4, v5, v4, s[0:1]
	v_mov_b32_e32 v5, s5
	flat_load_dwordx2 v[4:5], v[4:5]
	s_andn2_b64 vcc, exec, s[18:19]
	v_mov_b64_e32 v[6:7], s[10:11]
	s_cbranch_vccnz .LBB119_4
; %bb.3:
	v_mov_b64_e32 v[6:7], s[8:9]
	flat_load_dwordx2 v[6:7], v[6:7] offset:8
.LBB119_4:
	s_waitcnt vmcnt(0) lgkmcnt(0)
	v_cmp_eq_f64_e32 vcc, 0, v[0:1]
	v_cmp_eq_f64_e64 s[0:1], 0, v[2:3]
	s_and_b64 s[8:9], vcc, s[0:1]
	s_mov_b64 s[0:1], -1
	s_and_saveexec_b64 s[6:7], s[8:9]
; %bb.5:
	v_cmp_neq_f64_e32 vcc, 1.0, v[4:5]
	v_cmp_neq_f64_e64 s[0:1], 0, v[6:7]
	s_or_b64 s[0:1], vcc, s[0:1]
	s_orn2_b64 s[0:1], s[0:1], exec
; %bb.6:
	s_or_b64 exec, exec, s[6:7]
	s_and_saveexec_b64 s[6:7], s[0:1]
	s_cbranch_execz .LBB119_25
; %bb.7:
	s_load_dwordx2 s[0:1], s[2:3], 0x0
	v_lshrrev_b32_e32 v8, 5, v10
	v_lshl_or_b32 v8, s4, 2, v8
	s_waitcnt lgkmcnt(0)
	v_cmp_gt_i32_e32 vcc, s0, v8
	s_and_b64 exec, exec, vcc
	s_cbranch_execz .LBB119_25
; %bb.8:
	s_load_dwordx8 s[4:11], s[2:3], 0x18
	v_ashrrev_i32_e32 v9, 31, v8
	s_cmp_lg_u32 s1, 0
	s_waitcnt lgkmcnt(0)
	v_lshl_add_u64 v[12:13], v[8:9], 2, s[4:5]
	global_load_dwordx2 v[12:13], v[12:13], off
	v_and_b32_e32 v9, 31, v10
	s_waitcnt vmcnt(0)
	v_subrev_u32_e32 v10, s16, v12
	v_subrev_u32_e32 v30, s16, v13
	v_add_u32_e32 v20, v10, v9
	v_cmp_lt_i32_e64 s[0:1], v20, v30
	s_cbranch_scc0 .LBB119_14
; %bb.9:
	v_mov_b64_e32 v[16:17], 0
	s_mov_b64 s[4:5], 0
	v_mov_b64_e32 v[22:23], v[16:17]
	v_mov_b64_e32 v[12:13], v[16:17]
	;; [unrolled: 1-line block ×5, first 2 shown]
	s_and_saveexec_b64 s[12:13], s[0:1]
	s_cbranch_execz .LBB119_13
; %bb.10:
	v_mad_u64_u32 v[24:25], s[14:15], v20, 6, 5
	v_mov_b64_e32 v[16:17], 0
	s_mov_b64 s[14:15], 0
	v_mov_b32_e32 v27, 0
	v_mov_b32_e32 v28, v20
	v_mov_b64_e32 v[22:23], v[16:17]
	v_mov_b64_e32 v[12:13], v[16:17]
	;; [unrolled: 1-line block ×5, first 2 shown]
.LBB119_11:                             ; =>This Inner Loop Header: Depth=1
	v_ashrrev_i32_e32 v29, 31, v28
	v_lshl_add_u64 v[32:33], v[28:29], 2, s[6:7]
	global_load_dword v21, v[32:33], off
	v_add_u32_e32 v26, -5, v24
	v_lshl_add_u64 v[40:41], v[26:27], 4, s[8:9]
	v_add_u32_e32 v26, -3, v24
	v_lshl_add_u64 v[48:49], v[26:27], 4, s[8:9]
	v_add_u32_e32 v26, -2, v24
	v_mov_b32_e32 v53, v27
	global_load_dwordx4 v[32:35], v[40:41], off offset:16
	global_load_dwordx4 v[36:39], v[40:41], off
	v_lshl_add_u64 v[50:51], v[26:27], 4, s[8:9]
	v_add_u32_e32 v26, -1, v24
	v_mov_b32_e32 v25, v27
	global_load_dwordx4 v[40:43], v[48:49], off
	global_load_dwordx4 v[44:47], v[50:51], off
	v_lshl_add_u64 v[48:49], v[26:27], 4, s[8:9]
	v_lshl_add_u64 v[64:65], v[24:25], 4, s[8:9]
	global_load_dwordx4 v[48:51], v[48:49], off
	v_add_u32_e32 v28, 32, v28
	v_cmp_ge_i32_e32 vcc, v28, v30
	v_add_u32_e32 v24, 0xc0, v24
	s_or_b64 s[14:15], vcc, s[14:15]
	s_waitcnt vmcnt(5)
	v_subrev_u32_e32 v21, s16, v21
	v_lshlrev_b32_e32 v52, 1, v21
	v_lshl_add_u64 v[66:67], v[52:53], 4, s[10:11]
	global_load_dwordx4 v[52:55], v[66:67], off
	global_load_dwordx4 v[56:59], v[66:67], off offset:16
	global_load_dwordx4 v[60:63], v[64:65], off
	s_waitcnt vmcnt(2)
	v_fmac_f64_e32 v[22:23], v[36:37], v[52:53]
	v_fmac_f64_e32 v[16:17], v[38:39], v[52:53]
	;; [unrolled: 1-line block ×6, first 2 shown]
	v_fma_f64 v[22:23], -v[38:39], v[54:55], v[22:23]
	v_fmac_f64_e32 v[16:17], v[36:37], v[54:55]
	v_fma_f64 v[18:19], -v[34:35], v[54:55], v[18:19]
	v_fmac_f64_e32 v[14:15], v[32:33], v[54:55]
	;; [unrolled: 2-line block ×3, first 2 shown]
	s_waitcnt vmcnt(1)
	v_fmac_f64_e32 v[22:23], v[44:45], v[56:57]
	v_fmac_f64_e32 v[16:17], v[46:47], v[56:57]
	v_fmac_f64_e32 v[18:19], v[48:49], v[56:57]
	v_fmac_f64_e32 v[14:15], v[50:51], v[56:57]
	s_waitcnt vmcnt(0)
	v_fmac_f64_e32 v[12:13], v[60:61], v[56:57]
	v_fmac_f64_e32 v[10:11], v[62:63], v[56:57]
	v_fma_f64 v[22:23], -v[46:47], v[58:59], v[22:23]
	v_fmac_f64_e32 v[16:17], v[44:45], v[58:59]
	v_fma_f64 v[18:19], -v[50:51], v[58:59], v[18:19]
	;; [unrolled: 2-line block ×3, first 2 shown]
	v_fmac_f64_e32 v[10:11], v[60:61], v[58:59]
	s_andn2_b64 exec, exec, s[14:15]
	s_cbranch_execnz .LBB119_11
; %bb.12:
	s_or_b64 exec, exec, s[14:15]
.LBB119_13:
	s_or_b64 exec, exec, s[12:13]
	s_andn2_b64 vcc, exec, s[4:5]
	s_cbranch_vccz .LBB119_15
	s_branch .LBB119_20
.LBB119_14:
                                        ; implicit-def: $vgpr16_vgpr17
                                        ; implicit-def: $vgpr22_vgpr23
                                        ; implicit-def: $vgpr12_vgpr13
                                        ; implicit-def: $vgpr10_vgpr11
                                        ; implicit-def: $vgpr18_vgpr19
                                        ; implicit-def: $vgpr14_vgpr15
.LBB119_15:
	v_mov_b64_e32 v[16:17], 0
	v_mov_b64_e32 v[22:23], v[16:17]
	;; [unrolled: 1-line block ×6, first 2 shown]
	s_and_saveexec_b64 s[4:5], s[0:1]
	s_cbranch_execz .LBB119_19
; %bb.16:
	v_mad_u64_u32 v[24:25], s[0:1], v20, 6, 5
	v_mov_b64_e32 v[16:17], 0
	s_mov_b64 s[0:1], 0
	v_mov_b32_e32 v27, 0
	v_mov_b64_e32 v[22:23], v[16:17]
	v_mov_b64_e32 v[12:13], v[16:17]
	;; [unrolled: 1-line block ×5, first 2 shown]
.LBB119_17:                             ; =>This Inner Loop Header: Depth=1
	v_ashrrev_i32_e32 v21, 31, v20
	v_lshl_add_u64 v[28:29], v[20:21], 2, s[6:7]
	global_load_dword v21, v[28:29], off
	v_add_u32_e32 v26, -5, v24
	v_add_u32_e32 v28, -3, v24
	v_mov_b32_e32 v29, v27
	v_add_u32_e32 v32, -1, v24
	v_mov_b32_e32 v33, v27
	v_lshl_add_u64 v[48:49], v[26:27], 4, s[8:9]
	v_lshl_add_u64 v[28:29], v[28:29], 4, s[8:9]
	v_add_u32_e32 v26, -2, v24
	v_mov_b32_e32 v53, v27
	v_lshl_add_u64 v[50:51], v[32:33], 4, s[8:9]
	global_load_dwordx4 v[32:35], v[48:49], off offset:16
	global_load_dwordx4 v[36:39], v[48:49], off
	global_load_dwordx4 v[40:43], v[28:29], off
	;; [unrolled: 1-line block ×3, first 2 shown]
	v_lshl_add_u64 v[28:29], v[26:27], 4, s[8:9]
	v_mov_b32_e32 v25, v27
	global_load_dwordx4 v[48:51], v[28:29], off
	v_lshl_add_u64 v[64:65], v[24:25], 4, s[8:9]
	v_add_u32_e32 v20, 32, v20
	v_cmp_ge_i32_e32 vcc, v20, v30
	v_add_u32_e32 v24, 0xc0, v24
	s_or_b64 s[0:1], vcc, s[0:1]
	s_waitcnt vmcnt(5)
	v_subrev_u32_e32 v21, s16, v21
	v_lshlrev_b32_e32 v52, 1, v21
	v_lshl_add_u64 v[28:29], v[52:53], 4, s[10:11]
	global_load_dwordx4 v[52:55], v[28:29], off
	global_load_dwordx4 v[56:59], v[28:29], off offset:16
	global_load_dwordx4 v[60:63], v[64:65], off
	s_waitcnt vmcnt(2)
	v_fmac_f64_e32 v[22:23], v[36:37], v[52:53]
	v_fmac_f64_e32 v[16:17], v[38:39], v[52:53]
	;; [unrolled: 1-line block ×6, first 2 shown]
	v_fma_f64 v[22:23], -v[38:39], v[54:55], v[22:23]
	v_fmac_f64_e32 v[16:17], v[36:37], v[54:55]
	v_fma_f64 v[18:19], -v[42:43], v[54:55], v[18:19]
	v_fmac_f64_e32 v[14:15], v[40:41], v[54:55]
	;; [unrolled: 2-line block ×3, first 2 shown]
	s_waitcnt vmcnt(1)
	v_fmac_f64_e32 v[22:23], v[32:33], v[56:57]
	v_fmac_f64_e32 v[16:17], v[34:35], v[56:57]
	;; [unrolled: 1-line block ×4, first 2 shown]
	s_waitcnt vmcnt(0)
	v_fmac_f64_e32 v[12:13], v[60:61], v[56:57]
	v_fmac_f64_e32 v[10:11], v[62:63], v[56:57]
	v_fma_f64 v[22:23], -v[34:35], v[58:59], v[22:23]
	v_fmac_f64_e32 v[16:17], v[32:33], v[58:59]
	v_fma_f64 v[18:19], -v[50:51], v[58:59], v[18:19]
	;; [unrolled: 2-line block ×3, first 2 shown]
	v_fmac_f64_e32 v[10:11], v[60:61], v[58:59]
	s_andn2_b64 exec, exec, s[0:1]
	s_cbranch_execnz .LBB119_17
; %bb.18:
	s_or_b64 exec, exec, s[0:1]
.LBB119_19:
	s_or_b64 exec, exec, s[4:5]
.LBB119_20:
	v_mov_b32_dpp v24, v16 row_shr:1 row_mask:0xf bank_mask:0xf
	v_mov_b32_dpp v25, v17 row_shr:1 row_mask:0xf bank_mask:0xf
	v_add_f64 v[16:17], v[16:17], v[24:25]
	v_mov_b32_dpp v20, v22 row_shr:1 row_mask:0xf bank_mask:0xf
	v_mov_b32_dpp v21, v23 row_shr:1 row_mask:0xf bank_mask:0xf
	;; [unrolled: 1-line block ×4, first 2 shown]
	v_add_f64 v[16:17], v[16:17], v[24:25]
	v_add_f64 v[20:21], v[22:23], v[20:21]
	v_cmp_eq_u32_e32 vcc, 31, v9
	v_mov_b32_dpp v24, v16 row_shr:4 row_mask:0xf bank_mask:0xe
	v_mov_b32_dpp v25, v17 row_shr:4 row_mask:0xf bank_mask:0xe
	v_add_f64 v[16:17], v[16:17], v[24:25]
	v_mov_b32_dpp v22, v20 row_shr:2 row_mask:0xf bank_mask:0xf
	v_mov_b32_dpp v23, v21 row_shr:2 row_mask:0xf bank_mask:0xf
	;; [unrolled: 1-line block ×4, first 2 shown]
	v_add_f64 v[24:25], v[16:17], v[24:25]
	v_mov_b32_dpp v16, v18 row_shr:1 row_mask:0xf bank_mask:0xf
	v_mov_b32_dpp v17, v19 row_shr:1 row_mask:0xf bank_mask:0xf
	v_add_f64 v[16:17], v[18:19], v[16:17]
	v_add_f64 v[20:21], v[20:21], v[22:23]
	v_mov_b32_dpp v26, v24 row_bcast:15 row_mask:0xa bank_mask:0xf
	v_mov_b32_dpp v18, v16 row_shr:2 row_mask:0xf bank_mask:0xf
	v_mov_b32_dpp v19, v17 row_shr:2 row_mask:0xf bank_mask:0xf
	v_add_f64 v[16:17], v[16:17], v[18:19]
	v_mov_b32_dpp v22, v20 row_shr:4 row_mask:0xf bank_mask:0xe
	v_mov_b32_dpp v23, v21 row_shr:4 row_mask:0xf bank_mask:0xe
	;; [unrolled: 1-line block ×4, first 2 shown]
	v_add_f64 v[16:17], v[16:17], v[18:19]
	v_add_f64 v[20:21], v[20:21], v[22:23]
	v_mov_b32_dpp v27, v25 row_bcast:15 row_mask:0xa bank_mask:0xf
	v_mov_b32_dpp v18, v16 row_shr:8 row_mask:0xf bank_mask:0xc
	v_mov_b32_dpp v19, v17 row_shr:8 row_mask:0xf bank_mask:0xc
	v_add_f64 v[18:19], v[16:17], v[18:19]
	v_mov_b32_dpp v16, v14 row_shr:1 row_mask:0xf bank_mask:0xf
	v_mov_b32_dpp v17, v15 row_shr:1 row_mask:0xf bank_mask:0xf
	v_add_f64 v[14:15], v[14:15], v[16:17]
	v_mov_b32_dpp v22, v20 row_shr:8 row_mask:0xf bank_mask:0xc
	v_mov_b32_dpp v23, v21 row_shr:8 row_mask:0xf bank_mask:0xc
	;; [unrolled: 1-line block ×4, first 2 shown]
	v_add_f64 v[14:15], v[14:15], v[16:17]
	v_add_f64 v[20:21], v[20:21], v[22:23]
	v_mov_b32_dpp v28, v18 row_bcast:15 row_mask:0xa bank_mask:0xf
	v_mov_b32_dpp v16, v14 row_shr:4 row_mask:0xf bank_mask:0xe
	v_mov_b32_dpp v17, v15 row_shr:4 row_mask:0xf bank_mask:0xe
	v_add_f64 v[14:15], v[14:15], v[16:17]
	v_mov_b32_dpp v22, v20 row_bcast:15 row_mask:0xa bank_mask:0xf
	v_mov_b32_dpp v23, v21 row_bcast:15 row_mask:0xa bank_mask:0xf
	v_mov_b32_dpp v16, v14 row_shr:8 row_mask:0xf bank_mask:0xc
	v_mov_b32_dpp v17, v15 row_shr:8 row_mask:0xf bank_mask:0xc
	v_add_f64 v[14:15], v[14:15], v[16:17]
	v_mov_b32_dpp v16, v12 row_shr:1 row_mask:0xf bank_mask:0xf
	v_mov_b32_dpp v17, v13 row_shr:1 row_mask:0xf bank_mask:0xf
	v_add_f64 v[12:13], v[12:13], v[16:17]
	v_mov_b32_dpp v29, v19 row_bcast:15 row_mask:0xa bank_mask:0xf
	v_mov_b32_dpp v30, v14 row_bcast:15 row_mask:0xa bank_mask:0xf
	v_mov_b32_dpp v16, v12 row_shr:2 row_mask:0xf bank_mask:0xf
	v_mov_b32_dpp v17, v13 row_shr:2 row_mask:0xf bank_mask:0xf
	v_add_f64 v[12:13], v[12:13], v[16:17]
	v_mov_b32_dpp v31, v15 row_bcast:15 row_mask:0xa bank_mask:0xf
	s_nop 0
	v_mov_b32_dpp v16, v12 row_shr:4 row_mask:0xf bank_mask:0xe
	v_mov_b32_dpp v17, v13 row_shr:4 row_mask:0xf bank_mask:0xe
	v_add_f64 v[12:13], v[12:13], v[16:17]
	s_nop 1
	v_mov_b32_dpp v16, v12 row_shr:8 row_mask:0xf bank_mask:0xc
	v_mov_b32_dpp v17, v13 row_shr:8 row_mask:0xf bank_mask:0xc
	v_add_f64 v[32:33], v[12:13], v[16:17]
	v_mov_b32_dpp v12, v10 row_shr:1 row_mask:0xf bank_mask:0xf
	v_mov_b32_dpp v13, v11 row_shr:1 row_mask:0xf bank_mask:0xf
	v_add_f64 v[10:11], v[10:11], v[12:13]
	v_mov_b32_dpp v34, v32 row_bcast:15 row_mask:0xa bank_mask:0xf
	v_mov_b32_dpp v35, v33 row_bcast:15 row_mask:0xa bank_mask:0xf
	v_mov_b32_dpp v12, v10 row_shr:2 row_mask:0xf bank_mask:0xf
	v_mov_b32_dpp v13, v11 row_shr:2 row_mask:0xf bank_mask:0xf
	v_add_f64 v[10:11], v[10:11], v[12:13]
	s_nop 1
	v_mov_b32_dpp v12, v10 row_shr:4 row_mask:0xf bank_mask:0xe
	v_mov_b32_dpp v13, v11 row_shr:4 row_mask:0xf bank_mask:0xe
	v_add_f64 v[10:11], v[10:11], v[12:13]
	s_nop 1
	;; [unrolled: 4-line block ×3, first 2 shown]
	v_mov_b32_dpp v38, v36 row_bcast:15 row_mask:0xa bank_mask:0xf
	v_mov_b32_dpp v39, v37 row_bcast:15 row_mask:0xa bank_mask:0xf
	s_and_b64 exec, exec, vcc
	s_cbranch_execz .LBB119_25
; %bb.21:
	s_load_dwordx2 s[2:3], s[2:3], 0x48
	v_cmp_eq_f64_e32 vcc, 0, v[4:5]
	v_cmp_eq_f64_e64 s[0:1], 0, v[6:7]
	v_add_f64 v[16:17], v[20:21], v[22:23]
	v_add_f64 v[20:21], v[24:25], v[26:27]
	;; [unrolled: 1-line block ×6, first 2 shown]
	s_and_b64 s[0:1], vcc, s[0:1]
	s_and_saveexec_b64 s[4:5], s[0:1]
	s_xor_b64 s[0:1], exec, s[4:5]
	s_cbranch_execz .LBB119_23
; %bb.22:
	v_lshl_add_u32 v8, v8, 1, v8
	v_mul_f64 v[4:5], v[20:21], -v[2:3]
	v_mul_f64 v[6:7], v[0:1], v[20:21]
	v_ashrrev_i32_e32 v9, 31, v8
	v_fmac_f64_e32 v[4:5], v[0:1], v[16:17]
	v_fmac_f64_e32 v[6:7], v[2:3], v[16:17]
	s_waitcnt lgkmcnt(0)
	v_lshl_add_u64 v[8:9], v[8:9], 4, s[2:3]
	global_store_dwordx4 v[8:9], v[4:7], off
                                        ; implicit-def: $vgpr16_vgpr17
                                        ; implicit-def: $vgpr20_vgpr21
	s_nop 1
	v_mul_f64 v[4:5], v[18:19], -v[2:3]
	v_mul_f64 v[6:7], v[0:1], v[18:19]
	v_fmac_f64_e32 v[4:5], v[0:1], v[12:13]
	v_fmac_f64_e32 v[6:7], v[2:3], v[12:13]
	global_store_dwordx4 v[8:9], v[4:7], off offset:16
                                        ; implicit-def: $vgpr12_vgpr13
                                        ; implicit-def: $vgpr18_vgpr19
	s_nop 1
	v_mul_f64 v[4:5], v[14:15], -v[2:3]
	v_mul_f64 v[6:7], v[0:1], v[14:15]
	v_fmac_f64_e32 v[4:5], v[0:1], v[10:11]
	v_fmac_f64_e32 v[6:7], v[2:3], v[10:11]
	global_store_dwordx4 v[8:9], v[4:7], off offset:32
                                        ; implicit-def: $vgpr0_vgpr1
                                        ; implicit-def: $vgpr2_vgpr3
                                        ; implicit-def: $vgpr4_vgpr5
                                        ; implicit-def: $vgpr6_vgpr7
                                        ; implicit-def: $vgpr8
                                        ; implicit-def: $vgpr10_vgpr11
                                        ; implicit-def: $vgpr14_vgpr15
.LBB119_23:
	s_andn2_saveexec_b64 s[0:1], s[0:1]
	s_cbranch_execz .LBB119_25
; %bb.24:
	v_lshl_add_u32 v8, v8, 1, v8
	v_ashrrev_i32_e32 v9, 31, v8
	s_waitcnt lgkmcnt(0)
	v_lshl_add_u64 v[38:39], v[8:9], 4, s[2:3]
	global_load_dwordx4 v[22:25], v[38:39], off
	global_load_dwordx4 v[26:29], v[38:39], off offset:16
	global_load_dwordx4 v[30:33], v[38:39], off offset:32
	v_mul_f64 v[34:35], v[20:21], -v[2:3]
	v_mul_f64 v[20:21], v[0:1], v[20:21]
	v_mul_f64 v[40:41], v[18:19], -v[2:3]
	v_mul_f64 v[36:37], v[0:1], v[18:19]
	;; [unrolled: 2-line block ×3, first 2 shown]
	v_fmac_f64_e32 v[34:35], v[0:1], v[16:17]
	v_fmac_f64_e32 v[20:21], v[2:3], v[16:17]
	;; [unrolled: 1-line block ×6, first 2 shown]
	s_waitcnt vmcnt(2)
	v_fmac_f64_e32 v[34:35], v[4:5], v[22:23]
	v_fmac_f64_e32 v[20:21], v[6:7], v[22:23]
	s_waitcnt vmcnt(1)
	v_fmac_f64_e32 v[40:41], v[4:5], v[26:27]
	v_fmac_f64_e32 v[36:37], v[6:7], v[26:27]
	;; [unrolled: 3-line block ×3, first 2 shown]
	v_fma_f64 v[18:19], -v[6:7], v[24:25], v[34:35]
	v_fmac_f64_e32 v[20:21], v[4:5], v[24:25]
	v_fma_f64 v[34:35], -v[6:7], v[28:29], v[40:41]
	v_fmac_f64_e32 v[36:37], v[4:5], v[28:29]
	;; [unrolled: 2-line block ×3, first 2 shown]
	global_store_dwordx4 v[38:39], v[18:21], off
	global_store_dwordx4 v[38:39], v[34:37], off offset:16
	global_store_dwordx4 v[38:39], v[6:9], off offset:32
.LBB119_25:
	s_endpgm
	.section	.rodata,"a",@progbits
	.p2align	6, 0x0
	.amdhsa_kernel _ZN9rocsparseL19gebsrmvn_3xn_kernelILj128ELj2ELj32E21rocsparse_complex_numIdEEEvi20rocsparse_direction_NS_24const_host_device_scalarIT2_EEPKiS8_PKS5_SA_S6_PS5_21rocsparse_index_base_b
		.amdhsa_group_segment_fixed_size 2048
		.amdhsa_private_segment_fixed_size 0
		.amdhsa_kernarg_size 88
		.amdhsa_user_sgpr_count 4
		.amdhsa_user_sgpr_dispatch_ptr 1
		.amdhsa_user_sgpr_queue_ptr 0
		.amdhsa_user_sgpr_kernarg_segment_ptr 1
		.amdhsa_user_sgpr_dispatch_id 0
		.amdhsa_user_sgpr_kernarg_preload_length 0
		.amdhsa_user_sgpr_kernarg_preload_offset 0
		.amdhsa_user_sgpr_private_segment_size 0
		.amdhsa_uses_dynamic_stack 0
		.amdhsa_enable_private_segment 0
		.amdhsa_system_sgpr_workgroup_id_x 1
		.amdhsa_system_sgpr_workgroup_id_y 0
		.amdhsa_system_sgpr_workgroup_id_z 0
		.amdhsa_system_sgpr_workgroup_info 0
		.amdhsa_system_vgpr_workitem_id 2
		.amdhsa_next_free_vgpr 68
		.amdhsa_next_free_sgpr 20
		.amdhsa_accum_offset 68
		.amdhsa_reserve_vcc 1
		.amdhsa_float_round_mode_32 0
		.amdhsa_float_round_mode_16_64 0
		.amdhsa_float_denorm_mode_32 3
		.amdhsa_float_denorm_mode_16_64 3
		.amdhsa_dx10_clamp 1
		.amdhsa_ieee_mode 1
		.amdhsa_fp16_overflow 0
		.amdhsa_tg_split 0
		.amdhsa_exception_fp_ieee_invalid_op 0
		.amdhsa_exception_fp_denorm_src 0
		.amdhsa_exception_fp_ieee_div_zero 0
		.amdhsa_exception_fp_ieee_overflow 0
		.amdhsa_exception_fp_ieee_underflow 0
		.amdhsa_exception_fp_ieee_inexact 0
		.amdhsa_exception_int_div_zero 0
	.end_amdhsa_kernel
	.section	.text._ZN9rocsparseL19gebsrmvn_3xn_kernelILj128ELj2ELj32E21rocsparse_complex_numIdEEEvi20rocsparse_direction_NS_24const_host_device_scalarIT2_EEPKiS8_PKS5_SA_S6_PS5_21rocsparse_index_base_b,"axG",@progbits,_ZN9rocsparseL19gebsrmvn_3xn_kernelILj128ELj2ELj32E21rocsparse_complex_numIdEEEvi20rocsparse_direction_NS_24const_host_device_scalarIT2_EEPKiS8_PKS5_SA_S6_PS5_21rocsparse_index_base_b,comdat
.Lfunc_end119:
	.size	_ZN9rocsparseL19gebsrmvn_3xn_kernelILj128ELj2ELj32E21rocsparse_complex_numIdEEEvi20rocsparse_direction_NS_24const_host_device_scalarIT2_EEPKiS8_PKS5_SA_S6_PS5_21rocsparse_index_base_b, .Lfunc_end119-_ZN9rocsparseL19gebsrmvn_3xn_kernelILj128ELj2ELj32E21rocsparse_complex_numIdEEEvi20rocsparse_direction_NS_24const_host_device_scalarIT2_EEPKiS8_PKS5_SA_S6_PS5_21rocsparse_index_base_b
                                        ; -- End function
	.section	.AMDGPU.csdata,"",@progbits
; Kernel info:
; codeLenInByte = 2388
; NumSgprs: 26
; NumVgprs: 68
; NumAgprs: 0
; TotalNumVgprs: 68
; ScratchSize: 0
; MemoryBound: 0
; FloatMode: 240
; IeeeMode: 1
; LDSByteSize: 2048 bytes/workgroup (compile time only)
; SGPRBlocks: 3
; VGPRBlocks: 8
; NumSGPRsForWavesPerEU: 26
; NumVGPRsForWavesPerEU: 68
; AccumOffset: 68
; Occupancy: 7
; WaveLimiterHint : 1
; COMPUTE_PGM_RSRC2:SCRATCH_EN: 0
; COMPUTE_PGM_RSRC2:USER_SGPR: 4
; COMPUTE_PGM_RSRC2:TRAP_HANDLER: 0
; COMPUTE_PGM_RSRC2:TGID_X_EN: 1
; COMPUTE_PGM_RSRC2:TGID_Y_EN: 0
; COMPUTE_PGM_RSRC2:TGID_Z_EN: 0
; COMPUTE_PGM_RSRC2:TIDIG_COMP_CNT: 2
; COMPUTE_PGM_RSRC3_GFX90A:ACCUM_OFFSET: 16
; COMPUTE_PGM_RSRC3_GFX90A:TG_SPLIT: 0
	.section	.text._ZN9rocsparseL19gebsrmvn_3xn_kernelILj128ELj2ELj64E21rocsparse_complex_numIdEEEvi20rocsparse_direction_NS_24const_host_device_scalarIT2_EEPKiS8_PKS5_SA_S6_PS5_21rocsparse_index_base_b,"axG",@progbits,_ZN9rocsparseL19gebsrmvn_3xn_kernelILj128ELj2ELj64E21rocsparse_complex_numIdEEEvi20rocsparse_direction_NS_24const_host_device_scalarIT2_EEPKiS8_PKS5_SA_S6_PS5_21rocsparse_index_base_b,comdat
	.globl	_ZN9rocsparseL19gebsrmvn_3xn_kernelILj128ELj2ELj64E21rocsparse_complex_numIdEEEvi20rocsparse_direction_NS_24const_host_device_scalarIT2_EEPKiS8_PKS5_SA_S6_PS5_21rocsparse_index_base_b ; -- Begin function _ZN9rocsparseL19gebsrmvn_3xn_kernelILj128ELj2ELj64E21rocsparse_complex_numIdEEEvi20rocsparse_direction_NS_24const_host_device_scalarIT2_EEPKiS8_PKS5_SA_S6_PS5_21rocsparse_index_base_b
	.p2align	8
	.type	_ZN9rocsparseL19gebsrmvn_3xn_kernelILj128ELj2ELj64E21rocsparse_complex_numIdEEEvi20rocsparse_direction_NS_24const_host_device_scalarIT2_EEPKiS8_PKS5_SA_S6_PS5_21rocsparse_index_base_b,@function
_ZN9rocsparseL19gebsrmvn_3xn_kernelILj128ELj2ELj64E21rocsparse_complex_numIdEEEvi20rocsparse_direction_NS_24const_host_device_scalarIT2_EEPKiS8_PKS5_SA_S6_PS5_21rocsparse_index_base_b: ; @_ZN9rocsparseL19gebsrmvn_3xn_kernelILj128ELj2ELj64E21rocsparse_complex_numIdEEEvi20rocsparse_direction_NS_24const_host_device_scalarIT2_EEPKiS8_PKS5_SA_S6_PS5_21rocsparse_index_base_b
; %bb.0:
	s_load_dwordx2 s[16:17], s[2:3], 0x50
	s_load_dwordx4 s[12:15], s[2:3], 0x8
	s_load_dwordx4 s[8:11], s[2:3], 0x38
	s_load_dwordx2 s[18:19], s[0:1], 0x4
	s_mov_b64 s[6:7], src_shared_base
	s_waitcnt lgkmcnt(0)
	s_bitcmp1_b32 s17, 0
	s_cselect_b64 s[0:1], -1, 0
	s_and_b64 vcc, s[0:1], exec
	s_cselect_b32 s5, s7, s13
	s_lshr_b32 s6, s18, 16
	v_bfe_u32 v1, v0, 10, 10
	v_and_b32_e32 v10, 0x3ff, v0
	s_mul_i32 s6, s6, s19
	v_mul_u32_u24_e32 v1, s19, v1
	v_mad_u32_u24 v1, s6, v10, v1
	v_bfe_u32 v0, v0, 20, 10
	v_add_lshl_u32 v4, v1, v0, 3
	v_mov_b32_e32 v5, s12
	v_add_u32_e32 v6, 0x400, v4
	v_mov_b64_e32 v[0:1], s[12:13]
	v_mov_b64_e32 v[2:3], s[8:9]
	ds_write2st64_b64 v4, v[2:3], v[0:1] offset1:2
	v_cndmask_b32_e64 v0, v5, v6, s[0:1]
	v_mov_b32_e32 v1, s5
	flat_load_dwordx2 v[0:1], v[0:1]
	s_xor_b64 s[18:19], s[0:1], -1
	v_mov_b64_e32 v[2:3], s[14:15]
	s_cbranch_vccnz .LBB120_2
; %bb.1:
	v_mov_b64_e32 v[2:3], s[12:13]
	flat_load_dwordx2 v[2:3], v[2:3] offset:8
.LBB120_2:
	s_and_b64 s[12:13], s[0:1], exec
	s_cselect_b32 s5, s7, s9
	v_mov_b32_e32 v5, s8
	v_cndmask_b32_e64 v4, v5, v4, s[0:1]
	v_mov_b32_e32 v5, s5
	flat_load_dwordx2 v[4:5], v[4:5]
	s_andn2_b64 vcc, exec, s[18:19]
	v_mov_b64_e32 v[6:7], s[10:11]
	s_cbranch_vccnz .LBB120_4
; %bb.3:
	v_mov_b64_e32 v[6:7], s[8:9]
	flat_load_dwordx2 v[6:7], v[6:7] offset:8
.LBB120_4:
	s_waitcnt vmcnt(0) lgkmcnt(0)
	v_cmp_eq_f64_e32 vcc, 0, v[0:1]
	v_cmp_eq_f64_e64 s[0:1], 0, v[2:3]
	s_and_b64 s[8:9], vcc, s[0:1]
	s_mov_b64 s[0:1], -1
	s_and_saveexec_b64 s[6:7], s[8:9]
; %bb.5:
	v_cmp_neq_f64_e32 vcc, 1.0, v[4:5]
	v_cmp_neq_f64_e64 s[0:1], 0, v[6:7]
	s_or_b64 s[0:1], vcc, s[0:1]
	s_orn2_b64 s[0:1], s[0:1], exec
; %bb.6:
	s_or_b64 exec, exec, s[6:7]
	s_and_saveexec_b64 s[6:7], s[0:1]
	s_cbranch_execz .LBB120_25
; %bb.7:
	s_load_dwordx2 s[0:1], s[2:3], 0x0
	v_lshrrev_b32_e32 v8, 6, v10
	v_lshl_or_b32 v8, s4, 1, v8
	s_waitcnt lgkmcnt(0)
	v_cmp_gt_i32_e32 vcc, s0, v8
	s_and_b64 exec, exec, vcc
	s_cbranch_execz .LBB120_25
; %bb.8:
	s_load_dwordx8 s[4:11], s[2:3], 0x18
	v_ashrrev_i32_e32 v9, 31, v8
	s_cmp_lg_u32 s1, 0
	s_waitcnt lgkmcnt(0)
	v_lshl_add_u64 v[12:13], v[8:9], 2, s[4:5]
	global_load_dwordx2 v[12:13], v[12:13], off
	v_and_b32_e32 v9, 63, v10
	s_waitcnt vmcnt(0)
	v_subrev_u32_e32 v10, s16, v12
	v_subrev_u32_e32 v30, s16, v13
	v_add_u32_e32 v20, v10, v9
	v_cmp_lt_i32_e64 s[0:1], v20, v30
	s_cbranch_scc0 .LBB120_14
; %bb.9:
	v_mov_b64_e32 v[16:17], 0
	s_mov_b64 s[4:5], 0
	v_mov_b64_e32 v[22:23], v[16:17]
	v_mov_b64_e32 v[12:13], v[16:17]
	;; [unrolled: 1-line block ×5, first 2 shown]
	s_and_saveexec_b64 s[12:13], s[0:1]
	s_cbranch_execz .LBB120_13
; %bb.10:
	v_mad_u64_u32 v[24:25], s[14:15], v20, 6, 5
	v_mov_b64_e32 v[16:17], 0
	s_mov_b64 s[14:15], 0
	v_mov_b32_e32 v27, 0
	v_mov_b32_e32 v28, v20
	v_mov_b64_e32 v[22:23], v[16:17]
	v_mov_b64_e32 v[12:13], v[16:17]
	;; [unrolled: 1-line block ×5, first 2 shown]
.LBB120_11:                             ; =>This Inner Loop Header: Depth=1
	v_ashrrev_i32_e32 v29, 31, v28
	v_lshl_add_u64 v[32:33], v[28:29], 2, s[6:7]
	global_load_dword v21, v[32:33], off
	v_add_u32_e32 v26, -5, v24
	v_lshl_add_u64 v[40:41], v[26:27], 4, s[8:9]
	v_add_u32_e32 v26, -3, v24
	v_lshl_add_u64 v[48:49], v[26:27], 4, s[8:9]
	v_add_u32_e32 v26, -2, v24
	v_mov_b32_e32 v53, v27
	global_load_dwordx4 v[32:35], v[40:41], off offset:16
	global_load_dwordx4 v[36:39], v[40:41], off
	v_lshl_add_u64 v[50:51], v[26:27], 4, s[8:9]
	v_add_u32_e32 v26, -1, v24
	v_mov_b32_e32 v25, v27
	global_load_dwordx4 v[40:43], v[48:49], off
	global_load_dwordx4 v[44:47], v[50:51], off
	v_lshl_add_u64 v[48:49], v[26:27], 4, s[8:9]
	v_lshl_add_u64 v[64:65], v[24:25], 4, s[8:9]
	global_load_dwordx4 v[48:51], v[48:49], off
	v_add_u32_e32 v28, 64, v28
	v_cmp_ge_i32_e32 vcc, v28, v30
	v_add_u32_e32 v24, 0x180, v24
	s_or_b64 s[14:15], vcc, s[14:15]
	s_waitcnt vmcnt(5)
	v_subrev_u32_e32 v21, s16, v21
	v_lshlrev_b32_e32 v52, 1, v21
	v_lshl_add_u64 v[66:67], v[52:53], 4, s[10:11]
	global_load_dwordx4 v[52:55], v[66:67], off
	global_load_dwordx4 v[56:59], v[66:67], off offset:16
	global_load_dwordx4 v[60:63], v[64:65], off
	s_waitcnt vmcnt(2)
	v_fmac_f64_e32 v[22:23], v[36:37], v[52:53]
	v_fmac_f64_e32 v[16:17], v[38:39], v[52:53]
	;; [unrolled: 1-line block ×6, first 2 shown]
	v_fma_f64 v[22:23], -v[38:39], v[54:55], v[22:23]
	v_fmac_f64_e32 v[16:17], v[36:37], v[54:55]
	v_fma_f64 v[18:19], -v[34:35], v[54:55], v[18:19]
	v_fmac_f64_e32 v[14:15], v[32:33], v[54:55]
	;; [unrolled: 2-line block ×3, first 2 shown]
	s_waitcnt vmcnt(1)
	v_fmac_f64_e32 v[22:23], v[44:45], v[56:57]
	v_fmac_f64_e32 v[16:17], v[46:47], v[56:57]
	;; [unrolled: 1-line block ×4, first 2 shown]
	s_waitcnt vmcnt(0)
	v_fmac_f64_e32 v[12:13], v[60:61], v[56:57]
	v_fmac_f64_e32 v[10:11], v[62:63], v[56:57]
	v_fma_f64 v[22:23], -v[46:47], v[58:59], v[22:23]
	v_fmac_f64_e32 v[16:17], v[44:45], v[58:59]
	v_fma_f64 v[18:19], -v[50:51], v[58:59], v[18:19]
	;; [unrolled: 2-line block ×3, first 2 shown]
	v_fmac_f64_e32 v[10:11], v[60:61], v[58:59]
	s_andn2_b64 exec, exec, s[14:15]
	s_cbranch_execnz .LBB120_11
; %bb.12:
	s_or_b64 exec, exec, s[14:15]
.LBB120_13:
	s_or_b64 exec, exec, s[12:13]
	s_andn2_b64 vcc, exec, s[4:5]
	s_cbranch_vccz .LBB120_15
	s_branch .LBB120_20
.LBB120_14:
                                        ; implicit-def: $vgpr16_vgpr17
                                        ; implicit-def: $vgpr22_vgpr23
                                        ; implicit-def: $vgpr12_vgpr13
                                        ; implicit-def: $vgpr10_vgpr11
                                        ; implicit-def: $vgpr18_vgpr19
                                        ; implicit-def: $vgpr14_vgpr15
.LBB120_15:
	v_mov_b64_e32 v[16:17], 0
	v_mov_b64_e32 v[22:23], v[16:17]
	;; [unrolled: 1-line block ×6, first 2 shown]
	s_and_saveexec_b64 s[4:5], s[0:1]
	s_cbranch_execz .LBB120_19
; %bb.16:
	v_mad_u64_u32 v[24:25], s[0:1], v20, 6, 5
	v_mov_b64_e32 v[16:17], 0
	s_mov_b64 s[0:1], 0
	v_mov_b32_e32 v27, 0
	v_mov_b64_e32 v[22:23], v[16:17]
	v_mov_b64_e32 v[12:13], v[16:17]
	;; [unrolled: 1-line block ×5, first 2 shown]
.LBB120_17:                             ; =>This Inner Loop Header: Depth=1
	v_ashrrev_i32_e32 v21, 31, v20
	v_lshl_add_u64 v[28:29], v[20:21], 2, s[6:7]
	global_load_dword v21, v[28:29], off
	v_add_u32_e32 v26, -5, v24
	v_add_u32_e32 v28, -3, v24
	v_mov_b32_e32 v29, v27
	v_add_u32_e32 v32, -1, v24
	v_mov_b32_e32 v33, v27
	v_lshl_add_u64 v[48:49], v[26:27], 4, s[8:9]
	v_lshl_add_u64 v[28:29], v[28:29], 4, s[8:9]
	v_add_u32_e32 v26, -2, v24
	v_mov_b32_e32 v53, v27
	v_lshl_add_u64 v[50:51], v[32:33], 4, s[8:9]
	global_load_dwordx4 v[32:35], v[48:49], off offset:16
	global_load_dwordx4 v[36:39], v[48:49], off
	global_load_dwordx4 v[40:43], v[28:29], off
	;; [unrolled: 1-line block ×3, first 2 shown]
	v_lshl_add_u64 v[28:29], v[26:27], 4, s[8:9]
	v_mov_b32_e32 v25, v27
	global_load_dwordx4 v[48:51], v[28:29], off
	v_lshl_add_u64 v[64:65], v[24:25], 4, s[8:9]
	v_add_u32_e32 v20, 64, v20
	v_cmp_ge_i32_e32 vcc, v20, v30
	v_add_u32_e32 v24, 0x180, v24
	s_or_b64 s[0:1], vcc, s[0:1]
	s_waitcnt vmcnt(5)
	v_subrev_u32_e32 v21, s16, v21
	v_lshlrev_b32_e32 v52, 1, v21
	v_lshl_add_u64 v[28:29], v[52:53], 4, s[10:11]
	global_load_dwordx4 v[52:55], v[28:29], off
	global_load_dwordx4 v[56:59], v[28:29], off offset:16
	global_load_dwordx4 v[60:63], v[64:65], off
	s_waitcnt vmcnt(2)
	v_fmac_f64_e32 v[22:23], v[36:37], v[52:53]
	v_fmac_f64_e32 v[16:17], v[38:39], v[52:53]
	;; [unrolled: 1-line block ×6, first 2 shown]
	v_fma_f64 v[22:23], -v[38:39], v[54:55], v[22:23]
	v_fmac_f64_e32 v[16:17], v[36:37], v[54:55]
	v_fma_f64 v[18:19], -v[42:43], v[54:55], v[18:19]
	v_fmac_f64_e32 v[14:15], v[40:41], v[54:55]
	v_fma_f64 v[12:13], -v[46:47], v[54:55], v[12:13]
	v_fmac_f64_e32 v[10:11], v[44:45], v[54:55]
	s_waitcnt vmcnt(1)
	v_fmac_f64_e32 v[22:23], v[32:33], v[56:57]
	v_fmac_f64_e32 v[16:17], v[34:35], v[56:57]
	;; [unrolled: 1-line block ×4, first 2 shown]
	s_waitcnt vmcnt(0)
	v_fmac_f64_e32 v[12:13], v[60:61], v[56:57]
	v_fmac_f64_e32 v[10:11], v[62:63], v[56:57]
	v_fma_f64 v[22:23], -v[34:35], v[58:59], v[22:23]
	v_fmac_f64_e32 v[16:17], v[32:33], v[58:59]
	v_fma_f64 v[18:19], -v[50:51], v[58:59], v[18:19]
	;; [unrolled: 2-line block ×3, first 2 shown]
	v_fmac_f64_e32 v[10:11], v[60:61], v[58:59]
	s_andn2_b64 exec, exec, s[0:1]
	s_cbranch_execnz .LBB120_17
; %bb.18:
	s_or_b64 exec, exec, s[0:1]
.LBB120_19:
	s_or_b64 exec, exec, s[4:5]
.LBB120_20:
	v_mov_b32_dpp v24, v16 row_shr:1 row_mask:0xf bank_mask:0xf
	v_mov_b32_dpp v25, v17 row_shr:1 row_mask:0xf bank_mask:0xf
	v_add_f64 v[16:17], v[16:17], v[24:25]
	v_mov_b32_dpp v20, v22 row_shr:1 row_mask:0xf bank_mask:0xf
	v_mov_b32_dpp v21, v23 row_shr:1 row_mask:0xf bank_mask:0xf
	;; [unrolled: 1-line block ×4, first 2 shown]
	v_add_f64 v[16:17], v[16:17], v[24:25]
	v_add_f64 v[20:21], v[22:23], v[20:21]
	v_cmp_eq_u32_e32 vcc, 63, v9
	v_mov_b32_dpp v24, v16 row_shr:4 row_mask:0xf bank_mask:0xe
	v_mov_b32_dpp v25, v17 row_shr:4 row_mask:0xf bank_mask:0xe
	v_add_f64 v[16:17], v[16:17], v[24:25]
	v_mov_b32_dpp v22, v20 row_shr:2 row_mask:0xf bank_mask:0xf
	v_mov_b32_dpp v23, v21 row_shr:2 row_mask:0xf bank_mask:0xf
	;; [unrolled: 1-line block ×4, first 2 shown]
	v_add_f64 v[16:17], v[16:17], v[24:25]
	v_add_f64 v[20:21], v[20:21], v[22:23]
	s_nop 0
	v_mov_b32_dpp v24, v16 row_bcast:15 row_mask:0xa bank_mask:0xf
	v_mov_b32_dpp v25, v17 row_bcast:15 row_mask:0xa bank_mask:0xf
	v_add_f64 v[24:25], v[16:17], v[24:25]
	v_mov_b32_dpp v16, v18 row_shr:1 row_mask:0xf bank_mask:0xf
	v_mov_b32_dpp v17, v19 row_shr:1 row_mask:0xf bank_mask:0xf
	v_add_f64 v[16:17], v[18:19], v[16:17]
	v_mov_b32_dpp v22, v20 row_shr:4 row_mask:0xf bank_mask:0xe
	v_mov_b32_dpp v23, v21 row_shr:4 row_mask:0xf bank_mask:0xe
	;; [unrolled: 1-line block ×4, first 2 shown]
	v_add_f64 v[16:17], v[16:17], v[18:19]
	v_add_f64 v[20:21], v[20:21], v[22:23]
	v_mov_b32_dpp v26, v24 row_bcast:31 row_mask:0xc bank_mask:0xf
	v_mov_b32_dpp v18, v16 row_shr:4 row_mask:0xf bank_mask:0xe
	v_mov_b32_dpp v19, v17 row_shr:4 row_mask:0xf bank_mask:0xe
	v_add_f64 v[16:17], v[16:17], v[18:19]
	v_mov_b32_dpp v22, v20 row_shr:8 row_mask:0xf bank_mask:0xc
	v_mov_b32_dpp v23, v21 row_shr:8 row_mask:0xf bank_mask:0xc
	;; [unrolled: 1-line block ×4, first 2 shown]
	v_add_f64 v[16:17], v[16:17], v[18:19]
	v_add_f64 v[20:21], v[20:21], v[22:23]
	v_mov_b32_dpp v27, v25 row_bcast:31 row_mask:0xc bank_mask:0xf
	v_mov_b32_dpp v18, v16 row_bcast:15 row_mask:0xa bank_mask:0xf
	;; [unrolled: 1-line block ×3, first 2 shown]
	v_add_f64 v[18:19], v[16:17], v[18:19]
	v_mov_b32_dpp v16, v14 row_shr:1 row_mask:0xf bank_mask:0xf
	v_mov_b32_dpp v17, v15 row_shr:1 row_mask:0xf bank_mask:0xf
	v_add_f64 v[14:15], v[14:15], v[16:17]
	v_mov_b32_dpp v22, v20 row_bcast:15 row_mask:0xa bank_mask:0xf
	v_mov_b32_dpp v23, v21 row_bcast:15 row_mask:0xa bank_mask:0xf
	v_mov_b32_dpp v16, v14 row_shr:2 row_mask:0xf bank_mask:0xf
	v_mov_b32_dpp v17, v15 row_shr:2 row_mask:0xf bank_mask:0xf
	v_add_f64 v[14:15], v[14:15], v[16:17]
	v_add_f64 v[20:21], v[20:21], v[22:23]
	v_mov_b32_dpp v28, v18 row_bcast:31 row_mask:0xc bank_mask:0xf
	v_mov_b32_dpp v16, v14 row_shr:4 row_mask:0xf bank_mask:0xe
	v_mov_b32_dpp v17, v15 row_shr:4 row_mask:0xf bank_mask:0xe
	v_add_f64 v[14:15], v[14:15], v[16:17]
	v_mov_b32_dpp v22, v20 row_bcast:31 row_mask:0xc bank_mask:0xf
	v_mov_b32_dpp v23, v21 row_bcast:31 row_mask:0xc bank_mask:0xf
	v_mov_b32_dpp v16, v14 row_shr:8 row_mask:0xf bank_mask:0xc
	v_mov_b32_dpp v17, v15 row_shr:8 row_mask:0xf bank_mask:0xc
	v_add_f64 v[14:15], v[14:15], v[16:17]
	v_mov_b32_dpp v29, v19 row_bcast:31 row_mask:0xc bank_mask:0xf
	s_nop 0
	v_mov_b32_dpp v16, v14 row_bcast:15 row_mask:0xa bank_mask:0xf
	v_mov_b32_dpp v17, v15 row_bcast:15 row_mask:0xa bank_mask:0xf
	v_add_f64 v[14:15], v[14:15], v[16:17]
	v_mov_b32_dpp v16, v12 row_shr:1 row_mask:0xf bank_mask:0xf
	v_mov_b32_dpp v17, v13 row_shr:1 row_mask:0xf bank_mask:0xf
	v_add_f64 v[12:13], v[12:13], v[16:17]
	v_mov_b32_dpp v30, v14 row_bcast:31 row_mask:0xc bank_mask:0xf
	v_mov_b32_dpp v31, v15 row_bcast:31 row_mask:0xc bank_mask:0xf
	v_mov_b32_dpp v16, v12 row_shr:2 row_mask:0xf bank_mask:0xf
	v_mov_b32_dpp v17, v13 row_shr:2 row_mask:0xf bank_mask:0xf
	v_add_f64 v[12:13], v[12:13], v[16:17]
	s_nop 1
	v_mov_b32_dpp v16, v12 row_shr:4 row_mask:0xf bank_mask:0xe
	v_mov_b32_dpp v17, v13 row_shr:4 row_mask:0xf bank_mask:0xe
	v_add_f64 v[12:13], v[12:13], v[16:17]
	s_nop 1
	;; [unrolled: 4-line block ×3, first 2 shown]
	v_mov_b32_dpp v16, v12 row_bcast:15 row_mask:0xa bank_mask:0xf
	v_mov_b32_dpp v17, v13 row_bcast:15 row_mask:0xa bank_mask:0xf
	v_add_f64 v[32:33], v[12:13], v[16:17]
	v_mov_b32_dpp v12, v10 row_shr:1 row_mask:0xf bank_mask:0xf
	v_mov_b32_dpp v13, v11 row_shr:1 row_mask:0xf bank_mask:0xf
	v_add_f64 v[10:11], v[10:11], v[12:13]
	v_mov_b32_dpp v34, v32 row_bcast:31 row_mask:0xc bank_mask:0xf
	v_mov_b32_dpp v35, v33 row_bcast:31 row_mask:0xc bank_mask:0xf
	v_mov_b32_dpp v12, v10 row_shr:2 row_mask:0xf bank_mask:0xf
	v_mov_b32_dpp v13, v11 row_shr:2 row_mask:0xf bank_mask:0xf
	v_add_f64 v[10:11], v[10:11], v[12:13]
	s_nop 1
	v_mov_b32_dpp v12, v10 row_shr:4 row_mask:0xf bank_mask:0xe
	v_mov_b32_dpp v13, v11 row_shr:4 row_mask:0xf bank_mask:0xe
	v_add_f64 v[10:11], v[10:11], v[12:13]
	s_nop 1
	;; [unrolled: 4-line block ×3, first 2 shown]
	v_mov_b32_dpp v12, v10 row_bcast:15 row_mask:0xa bank_mask:0xf
	v_mov_b32_dpp v13, v11 row_bcast:15 row_mask:0xa bank_mask:0xf
	v_add_f64 v[36:37], v[10:11], v[12:13]
	s_nop 1
	v_mov_b32_dpp v38, v36 row_bcast:31 row_mask:0xc bank_mask:0xf
	v_mov_b32_dpp v39, v37 row_bcast:31 row_mask:0xc bank_mask:0xf
	s_and_b64 exec, exec, vcc
	s_cbranch_execz .LBB120_25
; %bb.21:
	s_load_dwordx2 s[2:3], s[2:3], 0x48
	v_cmp_eq_f64_e32 vcc, 0, v[4:5]
	v_cmp_eq_f64_e64 s[0:1], 0, v[6:7]
	v_add_f64 v[16:17], v[20:21], v[22:23]
	v_add_f64 v[20:21], v[24:25], v[26:27]
	v_add_f64 v[12:13], v[18:19], v[28:29]
	v_add_f64 v[18:19], v[14:15], v[30:31]
	v_add_f64 v[10:11], v[32:33], v[34:35]
	v_add_f64 v[14:15], v[36:37], v[38:39]
	s_and_b64 s[0:1], vcc, s[0:1]
	s_and_saveexec_b64 s[4:5], s[0:1]
	s_xor_b64 s[0:1], exec, s[4:5]
	s_cbranch_execz .LBB120_23
; %bb.22:
	v_lshl_add_u32 v8, v8, 1, v8
	v_mul_f64 v[4:5], v[20:21], -v[2:3]
	v_mul_f64 v[6:7], v[0:1], v[20:21]
	v_ashrrev_i32_e32 v9, 31, v8
	v_fmac_f64_e32 v[4:5], v[0:1], v[16:17]
	v_fmac_f64_e32 v[6:7], v[2:3], v[16:17]
	s_waitcnt lgkmcnt(0)
	v_lshl_add_u64 v[8:9], v[8:9], 4, s[2:3]
	global_store_dwordx4 v[8:9], v[4:7], off
                                        ; implicit-def: $vgpr16_vgpr17
                                        ; implicit-def: $vgpr20_vgpr21
	s_nop 1
	v_mul_f64 v[4:5], v[18:19], -v[2:3]
	v_mul_f64 v[6:7], v[0:1], v[18:19]
	v_fmac_f64_e32 v[4:5], v[0:1], v[12:13]
	v_fmac_f64_e32 v[6:7], v[2:3], v[12:13]
	global_store_dwordx4 v[8:9], v[4:7], off offset:16
                                        ; implicit-def: $vgpr12_vgpr13
                                        ; implicit-def: $vgpr18_vgpr19
	s_nop 1
	v_mul_f64 v[4:5], v[14:15], -v[2:3]
	v_mul_f64 v[6:7], v[0:1], v[14:15]
	v_fmac_f64_e32 v[4:5], v[0:1], v[10:11]
	v_fmac_f64_e32 v[6:7], v[2:3], v[10:11]
	global_store_dwordx4 v[8:9], v[4:7], off offset:32
                                        ; implicit-def: $vgpr0_vgpr1
                                        ; implicit-def: $vgpr2_vgpr3
                                        ; implicit-def: $vgpr4_vgpr5
                                        ; implicit-def: $vgpr6_vgpr7
                                        ; implicit-def: $vgpr8
                                        ; implicit-def: $vgpr10_vgpr11
                                        ; implicit-def: $vgpr14_vgpr15
.LBB120_23:
	s_andn2_saveexec_b64 s[0:1], s[0:1]
	s_cbranch_execz .LBB120_25
; %bb.24:
	v_lshl_add_u32 v8, v8, 1, v8
	v_ashrrev_i32_e32 v9, 31, v8
	s_waitcnt lgkmcnt(0)
	v_lshl_add_u64 v[38:39], v[8:9], 4, s[2:3]
	global_load_dwordx4 v[22:25], v[38:39], off
	global_load_dwordx4 v[26:29], v[38:39], off offset:16
	global_load_dwordx4 v[30:33], v[38:39], off offset:32
	v_mul_f64 v[34:35], v[20:21], -v[2:3]
	v_mul_f64 v[20:21], v[0:1], v[20:21]
	v_mul_f64 v[40:41], v[18:19], -v[2:3]
	v_mul_f64 v[36:37], v[0:1], v[18:19]
	;; [unrolled: 2-line block ×3, first 2 shown]
	v_fmac_f64_e32 v[34:35], v[0:1], v[16:17]
	v_fmac_f64_e32 v[20:21], v[2:3], v[16:17]
	;; [unrolled: 1-line block ×6, first 2 shown]
	s_waitcnt vmcnt(2)
	v_fmac_f64_e32 v[34:35], v[4:5], v[22:23]
	v_fmac_f64_e32 v[20:21], v[6:7], v[22:23]
	s_waitcnt vmcnt(1)
	v_fmac_f64_e32 v[40:41], v[4:5], v[26:27]
	v_fmac_f64_e32 v[36:37], v[6:7], v[26:27]
	;; [unrolled: 3-line block ×3, first 2 shown]
	v_fma_f64 v[18:19], -v[6:7], v[24:25], v[34:35]
	v_fmac_f64_e32 v[20:21], v[4:5], v[24:25]
	v_fma_f64 v[34:35], -v[6:7], v[28:29], v[40:41]
	v_fmac_f64_e32 v[36:37], v[4:5], v[28:29]
	v_fma_f64 v[6:7], -v[6:7], v[32:33], v[42:43]
	v_fmac_f64_e32 v[8:9], v[4:5], v[32:33]
	global_store_dwordx4 v[38:39], v[18:21], off
	global_store_dwordx4 v[38:39], v[34:37], off offset:16
	global_store_dwordx4 v[38:39], v[6:9], off offset:32
.LBB120_25:
	s_endpgm
	.section	.rodata,"a",@progbits
	.p2align	6, 0x0
	.amdhsa_kernel _ZN9rocsparseL19gebsrmvn_3xn_kernelILj128ELj2ELj64E21rocsparse_complex_numIdEEEvi20rocsparse_direction_NS_24const_host_device_scalarIT2_EEPKiS8_PKS5_SA_S6_PS5_21rocsparse_index_base_b
		.amdhsa_group_segment_fixed_size 2048
		.amdhsa_private_segment_fixed_size 0
		.amdhsa_kernarg_size 88
		.amdhsa_user_sgpr_count 4
		.amdhsa_user_sgpr_dispatch_ptr 1
		.amdhsa_user_sgpr_queue_ptr 0
		.amdhsa_user_sgpr_kernarg_segment_ptr 1
		.amdhsa_user_sgpr_dispatch_id 0
		.amdhsa_user_sgpr_kernarg_preload_length 0
		.amdhsa_user_sgpr_kernarg_preload_offset 0
		.amdhsa_user_sgpr_private_segment_size 0
		.amdhsa_uses_dynamic_stack 0
		.amdhsa_enable_private_segment 0
		.amdhsa_system_sgpr_workgroup_id_x 1
		.amdhsa_system_sgpr_workgroup_id_y 0
		.amdhsa_system_sgpr_workgroup_id_z 0
		.amdhsa_system_sgpr_workgroup_info 0
		.amdhsa_system_vgpr_workitem_id 2
		.amdhsa_next_free_vgpr 68
		.amdhsa_next_free_sgpr 20
		.amdhsa_accum_offset 68
		.amdhsa_reserve_vcc 1
		.amdhsa_float_round_mode_32 0
		.amdhsa_float_round_mode_16_64 0
		.amdhsa_float_denorm_mode_32 3
		.amdhsa_float_denorm_mode_16_64 3
		.amdhsa_dx10_clamp 1
		.amdhsa_ieee_mode 1
		.amdhsa_fp16_overflow 0
		.amdhsa_tg_split 0
		.amdhsa_exception_fp_ieee_invalid_op 0
		.amdhsa_exception_fp_denorm_src 0
		.amdhsa_exception_fp_ieee_div_zero 0
		.amdhsa_exception_fp_ieee_overflow 0
		.amdhsa_exception_fp_ieee_underflow 0
		.amdhsa_exception_fp_ieee_inexact 0
		.amdhsa_exception_int_div_zero 0
	.end_amdhsa_kernel
	.section	.text._ZN9rocsparseL19gebsrmvn_3xn_kernelILj128ELj2ELj64E21rocsparse_complex_numIdEEEvi20rocsparse_direction_NS_24const_host_device_scalarIT2_EEPKiS8_PKS5_SA_S6_PS5_21rocsparse_index_base_b,"axG",@progbits,_ZN9rocsparseL19gebsrmvn_3xn_kernelILj128ELj2ELj64E21rocsparse_complex_numIdEEEvi20rocsparse_direction_NS_24const_host_device_scalarIT2_EEPKiS8_PKS5_SA_S6_PS5_21rocsparse_index_base_b,comdat
.Lfunc_end120:
	.size	_ZN9rocsparseL19gebsrmvn_3xn_kernelILj128ELj2ELj64E21rocsparse_complex_numIdEEEvi20rocsparse_direction_NS_24const_host_device_scalarIT2_EEPKiS8_PKS5_SA_S6_PS5_21rocsparse_index_base_b, .Lfunc_end120-_ZN9rocsparseL19gebsrmvn_3xn_kernelILj128ELj2ELj64E21rocsparse_complex_numIdEEEvi20rocsparse_direction_NS_24const_host_device_scalarIT2_EEPKiS8_PKS5_SA_S6_PS5_21rocsparse_index_base_b
                                        ; -- End function
	.section	.AMDGPU.csdata,"",@progbits
; Kernel info:
; codeLenInByte = 2548
; NumSgprs: 26
; NumVgprs: 68
; NumAgprs: 0
; TotalNumVgprs: 68
; ScratchSize: 0
; MemoryBound: 0
; FloatMode: 240
; IeeeMode: 1
; LDSByteSize: 2048 bytes/workgroup (compile time only)
; SGPRBlocks: 3
; VGPRBlocks: 8
; NumSGPRsForWavesPerEU: 26
; NumVGPRsForWavesPerEU: 68
; AccumOffset: 68
; Occupancy: 7
; WaveLimiterHint : 1
; COMPUTE_PGM_RSRC2:SCRATCH_EN: 0
; COMPUTE_PGM_RSRC2:USER_SGPR: 4
; COMPUTE_PGM_RSRC2:TRAP_HANDLER: 0
; COMPUTE_PGM_RSRC2:TGID_X_EN: 1
; COMPUTE_PGM_RSRC2:TGID_Y_EN: 0
; COMPUTE_PGM_RSRC2:TGID_Z_EN: 0
; COMPUTE_PGM_RSRC2:TIDIG_COMP_CNT: 2
; COMPUTE_PGM_RSRC3_GFX90A:ACCUM_OFFSET: 16
; COMPUTE_PGM_RSRC3_GFX90A:TG_SPLIT: 0
	.section	.text._ZN9rocsparseL19gebsrmvn_3xn_kernelILj128ELj4ELj4E21rocsparse_complex_numIdEEEvi20rocsparse_direction_NS_24const_host_device_scalarIT2_EEPKiS8_PKS5_SA_S6_PS5_21rocsparse_index_base_b,"axG",@progbits,_ZN9rocsparseL19gebsrmvn_3xn_kernelILj128ELj4ELj4E21rocsparse_complex_numIdEEEvi20rocsparse_direction_NS_24const_host_device_scalarIT2_EEPKiS8_PKS5_SA_S6_PS5_21rocsparse_index_base_b,comdat
	.globl	_ZN9rocsparseL19gebsrmvn_3xn_kernelILj128ELj4ELj4E21rocsparse_complex_numIdEEEvi20rocsparse_direction_NS_24const_host_device_scalarIT2_EEPKiS8_PKS5_SA_S6_PS5_21rocsparse_index_base_b ; -- Begin function _ZN9rocsparseL19gebsrmvn_3xn_kernelILj128ELj4ELj4E21rocsparse_complex_numIdEEEvi20rocsparse_direction_NS_24const_host_device_scalarIT2_EEPKiS8_PKS5_SA_S6_PS5_21rocsparse_index_base_b
	.p2align	8
	.type	_ZN9rocsparseL19gebsrmvn_3xn_kernelILj128ELj4ELj4E21rocsparse_complex_numIdEEEvi20rocsparse_direction_NS_24const_host_device_scalarIT2_EEPKiS8_PKS5_SA_S6_PS5_21rocsparse_index_base_b,@function
_ZN9rocsparseL19gebsrmvn_3xn_kernelILj128ELj4ELj4E21rocsparse_complex_numIdEEEvi20rocsparse_direction_NS_24const_host_device_scalarIT2_EEPKiS8_PKS5_SA_S6_PS5_21rocsparse_index_base_b: ; @_ZN9rocsparseL19gebsrmvn_3xn_kernelILj128ELj4ELj4E21rocsparse_complex_numIdEEEvi20rocsparse_direction_NS_24const_host_device_scalarIT2_EEPKiS8_PKS5_SA_S6_PS5_21rocsparse_index_base_b
; %bb.0:
	s_load_dwordx2 s[16:17], s[2:3], 0x50
	s_load_dwordx4 s[12:15], s[2:3], 0x8
	s_load_dwordx4 s[8:11], s[2:3], 0x38
	s_load_dwordx2 s[18:19], s[0:1], 0x4
	s_mov_b64 s[6:7], src_shared_base
	s_waitcnt lgkmcnt(0)
	s_bitcmp1_b32 s17, 0
	s_cselect_b64 s[0:1], -1, 0
	s_and_b64 vcc, s[0:1], exec
	s_cselect_b32 s5, s7, s13
	s_lshr_b32 s6, s18, 16
	v_bfe_u32 v1, v0, 10, 10
	v_and_b32_e32 v10, 0x3ff, v0
	s_mul_i32 s6, s6, s19
	v_mul_u32_u24_e32 v1, s19, v1
	v_mad_u32_u24 v1, s6, v10, v1
	v_bfe_u32 v0, v0, 20, 10
	v_add_lshl_u32 v4, v1, v0, 3
	v_mov_b32_e32 v5, s12
	v_add_u32_e32 v6, 0x400, v4
	v_mov_b64_e32 v[0:1], s[12:13]
	v_mov_b64_e32 v[2:3], s[8:9]
	ds_write2st64_b64 v4, v[2:3], v[0:1] offset1:2
	v_cndmask_b32_e64 v0, v5, v6, s[0:1]
	v_mov_b32_e32 v1, s5
	flat_load_dwordx2 v[0:1], v[0:1]
	s_xor_b64 s[18:19], s[0:1], -1
	v_mov_b64_e32 v[2:3], s[14:15]
	s_cbranch_vccnz .LBB121_2
; %bb.1:
	v_mov_b64_e32 v[2:3], s[12:13]
	flat_load_dwordx2 v[2:3], v[2:3] offset:8
.LBB121_2:
	s_and_b64 s[12:13], s[0:1], exec
	s_cselect_b32 s5, s7, s9
	v_mov_b32_e32 v5, s8
	v_cndmask_b32_e64 v4, v5, v4, s[0:1]
	v_mov_b32_e32 v5, s5
	flat_load_dwordx2 v[4:5], v[4:5]
	s_andn2_b64 vcc, exec, s[18:19]
	v_mov_b64_e32 v[6:7], s[10:11]
	s_cbranch_vccnz .LBB121_4
; %bb.3:
	v_mov_b64_e32 v[6:7], s[8:9]
	flat_load_dwordx2 v[6:7], v[6:7] offset:8
.LBB121_4:
	s_waitcnt vmcnt(0) lgkmcnt(0)
	v_cmp_eq_f64_e32 vcc, 0, v[0:1]
	v_cmp_eq_f64_e64 s[0:1], 0, v[2:3]
	s_and_b64 s[8:9], vcc, s[0:1]
	s_mov_b64 s[0:1], -1
	s_and_saveexec_b64 s[6:7], s[8:9]
; %bb.5:
	v_cmp_neq_f64_e32 vcc, 1.0, v[4:5]
	v_cmp_neq_f64_e64 s[0:1], 0, v[6:7]
	s_or_b64 s[0:1], vcc, s[0:1]
	s_orn2_b64 s[0:1], s[0:1], exec
; %bb.6:
	s_or_b64 exec, exec, s[6:7]
	s_and_saveexec_b64 s[6:7], s[0:1]
	s_cbranch_execz .LBB121_25
; %bb.7:
	s_load_dwordx2 s[0:1], s[2:3], 0x0
	v_lshrrev_b32_e32 v8, 2, v10
	v_lshl_or_b32 v8, s4, 5, v8
	s_waitcnt lgkmcnt(0)
	v_cmp_gt_i32_e32 vcc, s0, v8
	s_and_b64 exec, exec, vcc
	s_cbranch_execz .LBB121_25
; %bb.8:
	s_load_dwordx8 s[4:11], s[2:3], 0x18
	v_ashrrev_i32_e32 v9, 31, v8
	s_cmp_lg_u32 s1, 0
	s_waitcnt lgkmcnt(0)
	v_lshl_add_u64 v[12:13], v[8:9], 2, s[4:5]
	global_load_dwordx2 v[12:13], v[12:13], off
	v_and_b32_e32 v9, 3, v10
	s_waitcnt vmcnt(0)
	v_subrev_u32_e32 v10, s16, v12
	v_subrev_u32_e32 v32, s16, v13
	v_add_u32_e32 v16, v10, v9
	v_cmp_lt_i32_e64 s[0:1], v16, v32
	s_cbranch_scc0 .LBB121_14
; %bb.9:
	v_mov_b64_e32 v[12:13], 0
	s_mov_b64 s[4:5], 0
	v_mov_b64_e32 v[22:23], v[12:13]
	v_mov_b64_e32 v[18:19], v[12:13]
	;; [unrolled: 1-line block ×5, first 2 shown]
	s_and_saveexec_b64 s[12:13], s[0:1]
	s_cbranch_execz .LBB121_13
; %bb.10:
	v_mad_u64_u32 v[24:25], s[14:15], v16, 12, 11
	v_mov_b64_e32 v[12:13], 0
	s_mov_b64 s[14:15], 0
	v_mov_b32_e32 v27, 0
	v_mov_b32_e32 v28, v16
	v_mov_b64_e32 v[22:23], v[12:13]
	v_mov_b64_e32 v[18:19], v[12:13]
	;; [unrolled: 1-line block ×5, first 2 shown]
.LBB121_11:                             ; =>This Inner Loop Header: Depth=1
	v_ashrrev_i32_e32 v29, 31, v28
	v_add_u32_e32 v26, -11, v24
	v_lshl_add_u64 v[50:51], v[28:29], 2, s[6:7]
	v_lshl_add_u64 v[52:53], v[26:27], 4, s[8:9]
	global_load_dword v17, v[50:51], off
	global_load_dwordx4 v[34:37], v[52:53], off offset:48
	global_load_dwordx4 v[38:41], v[52:53], off offset:32
	;; [unrolled: 1-line block ×3, first 2 shown]
	global_load_dwordx4 v[46:49], v[52:53], off
	v_add_u32_e32 v26, -7, v24
	v_lshl_add_u64 v[62:63], v[26:27], 4, s[8:9]
	v_add_u32_e32 v26, -6, v24
	v_lshl_add_u64 v[64:65], v[26:27], 4, s[8:9]
	;; [unrolled: 2-line block ×4, first 2 shown]
	v_add_u32_e32 v26, -3, v24
	v_mov_b32_e32 v31, v27
	v_mov_b32_e32 v25, v27
	v_lshl_add_u64 v[78:79], v[26:27], 4, s[8:9]
	v_add_u32_e32 v26, -2, v24
	v_lshl_add_u64 v[54:55], v[24:25], 4, s[8:9]
	v_lshl_add_u64 v[80:81], v[26:27], 4, s[8:9]
	global_load_dwordx4 v[50:53], v[54:55], off
	s_nop 0
	global_load_dwordx4 v[54:57], v[62:63], off
	global_load_dwordx4 v[58:61], v[64:65], off
	s_nop 0
	global_load_dwordx4 v[62:65], v[70:71], off
	;; [unrolled: 3-line block ×3, first 2 shown]
	global_load_dwordx4 v[74:77], v[80:81], off
	v_add_u32_e32 v26, -1, v24
	v_lshl_add_u64 v[86:87], v[26:27], 4, s[8:9]
	v_add_u32_e32 v28, 4, v28
	v_cmp_ge_i32_e32 vcc, v28, v32
	s_or_b64 s[14:15], vcc, s[14:15]
	v_add_u32_e32 v24, 48, v24
	s_waitcnt vmcnt(11)
	v_subrev_u32_e32 v17, s16, v17
	v_lshlrev_b32_e32 v30, 2, v17
	v_lshl_add_u64 v[30:31], v[30:31], 4, s[10:11]
	global_load_dwordx4 v[78:81], v[30:31], off
	global_load_dwordx4 v[82:85], v[30:31], off offset:16
	s_waitcnt vmcnt(1)
	v_fmac_f64_e32 v[22:23], v[46:47], v[78:79]
	v_fmac_f64_e32 v[12:13], v[48:49], v[78:79]
	;; [unrolled: 1-line block ×4, first 2 shown]
	v_fma_f64 v[88:89], -v[48:49], v[80:81], v[22:23]
	v_fmac_f64_e32 v[12:13], v[46:47], v[80:81]
	global_load_dwordx4 v[46:49], v[86:87], off
	v_fma_f64 v[86:87], -v[44:45], v[80:81], v[20:21]
	v_fmac_f64_e32 v[14:15], v[42:43], v[80:81]
	global_load_dwordx4 v[20:23], v[30:31], off offset:32
	global_load_dwordx4 v[42:45], v[30:31], off offset:48
	v_fmac_f64_e32 v[18:19], v[38:39], v[78:79]
	v_fmac_f64_e32 v[10:11], v[40:41], v[78:79]
	v_fma_f64 v[18:19], -v[40:41], v[80:81], v[18:19]
	v_fmac_f64_e32 v[10:11], v[38:39], v[80:81]
	s_waitcnt vmcnt(3)
	v_fmac_f64_e32 v[88:89], v[34:35], v[82:83]
	v_fmac_f64_e32 v[12:13], v[36:37], v[82:83]
	v_fmac_f64_e32 v[86:87], v[54:55], v[82:83]
	v_fmac_f64_e32 v[14:15], v[56:57], v[82:83]
	v_fmac_f64_e32 v[18:19], v[58:59], v[82:83]
	v_fmac_f64_e32 v[10:11], v[60:61], v[82:83]
	v_fma_f64 v[30:31], -v[36:37], v[84:85], v[88:89]
	v_fmac_f64_e32 v[12:13], v[34:35], v[84:85]
	v_fma_f64 v[34:35], -v[56:57], v[84:85], v[86:87]
	v_fmac_f64_e32 v[14:15], v[54:55], v[84:85]
	v_fma_f64 v[18:19], -v[60:61], v[84:85], v[18:19]
	v_fmac_f64_e32 v[10:11], v[58:59], v[84:85]
	s_waitcnt vmcnt(1)
	v_fmac_f64_e32 v[30:31], v[62:63], v[20:21]
	v_fmac_f64_e32 v[12:13], v[64:65], v[20:21]
	v_fmac_f64_e32 v[34:35], v[66:67], v[20:21]
	v_fmac_f64_e32 v[14:15], v[68:69], v[20:21]
	v_fmac_f64_e32 v[18:19], v[70:71], v[20:21]
	v_fmac_f64_e32 v[10:11], v[72:73], v[20:21]
	v_fma_f64 v[20:21], -v[64:65], v[22:23], v[30:31]
	v_fmac_f64_e32 v[12:13], v[62:63], v[22:23]
	v_fma_f64 v[30:31], -v[68:69], v[22:23], v[34:35]
	;; [unrolled: 13-line block ×3, first 2 shown]
	v_fmac_f64_e32 v[14:15], v[46:47], v[44:45]
	v_fma_f64 v[18:19], -v[52:53], v[44:45], v[18:19]
	v_fmac_f64_e32 v[10:11], v[50:51], v[44:45]
	s_andn2_b64 exec, exec, s[14:15]
	s_cbranch_execnz .LBB121_11
; %bb.12:
	s_or_b64 exec, exec, s[14:15]
.LBB121_13:
	s_or_b64 exec, exec, s[12:13]
	s_andn2_b64 vcc, exec, s[4:5]
	s_cbranch_vccz .LBB121_15
	s_branch .LBB121_20
.LBB121_14:
                                        ; implicit-def: $vgpr12_vgpr13
                                        ; implicit-def: $vgpr22_vgpr23
                                        ; implicit-def: $vgpr18_vgpr19
                                        ; implicit-def: $vgpr10_vgpr11
                                        ; implicit-def: $vgpr20_vgpr21
                                        ; implicit-def: $vgpr14_vgpr15
.LBB121_15:
	v_mov_b64_e32 v[12:13], 0
	v_mov_b64_e32 v[22:23], v[12:13]
	;; [unrolled: 1-line block ×6, first 2 shown]
	s_and_saveexec_b64 s[4:5], s[0:1]
	s_cbranch_execz .LBB121_19
; %bb.16:
	v_mad_u64_u32 v[24:25], s[0:1], v16, 12, 11
	v_mov_b64_e32 v[12:13], 0
	s_mov_b64 s[0:1], 0
	v_mov_b32_e32 v27, 0
	v_mov_b64_e32 v[22:23], v[12:13]
	v_mov_b64_e32 v[18:19], v[12:13]
	;; [unrolled: 1-line block ×5, first 2 shown]
.LBB121_17:                             ; =>This Inner Loop Header: Depth=1
	v_ashrrev_i32_e32 v17, 31, v16
	v_add_u32_e32 v26, -11, v24
	v_add_u32_e32 v28, -7, v24
	;; [unrolled: 1-line block ×3, first 2 shown]
	v_mov_b32_e32 v29, v27
	v_mov_b32_e32 v31, v27
	v_lshl_add_u64 v[54:55], v[16:17], 2, s[6:7]
	v_lshl_add_u64 v[56:57], v[26:27], 4, s[8:9]
	;; [unrolled: 1-line block ×4, first 2 shown]
	global_load_dword v17, v[54:55], off
	global_load_dwordx4 v[28:31], v[56:57], off offset:48
	global_load_dwordx4 v[34:37], v[56:57], off offset:32
	;; [unrolled: 1-line block ×3, first 2 shown]
	global_load_dwordx4 v[42:45], v[56:57], off
	global_load_dwordx4 v[46:49], v[58:59], off
	;; [unrolled: 1-line block ×3, first 2 shown]
	v_add_u32_e32 v26, -6, v24
	v_mov_b32_e32 v63, v27
	v_lshl_add_u64 v[64:65], v[26:27], 4, s[8:9]
	v_add_u32_e32 v26, -2, v24
	v_lshl_add_u64 v[66:67], v[26:27], 4, s[8:9]
	global_load_dwordx4 v[54:57], v[64:65], off
	global_load_dwordx4 v[58:61], v[66:67], off
	v_add_u32_e32 v26, -5, v24
	v_lshl_add_u64 v[76:77], v[26:27], 4, s[8:9]
	v_add_u32_e32 v26, -1, v24
	v_mov_b32_e32 v25, v27
	v_lshl_add_u64 v[78:79], v[26:27], 4, s[8:9]
	v_add_u32_e32 v26, -4, v24
	v_lshl_add_u64 v[74:75], v[24:25], 4, s[8:9]
	v_add_u32_e32 v16, 4, v16
	v_cmp_ge_i32_e32 vcc, v16, v32
	s_or_b64 s[0:1], vcc, s[0:1]
	v_add_u32_e32 v24, 48, v24
	s_waitcnt vmcnt(8)
	v_subrev_u32_e32 v17, s16, v17
	v_lshlrev_b32_e32 v62, 2, v17
	v_lshl_add_u64 v[80:81], v[62:63], 4, s[10:11]
	global_load_dwordx4 v[62:65], v[80:81], off
	global_load_dwordx4 v[66:69], v[80:81], off offset:16
	s_waitcnt vmcnt(1)
	v_fmac_f64_e32 v[22:23], v[42:43], v[62:63]
	v_fmac_f64_e32 v[12:13], v[44:45], v[62:63]
	;; [unrolled: 1-line block ×3, first 2 shown]
	v_fma_f64 v[22:23], -v[44:45], v[64:65], v[22:23]
	v_fmac_f64_e32 v[12:13], v[42:43], v[64:65]
	global_load_dwordx4 v[42:45], v[76:77], off
	global_load_dwordx4 v[70:73], v[78:79], off
	v_fmac_f64_e32 v[14:15], v[48:49], v[62:63]
	v_fma_f64 v[76:77], -v[48:49], v[64:65], v[20:21]
	v_lshl_add_u64 v[20:21], v[26:27], 4, s[8:9]
	v_fmac_f64_e32 v[18:19], v[50:51], v[62:63]
	v_fmac_f64_e32 v[10:11], v[52:53], v[62:63]
	;; [unrolled: 1-line block ×3, first 2 shown]
	global_load_dwordx4 v[46:49], v[20:21], off
	v_fma_f64 v[78:79], -v[52:53], v[64:65], v[18:19]
	v_fmac_f64_e32 v[10:11], v[50:51], v[64:65]
	global_load_dwordx4 v[50:53], v[74:75], off
	global_load_dwordx4 v[18:21], v[80:81], off offset:32
	global_load_dwordx4 v[62:65], v[80:81], off offset:48
	s_waitcnt vmcnt(6)
	v_fmac_f64_e32 v[22:23], v[38:39], v[66:67]
	v_fmac_f64_e32 v[12:13], v[40:41], v[66:67]
	v_fmac_f64_e32 v[76:77], v[54:55], v[66:67]
	v_fmac_f64_e32 v[14:15], v[56:57], v[66:67]
	v_fmac_f64_e32 v[78:79], v[58:59], v[66:67]
	v_fmac_f64_e32 v[10:11], v[60:61], v[66:67]
	v_fma_f64 v[22:23], -v[40:41], v[68:69], v[22:23]
	v_fmac_f64_e32 v[12:13], v[38:39], v[68:69]
	v_fma_f64 v[38:39], -v[56:57], v[68:69], v[76:77]
	v_fmac_f64_e32 v[14:15], v[54:55], v[68:69]
	v_fma_f64 v[40:41], -v[60:61], v[68:69], v[78:79]
	v_fmac_f64_e32 v[10:11], v[58:59], v[68:69]
	s_waitcnt vmcnt(1)
	v_fmac_f64_e32 v[22:23], v[34:35], v[18:19]
	v_fmac_f64_e32 v[12:13], v[36:37], v[18:19]
	v_fmac_f64_e32 v[38:39], v[42:43], v[18:19]
	v_fmac_f64_e32 v[14:15], v[44:45], v[18:19]
	v_fmac_f64_e32 v[40:41], v[70:71], v[18:19]
	v_fmac_f64_e32 v[10:11], v[72:73], v[18:19]
	v_fma_f64 v[18:19], -v[36:37], v[20:21], v[22:23]
	v_fmac_f64_e32 v[12:13], v[34:35], v[20:21]
	v_fma_f64 v[34:35], -v[44:45], v[20:21], v[38:39]
	v_fmac_f64_e32 v[14:15], v[42:43], v[20:21]
	v_fma_f64 v[36:37], -v[72:73], v[20:21], v[40:41]
	v_fmac_f64_e32 v[10:11], v[70:71], v[20:21]
	;; [unrolled: 13-line block ×3, first 2 shown]
	s_andn2_b64 exec, exec, s[0:1]
	s_cbranch_execnz .LBB121_17
; %bb.18:
	s_or_b64 exec, exec, s[0:1]
.LBB121_19:
	s_or_b64 exec, exec, s[4:5]
.LBB121_20:
	v_mov_b32_dpp v26, v20 row_shr:1 row_mask:0xf bank_mask:0xf
	v_mov_b32_dpp v27, v21 row_shr:1 row_mask:0xf bank_mask:0xf
	v_add_f64 v[26:27], v[20:21], v[26:27]
	v_mov_b32_dpp v20, v14 row_shr:1 row_mask:0xf bank_mask:0xf
	v_mov_b32_dpp v21, v15 row_shr:1 row_mask:0xf bank_mask:0xf
	v_add_f64 v[14:15], v[14:15], v[20:21]
	v_mov_b32_dpp v20, v18 row_shr:1 row_mask:0xf bank_mask:0xf
	v_mov_b32_dpp v21, v19 row_shr:1 row_mask:0xf bank_mask:0xf
	;; [unrolled: 1-line block ×6, first 2 shown]
	v_add_f64 v[32:33], v[18:19], v[20:21]
	v_mov_b32_dpp v18, v10 row_shr:1 row_mask:0xf bank_mask:0xf
	v_mov_b32_dpp v19, v11 row_shr:1 row_mask:0xf bank_mask:0xf
	v_add_f64 v[16:17], v[22:23], v[16:17]
	v_add_f64 v[12:13], v[12:13], v[24:25]
	v_add_f64 v[36:37], v[10:11], v[18:19]
	v_mov_b32_dpp v22, v16 row_shr:2 row_mask:0xf bank_mask:0xf
	v_mov_b32_dpp v23, v17 row_shr:2 row_mask:0xf bank_mask:0xf
	;; [unrolled: 1-line block ×12, first 2 shown]
	v_cmp_eq_u32_e32 vcc, 3, v9
	s_and_b64 exec, exec, vcc
	s_cbranch_execz .LBB121_25
; %bb.21:
	s_load_dwordx2 s[2:3], s[2:3], 0x48
	v_cmp_eq_f64_e32 vcc, 0, v[4:5]
	v_cmp_eq_f64_e64 s[0:1], 0, v[6:7]
	v_add_f64 v[16:17], v[16:17], v[22:23]
	v_add_f64 v[20:21], v[12:13], v[24:25]
	;; [unrolled: 1-line block ×6, first 2 shown]
	s_and_b64 s[0:1], vcc, s[0:1]
	s_and_saveexec_b64 s[4:5], s[0:1]
	s_xor_b64 s[0:1], exec, s[4:5]
	s_cbranch_execz .LBB121_23
; %bb.22:
	v_lshl_add_u32 v8, v8, 1, v8
	v_mul_f64 v[4:5], v[20:21], -v[2:3]
	v_mul_f64 v[6:7], v[0:1], v[20:21]
	v_ashrrev_i32_e32 v9, 31, v8
	v_fmac_f64_e32 v[4:5], v[0:1], v[16:17]
	v_fmac_f64_e32 v[6:7], v[2:3], v[16:17]
	s_waitcnt lgkmcnt(0)
	v_lshl_add_u64 v[8:9], v[8:9], 4, s[2:3]
	global_store_dwordx4 v[8:9], v[4:7], off
                                        ; implicit-def: $vgpr16_vgpr17
                                        ; implicit-def: $vgpr20_vgpr21
	s_nop 1
	v_mul_f64 v[4:5], v[18:19], -v[2:3]
	v_mul_f64 v[6:7], v[0:1], v[18:19]
	v_fmac_f64_e32 v[4:5], v[0:1], v[12:13]
	v_fmac_f64_e32 v[6:7], v[2:3], v[12:13]
	global_store_dwordx4 v[8:9], v[4:7], off offset:16
                                        ; implicit-def: $vgpr12_vgpr13
                                        ; implicit-def: $vgpr18_vgpr19
	s_nop 1
	v_mul_f64 v[4:5], v[14:15], -v[2:3]
	v_mul_f64 v[6:7], v[0:1], v[14:15]
	v_fmac_f64_e32 v[4:5], v[0:1], v[10:11]
	v_fmac_f64_e32 v[6:7], v[2:3], v[10:11]
	global_store_dwordx4 v[8:9], v[4:7], off offset:32
                                        ; implicit-def: $vgpr0_vgpr1
                                        ; implicit-def: $vgpr2_vgpr3
                                        ; implicit-def: $vgpr4_vgpr5
                                        ; implicit-def: $vgpr6_vgpr7
                                        ; implicit-def: $vgpr8
                                        ; implicit-def: $vgpr10_vgpr11
                                        ; implicit-def: $vgpr14_vgpr15
.LBB121_23:
	s_andn2_saveexec_b64 s[0:1], s[0:1]
	s_cbranch_execz .LBB121_25
; %bb.24:
	v_lshl_add_u32 v8, v8, 1, v8
	v_ashrrev_i32_e32 v9, 31, v8
	s_waitcnt lgkmcnt(0)
	v_lshl_add_u64 v[38:39], v[8:9], 4, s[2:3]
	global_load_dwordx4 v[22:25], v[38:39], off
	global_load_dwordx4 v[26:29], v[38:39], off offset:16
	global_load_dwordx4 v[30:33], v[38:39], off offset:32
	v_mul_f64 v[34:35], v[20:21], -v[2:3]
	v_mul_f64 v[20:21], v[0:1], v[20:21]
	v_mul_f64 v[40:41], v[18:19], -v[2:3]
	v_mul_f64 v[36:37], v[0:1], v[18:19]
	;; [unrolled: 2-line block ×3, first 2 shown]
	v_fmac_f64_e32 v[34:35], v[0:1], v[16:17]
	v_fmac_f64_e32 v[20:21], v[2:3], v[16:17]
	;; [unrolled: 1-line block ×6, first 2 shown]
	s_waitcnt vmcnt(2)
	v_fmac_f64_e32 v[34:35], v[4:5], v[22:23]
	v_fmac_f64_e32 v[20:21], v[6:7], v[22:23]
	s_waitcnt vmcnt(1)
	v_fmac_f64_e32 v[40:41], v[4:5], v[26:27]
	v_fmac_f64_e32 v[36:37], v[6:7], v[26:27]
	;; [unrolled: 3-line block ×3, first 2 shown]
	v_fma_f64 v[18:19], -v[6:7], v[24:25], v[34:35]
	v_fmac_f64_e32 v[20:21], v[4:5], v[24:25]
	v_fma_f64 v[34:35], -v[6:7], v[28:29], v[40:41]
	v_fmac_f64_e32 v[36:37], v[4:5], v[28:29]
	;; [unrolled: 2-line block ×3, first 2 shown]
	global_store_dwordx4 v[38:39], v[18:21], off
	global_store_dwordx4 v[38:39], v[34:37], off offset:16
	global_store_dwordx4 v[38:39], v[6:9], off offset:32
.LBB121_25:
	s_endpgm
	.section	.rodata,"a",@progbits
	.p2align	6, 0x0
	.amdhsa_kernel _ZN9rocsparseL19gebsrmvn_3xn_kernelILj128ELj4ELj4E21rocsparse_complex_numIdEEEvi20rocsparse_direction_NS_24const_host_device_scalarIT2_EEPKiS8_PKS5_SA_S6_PS5_21rocsparse_index_base_b
		.amdhsa_group_segment_fixed_size 2048
		.amdhsa_private_segment_fixed_size 0
		.amdhsa_kernarg_size 88
		.amdhsa_user_sgpr_count 4
		.amdhsa_user_sgpr_dispatch_ptr 1
		.amdhsa_user_sgpr_queue_ptr 0
		.amdhsa_user_sgpr_kernarg_segment_ptr 1
		.amdhsa_user_sgpr_dispatch_id 0
		.amdhsa_user_sgpr_kernarg_preload_length 0
		.amdhsa_user_sgpr_kernarg_preload_offset 0
		.amdhsa_user_sgpr_private_segment_size 0
		.amdhsa_uses_dynamic_stack 0
		.amdhsa_enable_private_segment 0
		.amdhsa_system_sgpr_workgroup_id_x 1
		.amdhsa_system_sgpr_workgroup_id_y 0
		.amdhsa_system_sgpr_workgroup_id_z 0
		.amdhsa_system_sgpr_workgroup_info 0
		.amdhsa_system_vgpr_workitem_id 2
		.amdhsa_next_free_vgpr 90
		.amdhsa_next_free_sgpr 20
		.amdhsa_accum_offset 92
		.amdhsa_reserve_vcc 1
		.amdhsa_float_round_mode_32 0
		.amdhsa_float_round_mode_16_64 0
		.amdhsa_float_denorm_mode_32 3
		.amdhsa_float_denorm_mode_16_64 3
		.amdhsa_dx10_clamp 1
		.amdhsa_ieee_mode 1
		.amdhsa_fp16_overflow 0
		.amdhsa_tg_split 0
		.amdhsa_exception_fp_ieee_invalid_op 0
		.amdhsa_exception_fp_denorm_src 0
		.amdhsa_exception_fp_ieee_div_zero 0
		.amdhsa_exception_fp_ieee_overflow 0
		.amdhsa_exception_fp_ieee_underflow 0
		.amdhsa_exception_fp_ieee_inexact 0
		.amdhsa_exception_int_div_zero 0
	.end_amdhsa_kernel
	.section	.text._ZN9rocsparseL19gebsrmvn_3xn_kernelILj128ELj4ELj4E21rocsparse_complex_numIdEEEvi20rocsparse_direction_NS_24const_host_device_scalarIT2_EEPKiS8_PKS5_SA_S6_PS5_21rocsparse_index_base_b,"axG",@progbits,_ZN9rocsparseL19gebsrmvn_3xn_kernelILj128ELj4ELj4E21rocsparse_complex_numIdEEEvi20rocsparse_direction_NS_24const_host_device_scalarIT2_EEPKiS8_PKS5_SA_S6_PS5_21rocsparse_index_base_b,comdat
.Lfunc_end121:
	.size	_ZN9rocsparseL19gebsrmvn_3xn_kernelILj128ELj4ELj4E21rocsparse_complex_numIdEEEvi20rocsparse_direction_NS_24const_host_device_scalarIT2_EEPKiS8_PKS5_SA_S6_PS5_21rocsparse_index_base_b, .Lfunc_end121-_ZN9rocsparseL19gebsrmvn_3xn_kernelILj128ELj4ELj4E21rocsparse_complex_numIdEEEvi20rocsparse_direction_NS_24const_host_device_scalarIT2_EEPKiS8_PKS5_SA_S6_PS5_21rocsparse_index_base_b
                                        ; -- End function
	.section	.AMDGPU.csdata,"",@progbits
; Kernel info:
; codeLenInByte = 2412
; NumSgprs: 26
; NumVgprs: 90
; NumAgprs: 0
; TotalNumVgprs: 90
; ScratchSize: 0
; MemoryBound: 0
; FloatMode: 240
; IeeeMode: 1
; LDSByteSize: 2048 bytes/workgroup (compile time only)
; SGPRBlocks: 3
; VGPRBlocks: 11
; NumSGPRsForWavesPerEU: 26
; NumVGPRsForWavesPerEU: 90
; AccumOffset: 92
; Occupancy: 5
; WaveLimiterHint : 1
; COMPUTE_PGM_RSRC2:SCRATCH_EN: 0
; COMPUTE_PGM_RSRC2:USER_SGPR: 4
; COMPUTE_PGM_RSRC2:TRAP_HANDLER: 0
; COMPUTE_PGM_RSRC2:TGID_X_EN: 1
; COMPUTE_PGM_RSRC2:TGID_Y_EN: 0
; COMPUTE_PGM_RSRC2:TGID_Z_EN: 0
; COMPUTE_PGM_RSRC2:TIDIG_COMP_CNT: 2
; COMPUTE_PGM_RSRC3_GFX90A:ACCUM_OFFSET: 22
; COMPUTE_PGM_RSRC3_GFX90A:TG_SPLIT: 0
	.section	.text._ZN9rocsparseL19gebsrmvn_3xn_kernelILj128ELj4ELj8E21rocsparse_complex_numIdEEEvi20rocsparse_direction_NS_24const_host_device_scalarIT2_EEPKiS8_PKS5_SA_S6_PS5_21rocsparse_index_base_b,"axG",@progbits,_ZN9rocsparseL19gebsrmvn_3xn_kernelILj128ELj4ELj8E21rocsparse_complex_numIdEEEvi20rocsparse_direction_NS_24const_host_device_scalarIT2_EEPKiS8_PKS5_SA_S6_PS5_21rocsparse_index_base_b,comdat
	.globl	_ZN9rocsparseL19gebsrmvn_3xn_kernelILj128ELj4ELj8E21rocsparse_complex_numIdEEEvi20rocsparse_direction_NS_24const_host_device_scalarIT2_EEPKiS8_PKS5_SA_S6_PS5_21rocsparse_index_base_b ; -- Begin function _ZN9rocsparseL19gebsrmvn_3xn_kernelILj128ELj4ELj8E21rocsparse_complex_numIdEEEvi20rocsparse_direction_NS_24const_host_device_scalarIT2_EEPKiS8_PKS5_SA_S6_PS5_21rocsparse_index_base_b
	.p2align	8
	.type	_ZN9rocsparseL19gebsrmvn_3xn_kernelILj128ELj4ELj8E21rocsparse_complex_numIdEEEvi20rocsparse_direction_NS_24const_host_device_scalarIT2_EEPKiS8_PKS5_SA_S6_PS5_21rocsparse_index_base_b,@function
_ZN9rocsparseL19gebsrmvn_3xn_kernelILj128ELj4ELj8E21rocsparse_complex_numIdEEEvi20rocsparse_direction_NS_24const_host_device_scalarIT2_EEPKiS8_PKS5_SA_S6_PS5_21rocsparse_index_base_b: ; @_ZN9rocsparseL19gebsrmvn_3xn_kernelILj128ELj4ELj8E21rocsparse_complex_numIdEEEvi20rocsparse_direction_NS_24const_host_device_scalarIT2_EEPKiS8_PKS5_SA_S6_PS5_21rocsparse_index_base_b
; %bb.0:
	s_load_dwordx2 s[16:17], s[2:3], 0x50
	s_load_dwordx4 s[12:15], s[2:3], 0x8
	s_load_dwordx4 s[8:11], s[2:3], 0x38
	s_load_dwordx2 s[18:19], s[0:1], 0x4
	s_mov_b64 s[6:7], src_shared_base
	s_waitcnt lgkmcnt(0)
	s_bitcmp1_b32 s17, 0
	s_cselect_b64 s[0:1], -1, 0
	s_and_b64 vcc, s[0:1], exec
	s_cselect_b32 s5, s7, s13
	s_lshr_b32 s6, s18, 16
	v_bfe_u32 v1, v0, 10, 10
	v_and_b32_e32 v10, 0x3ff, v0
	s_mul_i32 s6, s6, s19
	v_mul_u32_u24_e32 v1, s19, v1
	v_mad_u32_u24 v1, s6, v10, v1
	v_bfe_u32 v0, v0, 20, 10
	v_add_lshl_u32 v4, v1, v0, 3
	v_mov_b32_e32 v5, s12
	v_add_u32_e32 v6, 0x400, v4
	v_mov_b64_e32 v[0:1], s[12:13]
	v_mov_b64_e32 v[2:3], s[8:9]
	ds_write2st64_b64 v4, v[2:3], v[0:1] offset1:2
	v_cndmask_b32_e64 v0, v5, v6, s[0:1]
	v_mov_b32_e32 v1, s5
	flat_load_dwordx2 v[0:1], v[0:1]
	s_xor_b64 s[18:19], s[0:1], -1
	v_mov_b64_e32 v[2:3], s[14:15]
	s_cbranch_vccnz .LBB122_2
; %bb.1:
	v_mov_b64_e32 v[2:3], s[12:13]
	flat_load_dwordx2 v[2:3], v[2:3] offset:8
.LBB122_2:
	s_and_b64 s[12:13], s[0:1], exec
	s_cselect_b32 s5, s7, s9
	v_mov_b32_e32 v5, s8
	v_cndmask_b32_e64 v4, v5, v4, s[0:1]
	v_mov_b32_e32 v5, s5
	flat_load_dwordx2 v[4:5], v[4:5]
	s_andn2_b64 vcc, exec, s[18:19]
	v_mov_b64_e32 v[6:7], s[10:11]
	s_cbranch_vccnz .LBB122_4
; %bb.3:
	v_mov_b64_e32 v[6:7], s[8:9]
	flat_load_dwordx2 v[6:7], v[6:7] offset:8
.LBB122_4:
	s_waitcnt vmcnt(0) lgkmcnt(0)
	v_cmp_eq_f64_e32 vcc, 0, v[0:1]
	v_cmp_eq_f64_e64 s[0:1], 0, v[2:3]
	s_and_b64 s[8:9], vcc, s[0:1]
	s_mov_b64 s[0:1], -1
	s_and_saveexec_b64 s[6:7], s[8:9]
; %bb.5:
	v_cmp_neq_f64_e32 vcc, 1.0, v[4:5]
	v_cmp_neq_f64_e64 s[0:1], 0, v[6:7]
	s_or_b64 s[0:1], vcc, s[0:1]
	s_orn2_b64 s[0:1], s[0:1], exec
; %bb.6:
	s_or_b64 exec, exec, s[6:7]
	s_and_saveexec_b64 s[6:7], s[0:1]
	s_cbranch_execz .LBB122_25
; %bb.7:
	s_load_dwordx2 s[0:1], s[2:3], 0x0
	v_lshrrev_b32_e32 v8, 3, v10
	v_lshl_or_b32 v8, s4, 4, v8
	s_waitcnt lgkmcnt(0)
	v_cmp_gt_i32_e32 vcc, s0, v8
	s_and_b64 exec, exec, vcc
	s_cbranch_execz .LBB122_25
; %bb.8:
	s_load_dwordx8 s[4:11], s[2:3], 0x18
	v_ashrrev_i32_e32 v9, 31, v8
	s_cmp_lg_u32 s1, 0
	s_waitcnt lgkmcnt(0)
	v_lshl_add_u64 v[12:13], v[8:9], 2, s[4:5]
	global_load_dwordx2 v[12:13], v[12:13], off
	v_and_b32_e32 v9, 7, v10
	s_waitcnt vmcnt(0)
	v_subrev_u32_e32 v10, s16, v12
	v_subrev_u32_e32 v32, s16, v13
	v_add_u32_e32 v16, v10, v9
	v_cmp_lt_i32_e64 s[0:1], v16, v32
	s_cbranch_scc0 .LBB122_14
; %bb.9:
	v_mov_b64_e32 v[12:13], 0
	s_mov_b64 s[4:5], 0
	v_mov_b64_e32 v[22:23], v[12:13]
	v_mov_b64_e32 v[18:19], v[12:13]
	;; [unrolled: 1-line block ×5, first 2 shown]
	s_and_saveexec_b64 s[12:13], s[0:1]
	s_cbranch_execz .LBB122_13
; %bb.10:
	v_mad_u64_u32 v[24:25], s[14:15], v16, 12, 11
	v_mov_b64_e32 v[12:13], 0
	s_mov_b64 s[14:15], 0
	v_mov_b32_e32 v27, 0
	v_mov_b32_e32 v28, v16
	v_mov_b64_e32 v[22:23], v[12:13]
	v_mov_b64_e32 v[18:19], v[12:13]
	;; [unrolled: 1-line block ×5, first 2 shown]
.LBB122_11:                             ; =>This Inner Loop Header: Depth=1
	v_ashrrev_i32_e32 v29, 31, v28
	v_add_u32_e32 v26, -11, v24
	v_lshl_add_u64 v[50:51], v[28:29], 2, s[6:7]
	v_lshl_add_u64 v[52:53], v[26:27], 4, s[8:9]
	global_load_dword v17, v[50:51], off
	global_load_dwordx4 v[34:37], v[52:53], off offset:48
	global_load_dwordx4 v[38:41], v[52:53], off offset:32
	;; [unrolled: 1-line block ×3, first 2 shown]
	global_load_dwordx4 v[46:49], v[52:53], off
	v_add_u32_e32 v26, -7, v24
	v_lshl_add_u64 v[62:63], v[26:27], 4, s[8:9]
	v_add_u32_e32 v26, -6, v24
	v_lshl_add_u64 v[64:65], v[26:27], 4, s[8:9]
	v_add_u32_e32 v26, -5, v24
	v_lshl_add_u64 v[70:71], v[26:27], 4, s[8:9]
	v_add_u32_e32 v26, -4, v24
	v_lshl_add_u64 v[72:73], v[26:27], 4, s[8:9]
	v_add_u32_e32 v26, -3, v24
	v_mov_b32_e32 v31, v27
	v_mov_b32_e32 v25, v27
	v_lshl_add_u64 v[78:79], v[26:27], 4, s[8:9]
	v_add_u32_e32 v26, -2, v24
	v_lshl_add_u64 v[54:55], v[24:25], 4, s[8:9]
	v_lshl_add_u64 v[80:81], v[26:27], 4, s[8:9]
	global_load_dwordx4 v[50:53], v[54:55], off
	s_nop 0
	global_load_dwordx4 v[54:57], v[62:63], off
	global_load_dwordx4 v[58:61], v[64:65], off
	s_nop 0
	global_load_dwordx4 v[62:65], v[70:71], off
	;; [unrolled: 3-line block ×3, first 2 shown]
	global_load_dwordx4 v[74:77], v[80:81], off
	v_add_u32_e32 v26, -1, v24
	v_lshl_add_u64 v[86:87], v[26:27], 4, s[8:9]
	v_add_u32_e32 v28, 8, v28
	v_cmp_ge_i32_e32 vcc, v28, v32
	s_or_b64 s[14:15], vcc, s[14:15]
	v_add_u32_e32 v24, 0x60, v24
	s_waitcnt vmcnt(11)
	v_subrev_u32_e32 v17, s16, v17
	v_lshlrev_b32_e32 v30, 2, v17
	v_lshl_add_u64 v[30:31], v[30:31], 4, s[10:11]
	global_load_dwordx4 v[78:81], v[30:31], off
	global_load_dwordx4 v[82:85], v[30:31], off offset:16
	s_waitcnt vmcnt(1)
	v_fmac_f64_e32 v[22:23], v[46:47], v[78:79]
	v_fmac_f64_e32 v[12:13], v[48:49], v[78:79]
	;; [unrolled: 1-line block ×4, first 2 shown]
	v_fma_f64 v[88:89], -v[48:49], v[80:81], v[22:23]
	v_fmac_f64_e32 v[12:13], v[46:47], v[80:81]
	global_load_dwordx4 v[46:49], v[86:87], off
	v_fma_f64 v[86:87], -v[44:45], v[80:81], v[20:21]
	v_fmac_f64_e32 v[14:15], v[42:43], v[80:81]
	global_load_dwordx4 v[20:23], v[30:31], off offset:32
	global_load_dwordx4 v[42:45], v[30:31], off offset:48
	v_fmac_f64_e32 v[18:19], v[38:39], v[78:79]
	v_fmac_f64_e32 v[10:11], v[40:41], v[78:79]
	v_fma_f64 v[18:19], -v[40:41], v[80:81], v[18:19]
	v_fmac_f64_e32 v[10:11], v[38:39], v[80:81]
	s_waitcnt vmcnt(3)
	v_fmac_f64_e32 v[88:89], v[34:35], v[82:83]
	v_fmac_f64_e32 v[12:13], v[36:37], v[82:83]
	v_fmac_f64_e32 v[86:87], v[54:55], v[82:83]
	v_fmac_f64_e32 v[14:15], v[56:57], v[82:83]
	v_fmac_f64_e32 v[18:19], v[58:59], v[82:83]
	v_fmac_f64_e32 v[10:11], v[60:61], v[82:83]
	v_fma_f64 v[30:31], -v[36:37], v[84:85], v[88:89]
	v_fmac_f64_e32 v[12:13], v[34:35], v[84:85]
	v_fma_f64 v[34:35], -v[56:57], v[84:85], v[86:87]
	v_fmac_f64_e32 v[14:15], v[54:55], v[84:85]
	v_fma_f64 v[18:19], -v[60:61], v[84:85], v[18:19]
	v_fmac_f64_e32 v[10:11], v[58:59], v[84:85]
	s_waitcnt vmcnt(1)
	v_fmac_f64_e32 v[30:31], v[62:63], v[20:21]
	v_fmac_f64_e32 v[12:13], v[64:65], v[20:21]
	v_fmac_f64_e32 v[34:35], v[66:67], v[20:21]
	v_fmac_f64_e32 v[14:15], v[68:69], v[20:21]
	v_fmac_f64_e32 v[18:19], v[70:71], v[20:21]
	v_fmac_f64_e32 v[10:11], v[72:73], v[20:21]
	v_fma_f64 v[20:21], -v[64:65], v[22:23], v[30:31]
	v_fmac_f64_e32 v[12:13], v[62:63], v[22:23]
	v_fma_f64 v[30:31], -v[68:69], v[22:23], v[34:35]
	;; [unrolled: 13-line block ×3, first 2 shown]
	v_fmac_f64_e32 v[14:15], v[46:47], v[44:45]
	v_fma_f64 v[18:19], -v[52:53], v[44:45], v[18:19]
	v_fmac_f64_e32 v[10:11], v[50:51], v[44:45]
	s_andn2_b64 exec, exec, s[14:15]
	s_cbranch_execnz .LBB122_11
; %bb.12:
	s_or_b64 exec, exec, s[14:15]
.LBB122_13:
	s_or_b64 exec, exec, s[12:13]
	s_andn2_b64 vcc, exec, s[4:5]
	s_cbranch_vccz .LBB122_15
	s_branch .LBB122_20
.LBB122_14:
                                        ; implicit-def: $vgpr12_vgpr13
                                        ; implicit-def: $vgpr22_vgpr23
                                        ; implicit-def: $vgpr18_vgpr19
                                        ; implicit-def: $vgpr10_vgpr11
                                        ; implicit-def: $vgpr20_vgpr21
                                        ; implicit-def: $vgpr14_vgpr15
.LBB122_15:
	v_mov_b64_e32 v[12:13], 0
	v_mov_b64_e32 v[22:23], v[12:13]
	;; [unrolled: 1-line block ×6, first 2 shown]
	s_and_saveexec_b64 s[4:5], s[0:1]
	s_cbranch_execz .LBB122_19
; %bb.16:
	v_mad_u64_u32 v[24:25], s[0:1], v16, 12, 11
	v_mov_b64_e32 v[12:13], 0
	s_mov_b64 s[0:1], 0
	v_mov_b32_e32 v27, 0
	v_mov_b64_e32 v[22:23], v[12:13]
	v_mov_b64_e32 v[18:19], v[12:13]
	;; [unrolled: 1-line block ×5, first 2 shown]
.LBB122_17:                             ; =>This Inner Loop Header: Depth=1
	v_ashrrev_i32_e32 v17, 31, v16
	v_add_u32_e32 v26, -11, v24
	v_add_u32_e32 v28, -7, v24
	;; [unrolled: 1-line block ×3, first 2 shown]
	v_mov_b32_e32 v29, v27
	v_mov_b32_e32 v31, v27
	v_lshl_add_u64 v[54:55], v[16:17], 2, s[6:7]
	v_lshl_add_u64 v[56:57], v[26:27], 4, s[8:9]
	;; [unrolled: 1-line block ×4, first 2 shown]
	global_load_dword v17, v[54:55], off
	global_load_dwordx4 v[28:31], v[56:57], off offset:48
	global_load_dwordx4 v[34:37], v[56:57], off offset:32
	;; [unrolled: 1-line block ×3, first 2 shown]
	global_load_dwordx4 v[42:45], v[56:57], off
	global_load_dwordx4 v[46:49], v[58:59], off
	;; [unrolled: 1-line block ×3, first 2 shown]
	v_add_u32_e32 v26, -6, v24
	v_mov_b32_e32 v63, v27
	v_lshl_add_u64 v[64:65], v[26:27], 4, s[8:9]
	v_add_u32_e32 v26, -2, v24
	v_lshl_add_u64 v[66:67], v[26:27], 4, s[8:9]
	global_load_dwordx4 v[54:57], v[64:65], off
	global_load_dwordx4 v[58:61], v[66:67], off
	v_add_u32_e32 v26, -5, v24
	v_lshl_add_u64 v[76:77], v[26:27], 4, s[8:9]
	v_add_u32_e32 v26, -1, v24
	v_mov_b32_e32 v25, v27
	v_lshl_add_u64 v[78:79], v[26:27], 4, s[8:9]
	v_add_u32_e32 v26, -4, v24
	v_lshl_add_u64 v[74:75], v[24:25], 4, s[8:9]
	v_add_u32_e32 v16, 8, v16
	v_cmp_ge_i32_e32 vcc, v16, v32
	s_or_b64 s[0:1], vcc, s[0:1]
	v_add_u32_e32 v24, 0x60, v24
	s_waitcnt vmcnt(8)
	v_subrev_u32_e32 v17, s16, v17
	v_lshlrev_b32_e32 v62, 2, v17
	v_lshl_add_u64 v[80:81], v[62:63], 4, s[10:11]
	global_load_dwordx4 v[62:65], v[80:81], off
	global_load_dwordx4 v[66:69], v[80:81], off offset:16
	s_waitcnt vmcnt(1)
	v_fmac_f64_e32 v[22:23], v[42:43], v[62:63]
	v_fmac_f64_e32 v[12:13], v[44:45], v[62:63]
	v_fmac_f64_e32 v[20:21], v[46:47], v[62:63]
	v_fma_f64 v[22:23], -v[44:45], v[64:65], v[22:23]
	v_fmac_f64_e32 v[12:13], v[42:43], v[64:65]
	global_load_dwordx4 v[42:45], v[76:77], off
	global_load_dwordx4 v[70:73], v[78:79], off
	v_fmac_f64_e32 v[14:15], v[48:49], v[62:63]
	v_fma_f64 v[76:77], -v[48:49], v[64:65], v[20:21]
	v_lshl_add_u64 v[20:21], v[26:27], 4, s[8:9]
	v_fmac_f64_e32 v[18:19], v[50:51], v[62:63]
	v_fmac_f64_e32 v[10:11], v[52:53], v[62:63]
	;; [unrolled: 1-line block ×3, first 2 shown]
	global_load_dwordx4 v[46:49], v[20:21], off
	v_fma_f64 v[78:79], -v[52:53], v[64:65], v[18:19]
	v_fmac_f64_e32 v[10:11], v[50:51], v[64:65]
	global_load_dwordx4 v[50:53], v[74:75], off
	global_load_dwordx4 v[18:21], v[80:81], off offset:32
	global_load_dwordx4 v[62:65], v[80:81], off offset:48
	s_waitcnt vmcnt(6)
	v_fmac_f64_e32 v[22:23], v[38:39], v[66:67]
	v_fmac_f64_e32 v[12:13], v[40:41], v[66:67]
	v_fmac_f64_e32 v[76:77], v[54:55], v[66:67]
	v_fmac_f64_e32 v[14:15], v[56:57], v[66:67]
	v_fmac_f64_e32 v[78:79], v[58:59], v[66:67]
	v_fmac_f64_e32 v[10:11], v[60:61], v[66:67]
	v_fma_f64 v[22:23], -v[40:41], v[68:69], v[22:23]
	v_fmac_f64_e32 v[12:13], v[38:39], v[68:69]
	v_fma_f64 v[38:39], -v[56:57], v[68:69], v[76:77]
	v_fmac_f64_e32 v[14:15], v[54:55], v[68:69]
	v_fma_f64 v[40:41], -v[60:61], v[68:69], v[78:79]
	v_fmac_f64_e32 v[10:11], v[58:59], v[68:69]
	s_waitcnt vmcnt(1)
	v_fmac_f64_e32 v[22:23], v[34:35], v[18:19]
	v_fmac_f64_e32 v[12:13], v[36:37], v[18:19]
	v_fmac_f64_e32 v[38:39], v[42:43], v[18:19]
	v_fmac_f64_e32 v[14:15], v[44:45], v[18:19]
	v_fmac_f64_e32 v[40:41], v[70:71], v[18:19]
	v_fmac_f64_e32 v[10:11], v[72:73], v[18:19]
	v_fma_f64 v[18:19], -v[36:37], v[20:21], v[22:23]
	v_fmac_f64_e32 v[12:13], v[34:35], v[20:21]
	v_fma_f64 v[34:35], -v[44:45], v[20:21], v[38:39]
	v_fmac_f64_e32 v[14:15], v[42:43], v[20:21]
	v_fma_f64 v[36:37], -v[72:73], v[20:21], v[40:41]
	v_fmac_f64_e32 v[10:11], v[70:71], v[20:21]
	;; [unrolled: 13-line block ×3, first 2 shown]
	s_andn2_b64 exec, exec, s[0:1]
	s_cbranch_execnz .LBB122_17
; %bb.18:
	s_or_b64 exec, exec, s[0:1]
.LBB122_19:
	s_or_b64 exec, exec, s[4:5]
.LBB122_20:
	v_mov_b32_dpp v26, v20 row_shr:1 row_mask:0xf bank_mask:0xf
	v_mov_b32_dpp v27, v21 row_shr:1 row_mask:0xf bank_mask:0xf
	v_add_f64 v[20:21], v[20:21], v[26:27]
	v_mov_b32_dpp v16, v22 row_shr:1 row_mask:0xf bank_mask:0xf
	v_mov_b32_dpp v17, v23 row_shr:1 row_mask:0xf bank_mask:0xf
	;; [unrolled: 1-line block ×4, first 2 shown]
	v_add_f64 v[26:27], v[20:21], v[26:27]
	v_mov_b32_dpp v20, v14 row_shr:1 row_mask:0xf bank_mask:0xf
	v_mov_b32_dpp v21, v15 row_shr:1 row_mask:0xf bank_mask:0xf
	v_add_f64 v[14:15], v[14:15], v[20:21]
	v_mov_b32_dpp v24, v12 row_shr:1 row_mask:0xf bank_mask:0xf
	v_mov_b32_dpp v25, v13 row_shr:1 row_mask:0xf bank_mask:0xf
	;; [unrolled: 1-line block ×4, first 2 shown]
	v_add_f64 v[14:15], v[14:15], v[20:21]
	v_mov_b32_dpp v20, v18 row_shr:1 row_mask:0xf bank_mask:0xf
	v_mov_b32_dpp v21, v19 row_shr:1 row_mask:0xf bank_mask:0xf
	v_add_f64 v[18:19], v[18:19], v[20:21]
	v_add_f64 v[16:17], v[22:23], v[16:17]
	;; [unrolled: 1-line block ×3, first 2 shown]
	v_mov_b32_dpp v20, v18 row_shr:2 row_mask:0xf bank_mask:0xf
	v_mov_b32_dpp v21, v19 row_shr:2 row_mask:0xf bank_mask:0xf
	v_add_f64 v[32:33], v[18:19], v[20:21]
	v_mov_b32_dpp v18, v10 row_shr:1 row_mask:0xf bank_mask:0xf
	v_mov_b32_dpp v19, v11 row_shr:1 row_mask:0xf bank_mask:0xf
	v_add_f64 v[10:11], v[10:11], v[18:19]
	v_mov_b32_dpp v22, v16 row_shr:2 row_mask:0xf bank_mask:0xf
	v_mov_b32_dpp v23, v17 row_shr:2 row_mask:0xf bank_mask:0xf
	;; [unrolled: 1-line block ×6, first 2 shown]
	v_add_f64 v[16:17], v[16:17], v[22:23]
	v_add_f64 v[12:13], v[12:13], v[24:25]
	;; [unrolled: 1-line block ×3, first 2 shown]
	v_mov_b32_dpp v22, v16 row_shr:4 row_mask:0xf bank_mask:0xe
	v_mov_b32_dpp v23, v17 row_shr:4 row_mask:0xf bank_mask:0xe
	;; [unrolled: 1-line block ×12, first 2 shown]
	v_cmp_eq_u32_e32 vcc, 7, v9
	s_and_b64 exec, exec, vcc
	s_cbranch_execz .LBB122_25
; %bb.21:
	s_load_dwordx2 s[2:3], s[2:3], 0x48
	v_cmp_eq_f64_e32 vcc, 0, v[4:5]
	v_cmp_eq_f64_e64 s[0:1], 0, v[6:7]
	v_add_f64 v[16:17], v[16:17], v[22:23]
	v_add_f64 v[20:21], v[12:13], v[24:25]
	v_add_f64 v[12:13], v[26:27], v[28:29]
	v_add_f64 v[18:19], v[14:15], v[30:31]
	v_add_f64 v[10:11], v[32:33], v[34:35]
	v_add_f64 v[14:15], v[36:37], v[38:39]
	s_and_b64 s[0:1], vcc, s[0:1]
	s_and_saveexec_b64 s[4:5], s[0:1]
	s_xor_b64 s[0:1], exec, s[4:5]
	s_cbranch_execz .LBB122_23
; %bb.22:
	v_lshl_add_u32 v8, v8, 1, v8
	v_mul_f64 v[4:5], v[20:21], -v[2:3]
	v_mul_f64 v[6:7], v[0:1], v[20:21]
	v_ashrrev_i32_e32 v9, 31, v8
	v_fmac_f64_e32 v[4:5], v[0:1], v[16:17]
	v_fmac_f64_e32 v[6:7], v[2:3], v[16:17]
	s_waitcnt lgkmcnt(0)
	v_lshl_add_u64 v[8:9], v[8:9], 4, s[2:3]
	global_store_dwordx4 v[8:9], v[4:7], off
                                        ; implicit-def: $vgpr16_vgpr17
                                        ; implicit-def: $vgpr20_vgpr21
	s_nop 1
	v_mul_f64 v[4:5], v[18:19], -v[2:3]
	v_mul_f64 v[6:7], v[0:1], v[18:19]
	v_fmac_f64_e32 v[4:5], v[0:1], v[12:13]
	v_fmac_f64_e32 v[6:7], v[2:3], v[12:13]
	global_store_dwordx4 v[8:9], v[4:7], off offset:16
                                        ; implicit-def: $vgpr12_vgpr13
                                        ; implicit-def: $vgpr18_vgpr19
	s_nop 1
	v_mul_f64 v[4:5], v[14:15], -v[2:3]
	v_mul_f64 v[6:7], v[0:1], v[14:15]
	v_fmac_f64_e32 v[4:5], v[0:1], v[10:11]
	v_fmac_f64_e32 v[6:7], v[2:3], v[10:11]
	global_store_dwordx4 v[8:9], v[4:7], off offset:32
                                        ; implicit-def: $vgpr0_vgpr1
                                        ; implicit-def: $vgpr2_vgpr3
                                        ; implicit-def: $vgpr4_vgpr5
                                        ; implicit-def: $vgpr6_vgpr7
                                        ; implicit-def: $vgpr8
                                        ; implicit-def: $vgpr10_vgpr11
                                        ; implicit-def: $vgpr14_vgpr15
.LBB122_23:
	s_andn2_saveexec_b64 s[0:1], s[0:1]
	s_cbranch_execz .LBB122_25
; %bb.24:
	v_lshl_add_u32 v8, v8, 1, v8
	v_ashrrev_i32_e32 v9, 31, v8
	s_waitcnt lgkmcnt(0)
	v_lshl_add_u64 v[38:39], v[8:9], 4, s[2:3]
	global_load_dwordx4 v[22:25], v[38:39], off
	global_load_dwordx4 v[26:29], v[38:39], off offset:16
	global_load_dwordx4 v[30:33], v[38:39], off offset:32
	v_mul_f64 v[34:35], v[20:21], -v[2:3]
	v_mul_f64 v[20:21], v[0:1], v[20:21]
	v_mul_f64 v[40:41], v[18:19], -v[2:3]
	v_mul_f64 v[36:37], v[0:1], v[18:19]
	;; [unrolled: 2-line block ×3, first 2 shown]
	v_fmac_f64_e32 v[34:35], v[0:1], v[16:17]
	v_fmac_f64_e32 v[20:21], v[2:3], v[16:17]
	v_fmac_f64_e32 v[40:41], v[0:1], v[12:13]
	v_fmac_f64_e32 v[36:37], v[2:3], v[12:13]
	v_fmac_f64_e32 v[42:43], v[0:1], v[10:11]
	v_fmac_f64_e32 v[8:9], v[2:3], v[10:11]
	s_waitcnt vmcnt(2)
	v_fmac_f64_e32 v[34:35], v[4:5], v[22:23]
	v_fmac_f64_e32 v[20:21], v[6:7], v[22:23]
	s_waitcnt vmcnt(1)
	v_fmac_f64_e32 v[40:41], v[4:5], v[26:27]
	v_fmac_f64_e32 v[36:37], v[6:7], v[26:27]
	;; [unrolled: 3-line block ×3, first 2 shown]
	v_fma_f64 v[18:19], -v[6:7], v[24:25], v[34:35]
	v_fmac_f64_e32 v[20:21], v[4:5], v[24:25]
	v_fma_f64 v[34:35], -v[6:7], v[28:29], v[40:41]
	v_fmac_f64_e32 v[36:37], v[4:5], v[28:29]
	;; [unrolled: 2-line block ×3, first 2 shown]
	global_store_dwordx4 v[38:39], v[18:21], off
	global_store_dwordx4 v[38:39], v[34:37], off offset:16
	global_store_dwordx4 v[38:39], v[6:9], off offset:32
.LBB122_25:
	s_endpgm
	.section	.rodata,"a",@progbits
	.p2align	6, 0x0
	.amdhsa_kernel _ZN9rocsparseL19gebsrmvn_3xn_kernelILj128ELj4ELj8E21rocsparse_complex_numIdEEEvi20rocsparse_direction_NS_24const_host_device_scalarIT2_EEPKiS8_PKS5_SA_S6_PS5_21rocsparse_index_base_b
		.amdhsa_group_segment_fixed_size 2048
		.amdhsa_private_segment_fixed_size 0
		.amdhsa_kernarg_size 88
		.amdhsa_user_sgpr_count 4
		.amdhsa_user_sgpr_dispatch_ptr 1
		.amdhsa_user_sgpr_queue_ptr 0
		.amdhsa_user_sgpr_kernarg_segment_ptr 1
		.amdhsa_user_sgpr_dispatch_id 0
		.amdhsa_user_sgpr_kernarg_preload_length 0
		.amdhsa_user_sgpr_kernarg_preload_offset 0
		.amdhsa_user_sgpr_private_segment_size 0
		.amdhsa_uses_dynamic_stack 0
		.amdhsa_enable_private_segment 0
		.amdhsa_system_sgpr_workgroup_id_x 1
		.amdhsa_system_sgpr_workgroup_id_y 0
		.amdhsa_system_sgpr_workgroup_id_z 0
		.amdhsa_system_sgpr_workgroup_info 0
		.amdhsa_system_vgpr_workitem_id 2
		.amdhsa_next_free_vgpr 90
		.amdhsa_next_free_sgpr 20
		.amdhsa_accum_offset 92
		.amdhsa_reserve_vcc 1
		.amdhsa_float_round_mode_32 0
		.amdhsa_float_round_mode_16_64 0
		.amdhsa_float_denorm_mode_32 3
		.amdhsa_float_denorm_mode_16_64 3
		.amdhsa_dx10_clamp 1
		.amdhsa_ieee_mode 1
		.amdhsa_fp16_overflow 0
		.amdhsa_tg_split 0
		.amdhsa_exception_fp_ieee_invalid_op 0
		.amdhsa_exception_fp_denorm_src 0
		.amdhsa_exception_fp_ieee_div_zero 0
		.amdhsa_exception_fp_ieee_overflow 0
		.amdhsa_exception_fp_ieee_underflow 0
		.amdhsa_exception_fp_ieee_inexact 0
		.amdhsa_exception_int_div_zero 0
	.end_amdhsa_kernel
	.section	.text._ZN9rocsparseL19gebsrmvn_3xn_kernelILj128ELj4ELj8E21rocsparse_complex_numIdEEEvi20rocsparse_direction_NS_24const_host_device_scalarIT2_EEPKiS8_PKS5_SA_S6_PS5_21rocsparse_index_base_b,"axG",@progbits,_ZN9rocsparseL19gebsrmvn_3xn_kernelILj128ELj4ELj8E21rocsparse_complex_numIdEEEvi20rocsparse_direction_NS_24const_host_device_scalarIT2_EEPKiS8_PKS5_SA_S6_PS5_21rocsparse_index_base_b,comdat
.Lfunc_end122:
	.size	_ZN9rocsparseL19gebsrmvn_3xn_kernelILj128ELj4ELj8E21rocsparse_complex_numIdEEEvi20rocsparse_direction_NS_24const_host_device_scalarIT2_EEPKiS8_PKS5_SA_S6_PS5_21rocsparse_index_base_b, .Lfunc_end122-_ZN9rocsparseL19gebsrmvn_3xn_kernelILj128ELj4ELj8E21rocsparse_complex_numIdEEEvi20rocsparse_direction_NS_24const_host_device_scalarIT2_EEPKiS8_PKS5_SA_S6_PS5_21rocsparse_index_base_b
                                        ; -- End function
	.section	.AMDGPU.csdata,"",@progbits
; Kernel info:
; codeLenInByte = 2564
; NumSgprs: 26
; NumVgprs: 90
; NumAgprs: 0
; TotalNumVgprs: 90
; ScratchSize: 0
; MemoryBound: 0
; FloatMode: 240
; IeeeMode: 1
; LDSByteSize: 2048 bytes/workgroup (compile time only)
; SGPRBlocks: 3
; VGPRBlocks: 11
; NumSGPRsForWavesPerEU: 26
; NumVGPRsForWavesPerEU: 90
; AccumOffset: 92
; Occupancy: 5
; WaveLimiterHint : 1
; COMPUTE_PGM_RSRC2:SCRATCH_EN: 0
; COMPUTE_PGM_RSRC2:USER_SGPR: 4
; COMPUTE_PGM_RSRC2:TRAP_HANDLER: 0
; COMPUTE_PGM_RSRC2:TGID_X_EN: 1
; COMPUTE_PGM_RSRC2:TGID_Y_EN: 0
; COMPUTE_PGM_RSRC2:TGID_Z_EN: 0
; COMPUTE_PGM_RSRC2:TIDIG_COMP_CNT: 2
; COMPUTE_PGM_RSRC3_GFX90A:ACCUM_OFFSET: 22
; COMPUTE_PGM_RSRC3_GFX90A:TG_SPLIT: 0
	.section	.text._ZN9rocsparseL19gebsrmvn_3xn_kernelILj128ELj4ELj16E21rocsparse_complex_numIdEEEvi20rocsparse_direction_NS_24const_host_device_scalarIT2_EEPKiS8_PKS5_SA_S6_PS5_21rocsparse_index_base_b,"axG",@progbits,_ZN9rocsparseL19gebsrmvn_3xn_kernelILj128ELj4ELj16E21rocsparse_complex_numIdEEEvi20rocsparse_direction_NS_24const_host_device_scalarIT2_EEPKiS8_PKS5_SA_S6_PS5_21rocsparse_index_base_b,comdat
	.globl	_ZN9rocsparseL19gebsrmvn_3xn_kernelILj128ELj4ELj16E21rocsparse_complex_numIdEEEvi20rocsparse_direction_NS_24const_host_device_scalarIT2_EEPKiS8_PKS5_SA_S6_PS5_21rocsparse_index_base_b ; -- Begin function _ZN9rocsparseL19gebsrmvn_3xn_kernelILj128ELj4ELj16E21rocsparse_complex_numIdEEEvi20rocsparse_direction_NS_24const_host_device_scalarIT2_EEPKiS8_PKS5_SA_S6_PS5_21rocsparse_index_base_b
	.p2align	8
	.type	_ZN9rocsparseL19gebsrmvn_3xn_kernelILj128ELj4ELj16E21rocsparse_complex_numIdEEEvi20rocsparse_direction_NS_24const_host_device_scalarIT2_EEPKiS8_PKS5_SA_S6_PS5_21rocsparse_index_base_b,@function
_ZN9rocsparseL19gebsrmvn_3xn_kernelILj128ELj4ELj16E21rocsparse_complex_numIdEEEvi20rocsparse_direction_NS_24const_host_device_scalarIT2_EEPKiS8_PKS5_SA_S6_PS5_21rocsparse_index_base_b: ; @_ZN9rocsparseL19gebsrmvn_3xn_kernelILj128ELj4ELj16E21rocsparse_complex_numIdEEEvi20rocsparse_direction_NS_24const_host_device_scalarIT2_EEPKiS8_PKS5_SA_S6_PS5_21rocsparse_index_base_b
; %bb.0:
	s_load_dwordx2 s[16:17], s[2:3], 0x50
	s_load_dwordx4 s[12:15], s[2:3], 0x8
	s_load_dwordx4 s[8:11], s[2:3], 0x38
	s_load_dwordx2 s[18:19], s[0:1], 0x4
	s_mov_b64 s[6:7], src_shared_base
	s_waitcnt lgkmcnt(0)
	s_bitcmp1_b32 s17, 0
	s_cselect_b64 s[0:1], -1, 0
	s_and_b64 vcc, s[0:1], exec
	s_cselect_b32 s5, s7, s13
	s_lshr_b32 s6, s18, 16
	v_bfe_u32 v1, v0, 10, 10
	v_and_b32_e32 v10, 0x3ff, v0
	s_mul_i32 s6, s6, s19
	v_mul_u32_u24_e32 v1, s19, v1
	v_mad_u32_u24 v1, s6, v10, v1
	v_bfe_u32 v0, v0, 20, 10
	v_add_lshl_u32 v4, v1, v0, 3
	v_mov_b32_e32 v5, s12
	v_add_u32_e32 v6, 0x400, v4
	v_mov_b64_e32 v[0:1], s[12:13]
	v_mov_b64_e32 v[2:3], s[8:9]
	ds_write2st64_b64 v4, v[2:3], v[0:1] offset1:2
	v_cndmask_b32_e64 v0, v5, v6, s[0:1]
	v_mov_b32_e32 v1, s5
	flat_load_dwordx2 v[0:1], v[0:1]
	s_xor_b64 s[18:19], s[0:1], -1
	v_mov_b64_e32 v[2:3], s[14:15]
	s_cbranch_vccnz .LBB123_2
; %bb.1:
	v_mov_b64_e32 v[2:3], s[12:13]
	flat_load_dwordx2 v[2:3], v[2:3] offset:8
.LBB123_2:
	s_and_b64 s[12:13], s[0:1], exec
	s_cselect_b32 s5, s7, s9
	v_mov_b32_e32 v5, s8
	v_cndmask_b32_e64 v4, v5, v4, s[0:1]
	v_mov_b32_e32 v5, s5
	flat_load_dwordx2 v[4:5], v[4:5]
	s_andn2_b64 vcc, exec, s[18:19]
	v_mov_b64_e32 v[6:7], s[10:11]
	s_cbranch_vccnz .LBB123_4
; %bb.3:
	v_mov_b64_e32 v[6:7], s[8:9]
	flat_load_dwordx2 v[6:7], v[6:7] offset:8
.LBB123_4:
	s_waitcnt vmcnt(0) lgkmcnt(0)
	v_cmp_eq_f64_e32 vcc, 0, v[0:1]
	v_cmp_eq_f64_e64 s[0:1], 0, v[2:3]
	s_and_b64 s[8:9], vcc, s[0:1]
	s_mov_b64 s[0:1], -1
	s_and_saveexec_b64 s[6:7], s[8:9]
; %bb.5:
	v_cmp_neq_f64_e32 vcc, 1.0, v[4:5]
	v_cmp_neq_f64_e64 s[0:1], 0, v[6:7]
	s_or_b64 s[0:1], vcc, s[0:1]
	s_orn2_b64 s[0:1], s[0:1], exec
; %bb.6:
	s_or_b64 exec, exec, s[6:7]
	s_and_saveexec_b64 s[6:7], s[0:1]
	s_cbranch_execz .LBB123_25
; %bb.7:
	s_load_dwordx2 s[0:1], s[2:3], 0x0
	v_lshrrev_b32_e32 v8, 4, v10
	v_lshl_or_b32 v8, s4, 3, v8
	s_waitcnt lgkmcnt(0)
	v_cmp_gt_i32_e32 vcc, s0, v8
	s_and_b64 exec, exec, vcc
	s_cbranch_execz .LBB123_25
; %bb.8:
	s_load_dwordx8 s[4:11], s[2:3], 0x18
	v_ashrrev_i32_e32 v9, 31, v8
	s_cmp_lg_u32 s1, 0
	s_waitcnt lgkmcnt(0)
	v_lshl_add_u64 v[12:13], v[8:9], 2, s[4:5]
	global_load_dwordx2 v[12:13], v[12:13], off
	v_and_b32_e32 v9, 15, v10
	s_waitcnt vmcnt(0)
	v_subrev_u32_e32 v10, s16, v12
	v_subrev_u32_e32 v32, s16, v13
	v_add_u32_e32 v16, v10, v9
	v_cmp_lt_i32_e64 s[0:1], v16, v32
	s_cbranch_scc0 .LBB123_14
; %bb.9:
	v_mov_b64_e32 v[12:13], 0
	s_mov_b64 s[4:5], 0
	v_mov_b64_e32 v[22:23], v[12:13]
	v_mov_b64_e32 v[18:19], v[12:13]
	;; [unrolled: 1-line block ×5, first 2 shown]
	s_and_saveexec_b64 s[12:13], s[0:1]
	s_cbranch_execz .LBB123_13
; %bb.10:
	v_mad_u64_u32 v[24:25], s[14:15], v16, 12, 11
	v_mov_b64_e32 v[12:13], 0
	s_mov_b64 s[14:15], 0
	v_mov_b32_e32 v27, 0
	v_mov_b32_e32 v28, v16
	v_mov_b64_e32 v[22:23], v[12:13]
	v_mov_b64_e32 v[18:19], v[12:13]
	;; [unrolled: 1-line block ×5, first 2 shown]
.LBB123_11:                             ; =>This Inner Loop Header: Depth=1
	v_ashrrev_i32_e32 v29, 31, v28
	v_add_u32_e32 v26, -11, v24
	v_lshl_add_u64 v[50:51], v[28:29], 2, s[6:7]
	v_lshl_add_u64 v[52:53], v[26:27], 4, s[8:9]
	global_load_dword v17, v[50:51], off
	global_load_dwordx4 v[34:37], v[52:53], off offset:48
	global_load_dwordx4 v[38:41], v[52:53], off offset:32
	;; [unrolled: 1-line block ×3, first 2 shown]
	global_load_dwordx4 v[46:49], v[52:53], off
	v_add_u32_e32 v26, -7, v24
	v_lshl_add_u64 v[62:63], v[26:27], 4, s[8:9]
	v_add_u32_e32 v26, -6, v24
	v_lshl_add_u64 v[64:65], v[26:27], 4, s[8:9]
	;; [unrolled: 2-line block ×4, first 2 shown]
	v_add_u32_e32 v26, -3, v24
	v_mov_b32_e32 v31, v27
	v_mov_b32_e32 v25, v27
	v_lshl_add_u64 v[78:79], v[26:27], 4, s[8:9]
	v_add_u32_e32 v26, -2, v24
	v_lshl_add_u64 v[54:55], v[24:25], 4, s[8:9]
	v_lshl_add_u64 v[80:81], v[26:27], 4, s[8:9]
	global_load_dwordx4 v[50:53], v[54:55], off
	s_nop 0
	global_load_dwordx4 v[54:57], v[62:63], off
	global_load_dwordx4 v[58:61], v[64:65], off
	s_nop 0
	global_load_dwordx4 v[62:65], v[70:71], off
	;; [unrolled: 3-line block ×3, first 2 shown]
	global_load_dwordx4 v[74:77], v[80:81], off
	v_add_u32_e32 v26, -1, v24
	v_lshl_add_u64 v[86:87], v[26:27], 4, s[8:9]
	v_add_u32_e32 v28, 16, v28
	v_cmp_ge_i32_e32 vcc, v28, v32
	s_or_b64 s[14:15], vcc, s[14:15]
	v_add_u32_e32 v24, 0xc0, v24
	s_waitcnt vmcnt(11)
	v_subrev_u32_e32 v17, s16, v17
	v_lshlrev_b32_e32 v30, 2, v17
	v_lshl_add_u64 v[30:31], v[30:31], 4, s[10:11]
	global_load_dwordx4 v[78:81], v[30:31], off
	global_load_dwordx4 v[82:85], v[30:31], off offset:16
	s_waitcnt vmcnt(1)
	v_fmac_f64_e32 v[22:23], v[46:47], v[78:79]
	v_fmac_f64_e32 v[12:13], v[48:49], v[78:79]
	;; [unrolled: 1-line block ×4, first 2 shown]
	v_fma_f64 v[88:89], -v[48:49], v[80:81], v[22:23]
	v_fmac_f64_e32 v[12:13], v[46:47], v[80:81]
	global_load_dwordx4 v[46:49], v[86:87], off
	v_fma_f64 v[86:87], -v[44:45], v[80:81], v[20:21]
	v_fmac_f64_e32 v[14:15], v[42:43], v[80:81]
	global_load_dwordx4 v[20:23], v[30:31], off offset:32
	global_load_dwordx4 v[42:45], v[30:31], off offset:48
	v_fmac_f64_e32 v[18:19], v[38:39], v[78:79]
	v_fmac_f64_e32 v[10:11], v[40:41], v[78:79]
	v_fma_f64 v[18:19], -v[40:41], v[80:81], v[18:19]
	v_fmac_f64_e32 v[10:11], v[38:39], v[80:81]
	s_waitcnt vmcnt(3)
	v_fmac_f64_e32 v[88:89], v[34:35], v[82:83]
	v_fmac_f64_e32 v[12:13], v[36:37], v[82:83]
	v_fmac_f64_e32 v[86:87], v[54:55], v[82:83]
	v_fmac_f64_e32 v[14:15], v[56:57], v[82:83]
	v_fmac_f64_e32 v[18:19], v[58:59], v[82:83]
	v_fmac_f64_e32 v[10:11], v[60:61], v[82:83]
	v_fma_f64 v[30:31], -v[36:37], v[84:85], v[88:89]
	v_fmac_f64_e32 v[12:13], v[34:35], v[84:85]
	v_fma_f64 v[34:35], -v[56:57], v[84:85], v[86:87]
	v_fmac_f64_e32 v[14:15], v[54:55], v[84:85]
	v_fma_f64 v[18:19], -v[60:61], v[84:85], v[18:19]
	v_fmac_f64_e32 v[10:11], v[58:59], v[84:85]
	s_waitcnt vmcnt(1)
	v_fmac_f64_e32 v[30:31], v[62:63], v[20:21]
	v_fmac_f64_e32 v[12:13], v[64:65], v[20:21]
	v_fmac_f64_e32 v[34:35], v[66:67], v[20:21]
	v_fmac_f64_e32 v[14:15], v[68:69], v[20:21]
	v_fmac_f64_e32 v[18:19], v[70:71], v[20:21]
	v_fmac_f64_e32 v[10:11], v[72:73], v[20:21]
	v_fma_f64 v[20:21], -v[64:65], v[22:23], v[30:31]
	v_fmac_f64_e32 v[12:13], v[62:63], v[22:23]
	v_fma_f64 v[30:31], -v[68:69], v[22:23], v[34:35]
	;; [unrolled: 13-line block ×3, first 2 shown]
	v_fmac_f64_e32 v[14:15], v[46:47], v[44:45]
	v_fma_f64 v[18:19], -v[52:53], v[44:45], v[18:19]
	v_fmac_f64_e32 v[10:11], v[50:51], v[44:45]
	s_andn2_b64 exec, exec, s[14:15]
	s_cbranch_execnz .LBB123_11
; %bb.12:
	s_or_b64 exec, exec, s[14:15]
.LBB123_13:
	s_or_b64 exec, exec, s[12:13]
	s_andn2_b64 vcc, exec, s[4:5]
	s_cbranch_vccz .LBB123_15
	s_branch .LBB123_20
.LBB123_14:
                                        ; implicit-def: $vgpr12_vgpr13
                                        ; implicit-def: $vgpr22_vgpr23
                                        ; implicit-def: $vgpr18_vgpr19
                                        ; implicit-def: $vgpr10_vgpr11
                                        ; implicit-def: $vgpr20_vgpr21
                                        ; implicit-def: $vgpr14_vgpr15
.LBB123_15:
	v_mov_b64_e32 v[12:13], 0
	v_mov_b64_e32 v[22:23], v[12:13]
	;; [unrolled: 1-line block ×6, first 2 shown]
	s_and_saveexec_b64 s[4:5], s[0:1]
	s_cbranch_execz .LBB123_19
; %bb.16:
	v_mad_u64_u32 v[24:25], s[0:1], v16, 12, 11
	v_mov_b64_e32 v[12:13], 0
	s_mov_b64 s[0:1], 0
	v_mov_b32_e32 v27, 0
	v_mov_b64_e32 v[22:23], v[12:13]
	v_mov_b64_e32 v[18:19], v[12:13]
	;; [unrolled: 1-line block ×5, first 2 shown]
.LBB123_17:                             ; =>This Inner Loop Header: Depth=1
	v_ashrrev_i32_e32 v17, 31, v16
	v_add_u32_e32 v26, -11, v24
	v_add_u32_e32 v28, -7, v24
	;; [unrolled: 1-line block ×3, first 2 shown]
	v_mov_b32_e32 v29, v27
	v_mov_b32_e32 v31, v27
	v_lshl_add_u64 v[54:55], v[16:17], 2, s[6:7]
	v_lshl_add_u64 v[56:57], v[26:27], 4, s[8:9]
	;; [unrolled: 1-line block ×4, first 2 shown]
	global_load_dword v17, v[54:55], off
	global_load_dwordx4 v[28:31], v[56:57], off offset:48
	global_load_dwordx4 v[34:37], v[56:57], off offset:32
	;; [unrolled: 1-line block ×3, first 2 shown]
	global_load_dwordx4 v[42:45], v[56:57], off
	global_load_dwordx4 v[46:49], v[58:59], off
	;; [unrolled: 1-line block ×3, first 2 shown]
	v_add_u32_e32 v26, -6, v24
	v_mov_b32_e32 v63, v27
	v_lshl_add_u64 v[64:65], v[26:27], 4, s[8:9]
	v_add_u32_e32 v26, -2, v24
	v_lshl_add_u64 v[66:67], v[26:27], 4, s[8:9]
	global_load_dwordx4 v[54:57], v[64:65], off
	global_load_dwordx4 v[58:61], v[66:67], off
	v_add_u32_e32 v26, -5, v24
	v_lshl_add_u64 v[76:77], v[26:27], 4, s[8:9]
	v_add_u32_e32 v26, -1, v24
	v_mov_b32_e32 v25, v27
	v_lshl_add_u64 v[78:79], v[26:27], 4, s[8:9]
	v_add_u32_e32 v26, -4, v24
	v_lshl_add_u64 v[74:75], v[24:25], 4, s[8:9]
	v_add_u32_e32 v16, 16, v16
	v_cmp_ge_i32_e32 vcc, v16, v32
	s_or_b64 s[0:1], vcc, s[0:1]
	v_add_u32_e32 v24, 0xc0, v24
	s_waitcnt vmcnt(8)
	v_subrev_u32_e32 v17, s16, v17
	v_lshlrev_b32_e32 v62, 2, v17
	v_lshl_add_u64 v[80:81], v[62:63], 4, s[10:11]
	global_load_dwordx4 v[62:65], v[80:81], off
	global_load_dwordx4 v[66:69], v[80:81], off offset:16
	s_waitcnt vmcnt(1)
	v_fmac_f64_e32 v[22:23], v[42:43], v[62:63]
	v_fmac_f64_e32 v[12:13], v[44:45], v[62:63]
	;; [unrolled: 1-line block ×3, first 2 shown]
	v_fma_f64 v[22:23], -v[44:45], v[64:65], v[22:23]
	v_fmac_f64_e32 v[12:13], v[42:43], v[64:65]
	global_load_dwordx4 v[42:45], v[76:77], off
	global_load_dwordx4 v[70:73], v[78:79], off
	v_fmac_f64_e32 v[14:15], v[48:49], v[62:63]
	v_fma_f64 v[76:77], -v[48:49], v[64:65], v[20:21]
	v_lshl_add_u64 v[20:21], v[26:27], 4, s[8:9]
	v_fmac_f64_e32 v[18:19], v[50:51], v[62:63]
	v_fmac_f64_e32 v[10:11], v[52:53], v[62:63]
	;; [unrolled: 1-line block ×3, first 2 shown]
	global_load_dwordx4 v[46:49], v[20:21], off
	v_fma_f64 v[78:79], -v[52:53], v[64:65], v[18:19]
	v_fmac_f64_e32 v[10:11], v[50:51], v[64:65]
	global_load_dwordx4 v[50:53], v[74:75], off
	global_load_dwordx4 v[18:21], v[80:81], off offset:32
	global_load_dwordx4 v[62:65], v[80:81], off offset:48
	s_waitcnt vmcnt(6)
	v_fmac_f64_e32 v[22:23], v[38:39], v[66:67]
	v_fmac_f64_e32 v[12:13], v[40:41], v[66:67]
	v_fmac_f64_e32 v[76:77], v[54:55], v[66:67]
	v_fmac_f64_e32 v[14:15], v[56:57], v[66:67]
	v_fmac_f64_e32 v[78:79], v[58:59], v[66:67]
	v_fmac_f64_e32 v[10:11], v[60:61], v[66:67]
	v_fma_f64 v[22:23], -v[40:41], v[68:69], v[22:23]
	v_fmac_f64_e32 v[12:13], v[38:39], v[68:69]
	v_fma_f64 v[38:39], -v[56:57], v[68:69], v[76:77]
	v_fmac_f64_e32 v[14:15], v[54:55], v[68:69]
	v_fma_f64 v[40:41], -v[60:61], v[68:69], v[78:79]
	v_fmac_f64_e32 v[10:11], v[58:59], v[68:69]
	s_waitcnt vmcnt(1)
	v_fmac_f64_e32 v[22:23], v[34:35], v[18:19]
	v_fmac_f64_e32 v[12:13], v[36:37], v[18:19]
	v_fmac_f64_e32 v[38:39], v[42:43], v[18:19]
	v_fmac_f64_e32 v[14:15], v[44:45], v[18:19]
	v_fmac_f64_e32 v[40:41], v[70:71], v[18:19]
	v_fmac_f64_e32 v[10:11], v[72:73], v[18:19]
	v_fma_f64 v[18:19], -v[36:37], v[20:21], v[22:23]
	v_fmac_f64_e32 v[12:13], v[34:35], v[20:21]
	v_fma_f64 v[34:35], -v[44:45], v[20:21], v[38:39]
	v_fmac_f64_e32 v[14:15], v[42:43], v[20:21]
	v_fma_f64 v[36:37], -v[72:73], v[20:21], v[40:41]
	v_fmac_f64_e32 v[10:11], v[70:71], v[20:21]
	;; [unrolled: 13-line block ×3, first 2 shown]
	s_andn2_b64 exec, exec, s[0:1]
	s_cbranch_execnz .LBB123_17
; %bb.18:
	s_or_b64 exec, exec, s[0:1]
.LBB123_19:
	s_or_b64 exec, exec, s[4:5]
.LBB123_20:
	v_mov_b32_dpp v26, v20 row_shr:1 row_mask:0xf bank_mask:0xf
	v_mov_b32_dpp v27, v21 row_shr:1 row_mask:0xf bank_mask:0xf
	v_add_f64 v[20:21], v[20:21], v[26:27]
	v_mov_b32_dpp v16, v22 row_shr:1 row_mask:0xf bank_mask:0xf
	v_mov_b32_dpp v17, v23 row_shr:1 row_mask:0xf bank_mask:0xf
	v_mov_b32_dpp v26, v20 row_shr:2 row_mask:0xf bank_mask:0xf
	v_mov_b32_dpp v27, v21 row_shr:2 row_mask:0xf bank_mask:0xf
	v_add_f64 v[20:21], v[20:21], v[26:27]
	v_mov_b32_dpp v24, v12 row_shr:1 row_mask:0xf bank_mask:0xf
	v_mov_b32_dpp v25, v13 row_shr:1 row_mask:0xf bank_mask:0xf
	;; [unrolled: 5-line block ×3, first 2 shown]
	v_add_f64 v[14:15], v[14:15], v[20:21]
	v_add_f64 v[16:17], v[22:23], v[16:17]
	;; [unrolled: 1-line block ×3, first 2 shown]
	v_mov_b32_dpp v20, v14 row_shr:2 row_mask:0xf bank_mask:0xf
	v_mov_b32_dpp v21, v15 row_shr:2 row_mask:0xf bank_mask:0xf
	v_add_f64 v[14:15], v[14:15], v[20:21]
	v_mov_b32_dpp v22, v16 row_shr:2 row_mask:0xf bank_mask:0xf
	v_mov_b32_dpp v23, v17 row_shr:2 row_mask:0xf bank_mask:0xf
	;; [unrolled: 1-line block ×4, first 2 shown]
	v_add_f64 v[14:15], v[14:15], v[20:21]
	v_mov_b32_dpp v20, v18 row_shr:1 row_mask:0xf bank_mask:0xf
	v_mov_b32_dpp v21, v19 row_shr:1 row_mask:0xf bank_mask:0xf
	v_add_f64 v[18:19], v[18:19], v[20:21]
	v_mov_b32_dpp v24, v12 row_shr:2 row_mask:0xf bank_mask:0xf
	v_mov_b32_dpp v25, v13 row_shr:2 row_mask:0xf bank_mask:0xf
	;; [unrolled: 1-line block ×4, first 2 shown]
	v_add_f64 v[18:19], v[18:19], v[20:21]
	v_add_f64 v[16:17], v[16:17], v[22:23]
	;; [unrolled: 1-line block ×3, first 2 shown]
	v_mov_b32_dpp v20, v18 row_shr:4 row_mask:0xf bank_mask:0xe
	v_mov_b32_dpp v21, v19 row_shr:4 row_mask:0xf bank_mask:0xe
	v_add_f64 v[32:33], v[18:19], v[20:21]
	v_mov_b32_dpp v18, v10 row_shr:1 row_mask:0xf bank_mask:0xf
	v_mov_b32_dpp v19, v11 row_shr:1 row_mask:0xf bank_mask:0xf
	v_add_f64 v[10:11], v[10:11], v[18:19]
	v_mov_b32_dpp v22, v16 row_shr:4 row_mask:0xf bank_mask:0xe
	v_mov_b32_dpp v23, v17 row_shr:4 row_mask:0xf bank_mask:0xe
	;; [unrolled: 1-line block ×4, first 2 shown]
	v_add_f64 v[10:11], v[10:11], v[18:19]
	v_mov_b32_dpp v24, v12 row_shr:4 row_mask:0xf bank_mask:0xe
	v_mov_b32_dpp v25, v13 row_shr:4 row_mask:0xf bank_mask:0xe
	v_mov_b32_dpp v18, v10 row_shr:4 row_mask:0xf bank_mask:0xe
	v_mov_b32_dpp v19, v11 row_shr:4 row_mask:0xf bank_mask:0xe
	v_add_f64 v[16:17], v[16:17], v[22:23]
	v_add_f64 v[12:13], v[12:13], v[24:25]
	;; [unrolled: 1-line block ×3, first 2 shown]
	v_mov_b32_dpp v22, v16 row_shr:8 row_mask:0xf bank_mask:0xc
	v_mov_b32_dpp v23, v17 row_shr:8 row_mask:0xf bank_mask:0xc
	;; [unrolled: 1-line block ×12, first 2 shown]
	v_cmp_eq_u32_e32 vcc, 15, v9
	s_and_b64 exec, exec, vcc
	s_cbranch_execz .LBB123_25
; %bb.21:
	s_load_dwordx2 s[2:3], s[2:3], 0x48
	v_cmp_eq_f64_e32 vcc, 0, v[4:5]
	v_cmp_eq_f64_e64 s[0:1], 0, v[6:7]
	v_add_f64 v[16:17], v[16:17], v[22:23]
	v_add_f64 v[20:21], v[12:13], v[24:25]
	;; [unrolled: 1-line block ×6, first 2 shown]
	s_and_b64 s[0:1], vcc, s[0:1]
	s_and_saveexec_b64 s[4:5], s[0:1]
	s_xor_b64 s[0:1], exec, s[4:5]
	s_cbranch_execz .LBB123_23
; %bb.22:
	v_lshl_add_u32 v8, v8, 1, v8
	v_mul_f64 v[4:5], v[20:21], -v[2:3]
	v_mul_f64 v[6:7], v[0:1], v[20:21]
	v_ashrrev_i32_e32 v9, 31, v8
	v_fmac_f64_e32 v[4:5], v[0:1], v[16:17]
	v_fmac_f64_e32 v[6:7], v[2:3], v[16:17]
	s_waitcnt lgkmcnt(0)
	v_lshl_add_u64 v[8:9], v[8:9], 4, s[2:3]
	global_store_dwordx4 v[8:9], v[4:7], off
                                        ; implicit-def: $vgpr16_vgpr17
                                        ; implicit-def: $vgpr20_vgpr21
	s_nop 1
	v_mul_f64 v[4:5], v[18:19], -v[2:3]
	v_mul_f64 v[6:7], v[0:1], v[18:19]
	v_fmac_f64_e32 v[4:5], v[0:1], v[12:13]
	v_fmac_f64_e32 v[6:7], v[2:3], v[12:13]
	global_store_dwordx4 v[8:9], v[4:7], off offset:16
                                        ; implicit-def: $vgpr12_vgpr13
                                        ; implicit-def: $vgpr18_vgpr19
	s_nop 1
	v_mul_f64 v[4:5], v[14:15], -v[2:3]
	v_mul_f64 v[6:7], v[0:1], v[14:15]
	v_fmac_f64_e32 v[4:5], v[0:1], v[10:11]
	v_fmac_f64_e32 v[6:7], v[2:3], v[10:11]
	global_store_dwordx4 v[8:9], v[4:7], off offset:32
                                        ; implicit-def: $vgpr0_vgpr1
                                        ; implicit-def: $vgpr2_vgpr3
                                        ; implicit-def: $vgpr4_vgpr5
                                        ; implicit-def: $vgpr6_vgpr7
                                        ; implicit-def: $vgpr8
                                        ; implicit-def: $vgpr10_vgpr11
                                        ; implicit-def: $vgpr14_vgpr15
.LBB123_23:
	s_andn2_saveexec_b64 s[0:1], s[0:1]
	s_cbranch_execz .LBB123_25
; %bb.24:
	v_lshl_add_u32 v8, v8, 1, v8
	v_ashrrev_i32_e32 v9, 31, v8
	s_waitcnt lgkmcnt(0)
	v_lshl_add_u64 v[38:39], v[8:9], 4, s[2:3]
	global_load_dwordx4 v[22:25], v[38:39], off
	global_load_dwordx4 v[26:29], v[38:39], off offset:16
	global_load_dwordx4 v[30:33], v[38:39], off offset:32
	v_mul_f64 v[34:35], v[20:21], -v[2:3]
	v_mul_f64 v[20:21], v[0:1], v[20:21]
	v_mul_f64 v[40:41], v[18:19], -v[2:3]
	v_mul_f64 v[36:37], v[0:1], v[18:19]
	;; [unrolled: 2-line block ×3, first 2 shown]
	v_fmac_f64_e32 v[34:35], v[0:1], v[16:17]
	v_fmac_f64_e32 v[20:21], v[2:3], v[16:17]
	;; [unrolled: 1-line block ×6, first 2 shown]
	s_waitcnt vmcnt(2)
	v_fmac_f64_e32 v[34:35], v[4:5], v[22:23]
	v_fmac_f64_e32 v[20:21], v[6:7], v[22:23]
	s_waitcnt vmcnt(1)
	v_fmac_f64_e32 v[40:41], v[4:5], v[26:27]
	v_fmac_f64_e32 v[36:37], v[6:7], v[26:27]
	;; [unrolled: 3-line block ×3, first 2 shown]
	v_fma_f64 v[18:19], -v[6:7], v[24:25], v[34:35]
	v_fmac_f64_e32 v[20:21], v[4:5], v[24:25]
	v_fma_f64 v[34:35], -v[6:7], v[28:29], v[40:41]
	v_fmac_f64_e32 v[36:37], v[4:5], v[28:29]
	;; [unrolled: 2-line block ×3, first 2 shown]
	global_store_dwordx4 v[38:39], v[18:21], off
	global_store_dwordx4 v[38:39], v[34:37], off offset:16
	global_store_dwordx4 v[38:39], v[6:9], off offset:32
.LBB123_25:
	s_endpgm
	.section	.rodata,"a",@progbits
	.p2align	6, 0x0
	.amdhsa_kernel _ZN9rocsparseL19gebsrmvn_3xn_kernelILj128ELj4ELj16E21rocsparse_complex_numIdEEEvi20rocsparse_direction_NS_24const_host_device_scalarIT2_EEPKiS8_PKS5_SA_S6_PS5_21rocsparse_index_base_b
		.amdhsa_group_segment_fixed_size 2048
		.amdhsa_private_segment_fixed_size 0
		.amdhsa_kernarg_size 88
		.amdhsa_user_sgpr_count 4
		.amdhsa_user_sgpr_dispatch_ptr 1
		.amdhsa_user_sgpr_queue_ptr 0
		.amdhsa_user_sgpr_kernarg_segment_ptr 1
		.amdhsa_user_sgpr_dispatch_id 0
		.amdhsa_user_sgpr_kernarg_preload_length 0
		.amdhsa_user_sgpr_kernarg_preload_offset 0
		.amdhsa_user_sgpr_private_segment_size 0
		.amdhsa_uses_dynamic_stack 0
		.amdhsa_enable_private_segment 0
		.amdhsa_system_sgpr_workgroup_id_x 1
		.amdhsa_system_sgpr_workgroup_id_y 0
		.amdhsa_system_sgpr_workgroup_id_z 0
		.amdhsa_system_sgpr_workgroup_info 0
		.amdhsa_system_vgpr_workitem_id 2
		.amdhsa_next_free_vgpr 90
		.amdhsa_next_free_sgpr 20
		.amdhsa_accum_offset 92
		.amdhsa_reserve_vcc 1
		.amdhsa_float_round_mode_32 0
		.amdhsa_float_round_mode_16_64 0
		.amdhsa_float_denorm_mode_32 3
		.amdhsa_float_denorm_mode_16_64 3
		.amdhsa_dx10_clamp 1
		.amdhsa_ieee_mode 1
		.amdhsa_fp16_overflow 0
		.amdhsa_tg_split 0
		.amdhsa_exception_fp_ieee_invalid_op 0
		.amdhsa_exception_fp_denorm_src 0
		.amdhsa_exception_fp_ieee_div_zero 0
		.amdhsa_exception_fp_ieee_overflow 0
		.amdhsa_exception_fp_ieee_underflow 0
		.amdhsa_exception_fp_ieee_inexact 0
		.amdhsa_exception_int_div_zero 0
	.end_amdhsa_kernel
	.section	.text._ZN9rocsparseL19gebsrmvn_3xn_kernelILj128ELj4ELj16E21rocsparse_complex_numIdEEEvi20rocsparse_direction_NS_24const_host_device_scalarIT2_EEPKiS8_PKS5_SA_S6_PS5_21rocsparse_index_base_b,"axG",@progbits,_ZN9rocsparseL19gebsrmvn_3xn_kernelILj128ELj4ELj16E21rocsparse_complex_numIdEEEvi20rocsparse_direction_NS_24const_host_device_scalarIT2_EEPKiS8_PKS5_SA_S6_PS5_21rocsparse_index_base_b,comdat
.Lfunc_end123:
	.size	_ZN9rocsparseL19gebsrmvn_3xn_kernelILj128ELj4ELj16E21rocsparse_complex_numIdEEEvi20rocsparse_direction_NS_24const_host_device_scalarIT2_EEPKiS8_PKS5_SA_S6_PS5_21rocsparse_index_base_b, .Lfunc_end123-_ZN9rocsparseL19gebsrmvn_3xn_kernelILj128ELj4ELj16E21rocsparse_complex_numIdEEEvi20rocsparse_direction_NS_24const_host_device_scalarIT2_EEPKiS8_PKS5_SA_S6_PS5_21rocsparse_index_base_b
                                        ; -- End function
	.section	.AMDGPU.csdata,"",@progbits
; Kernel info:
; codeLenInByte = 2708
; NumSgprs: 26
; NumVgprs: 90
; NumAgprs: 0
; TotalNumVgprs: 90
; ScratchSize: 0
; MemoryBound: 0
; FloatMode: 240
; IeeeMode: 1
; LDSByteSize: 2048 bytes/workgroup (compile time only)
; SGPRBlocks: 3
; VGPRBlocks: 11
; NumSGPRsForWavesPerEU: 26
; NumVGPRsForWavesPerEU: 90
; AccumOffset: 92
; Occupancy: 5
; WaveLimiterHint : 1
; COMPUTE_PGM_RSRC2:SCRATCH_EN: 0
; COMPUTE_PGM_RSRC2:USER_SGPR: 4
; COMPUTE_PGM_RSRC2:TRAP_HANDLER: 0
; COMPUTE_PGM_RSRC2:TGID_X_EN: 1
; COMPUTE_PGM_RSRC2:TGID_Y_EN: 0
; COMPUTE_PGM_RSRC2:TGID_Z_EN: 0
; COMPUTE_PGM_RSRC2:TIDIG_COMP_CNT: 2
; COMPUTE_PGM_RSRC3_GFX90A:ACCUM_OFFSET: 22
; COMPUTE_PGM_RSRC3_GFX90A:TG_SPLIT: 0
	.section	.text._ZN9rocsparseL19gebsrmvn_3xn_kernelILj128ELj4ELj32E21rocsparse_complex_numIdEEEvi20rocsparse_direction_NS_24const_host_device_scalarIT2_EEPKiS8_PKS5_SA_S6_PS5_21rocsparse_index_base_b,"axG",@progbits,_ZN9rocsparseL19gebsrmvn_3xn_kernelILj128ELj4ELj32E21rocsparse_complex_numIdEEEvi20rocsparse_direction_NS_24const_host_device_scalarIT2_EEPKiS8_PKS5_SA_S6_PS5_21rocsparse_index_base_b,comdat
	.globl	_ZN9rocsparseL19gebsrmvn_3xn_kernelILj128ELj4ELj32E21rocsparse_complex_numIdEEEvi20rocsparse_direction_NS_24const_host_device_scalarIT2_EEPKiS8_PKS5_SA_S6_PS5_21rocsparse_index_base_b ; -- Begin function _ZN9rocsparseL19gebsrmvn_3xn_kernelILj128ELj4ELj32E21rocsparse_complex_numIdEEEvi20rocsparse_direction_NS_24const_host_device_scalarIT2_EEPKiS8_PKS5_SA_S6_PS5_21rocsparse_index_base_b
	.p2align	8
	.type	_ZN9rocsparseL19gebsrmvn_3xn_kernelILj128ELj4ELj32E21rocsparse_complex_numIdEEEvi20rocsparse_direction_NS_24const_host_device_scalarIT2_EEPKiS8_PKS5_SA_S6_PS5_21rocsparse_index_base_b,@function
_ZN9rocsparseL19gebsrmvn_3xn_kernelILj128ELj4ELj32E21rocsparse_complex_numIdEEEvi20rocsparse_direction_NS_24const_host_device_scalarIT2_EEPKiS8_PKS5_SA_S6_PS5_21rocsparse_index_base_b: ; @_ZN9rocsparseL19gebsrmvn_3xn_kernelILj128ELj4ELj32E21rocsparse_complex_numIdEEEvi20rocsparse_direction_NS_24const_host_device_scalarIT2_EEPKiS8_PKS5_SA_S6_PS5_21rocsparse_index_base_b
; %bb.0:
	s_load_dwordx2 s[16:17], s[2:3], 0x50
	s_load_dwordx4 s[12:15], s[2:3], 0x8
	s_load_dwordx4 s[8:11], s[2:3], 0x38
	s_load_dwordx2 s[18:19], s[0:1], 0x4
	s_mov_b64 s[6:7], src_shared_base
	s_waitcnt lgkmcnt(0)
	s_bitcmp1_b32 s17, 0
	s_cselect_b64 s[0:1], -1, 0
	s_and_b64 vcc, s[0:1], exec
	s_cselect_b32 s5, s7, s13
	s_lshr_b32 s6, s18, 16
	v_bfe_u32 v1, v0, 10, 10
	v_and_b32_e32 v10, 0x3ff, v0
	s_mul_i32 s6, s6, s19
	v_mul_u32_u24_e32 v1, s19, v1
	v_mad_u32_u24 v1, s6, v10, v1
	v_bfe_u32 v0, v0, 20, 10
	v_add_lshl_u32 v4, v1, v0, 3
	v_mov_b32_e32 v5, s12
	v_add_u32_e32 v6, 0x400, v4
	v_mov_b64_e32 v[0:1], s[12:13]
	v_mov_b64_e32 v[2:3], s[8:9]
	ds_write2st64_b64 v4, v[2:3], v[0:1] offset1:2
	v_cndmask_b32_e64 v0, v5, v6, s[0:1]
	v_mov_b32_e32 v1, s5
	flat_load_dwordx2 v[0:1], v[0:1]
	s_xor_b64 s[18:19], s[0:1], -1
	v_mov_b64_e32 v[2:3], s[14:15]
	s_cbranch_vccnz .LBB124_2
; %bb.1:
	v_mov_b64_e32 v[2:3], s[12:13]
	flat_load_dwordx2 v[2:3], v[2:3] offset:8
.LBB124_2:
	s_and_b64 s[12:13], s[0:1], exec
	s_cselect_b32 s5, s7, s9
	v_mov_b32_e32 v5, s8
	v_cndmask_b32_e64 v4, v5, v4, s[0:1]
	v_mov_b32_e32 v5, s5
	flat_load_dwordx2 v[4:5], v[4:5]
	s_andn2_b64 vcc, exec, s[18:19]
	v_mov_b64_e32 v[6:7], s[10:11]
	s_cbranch_vccnz .LBB124_4
; %bb.3:
	v_mov_b64_e32 v[6:7], s[8:9]
	flat_load_dwordx2 v[6:7], v[6:7] offset:8
.LBB124_4:
	s_waitcnt vmcnt(0) lgkmcnt(0)
	v_cmp_eq_f64_e32 vcc, 0, v[0:1]
	v_cmp_eq_f64_e64 s[0:1], 0, v[2:3]
	s_and_b64 s[8:9], vcc, s[0:1]
	s_mov_b64 s[0:1], -1
	s_and_saveexec_b64 s[6:7], s[8:9]
; %bb.5:
	v_cmp_neq_f64_e32 vcc, 1.0, v[4:5]
	v_cmp_neq_f64_e64 s[0:1], 0, v[6:7]
	s_or_b64 s[0:1], vcc, s[0:1]
	s_orn2_b64 s[0:1], s[0:1], exec
; %bb.6:
	s_or_b64 exec, exec, s[6:7]
	s_and_saveexec_b64 s[6:7], s[0:1]
	s_cbranch_execz .LBB124_25
; %bb.7:
	s_load_dwordx2 s[0:1], s[2:3], 0x0
	v_lshrrev_b32_e32 v8, 5, v10
	v_lshl_or_b32 v8, s4, 2, v8
	s_waitcnt lgkmcnt(0)
	v_cmp_gt_i32_e32 vcc, s0, v8
	s_and_b64 exec, exec, vcc
	s_cbranch_execz .LBB124_25
; %bb.8:
	s_load_dwordx8 s[4:11], s[2:3], 0x18
	v_ashrrev_i32_e32 v9, 31, v8
	s_cmp_lg_u32 s1, 0
	s_waitcnt lgkmcnt(0)
	v_lshl_add_u64 v[12:13], v[8:9], 2, s[4:5]
	global_load_dwordx2 v[12:13], v[12:13], off
	v_and_b32_e32 v9, 31, v10
	s_waitcnt vmcnt(0)
	v_subrev_u32_e32 v10, s16, v12
	v_subrev_u32_e32 v32, s16, v13
	v_add_u32_e32 v16, v10, v9
	v_cmp_lt_i32_e64 s[0:1], v16, v32
	s_cbranch_scc0 .LBB124_14
; %bb.9:
	v_mov_b64_e32 v[14:15], 0
	s_mov_b64 s[4:5], 0
	v_mov_b64_e32 v[22:23], v[14:15]
	v_mov_b64_e32 v[18:19], v[14:15]
	;; [unrolled: 1-line block ×5, first 2 shown]
	s_and_saveexec_b64 s[12:13], s[0:1]
	s_cbranch_execz .LBB124_13
; %bb.10:
	v_mad_u64_u32 v[24:25], s[14:15], v16, 12, 11
	v_mov_b64_e32 v[14:15], 0
	s_mov_b64 s[14:15], 0
	v_mov_b32_e32 v27, 0
	v_mov_b32_e32 v28, v16
	v_mov_b64_e32 v[22:23], v[14:15]
	v_mov_b64_e32 v[18:19], v[14:15]
	;; [unrolled: 1-line block ×5, first 2 shown]
.LBB124_11:                             ; =>This Inner Loop Header: Depth=1
	v_ashrrev_i32_e32 v29, 31, v28
	v_add_u32_e32 v26, -11, v24
	v_lshl_add_u64 v[50:51], v[28:29], 2, s[6:7]
	v_lshl_add_u64 v[52:53], v[26:27], 4, s[8:9]
	global_load_dword v17, v[50:51], off
	global_load_dwordx4 v[34:37], v[52:53], off offset:48
	global_load_dwordx4 v[38:41], v[52:53], off offset:32
	global_load_dwordx4 v[42:45], v[52:53], off offset:16
	global_load_dwordx4 v[46:49], v[52:53], off
	v_add_u32_e32 v26, -7, v24
	v_lshl_add_u64 v[62:63], v[26:27], 4, s[8:9]
	v_add_u32_e32 v26, -6, v24
	v_lshl_add_u64 v[64:65], v[26:27], 4, s[8:9]
	;; [unrolled: 2-line block ×4, first 2 shown]
	v_add_u32_e32 v26, -3, v24
	v_mov_b32_e32 v31, v27
	v_mov_b32_e32 v25, v27
	v_lshl_add_u64 v[78:79], v[26:27], 4, s[8:9]
	v_add_u32_e32 v26, -2, v24
	v_lshl_add_u64 v[54:55], v[24:25], 4, s[8:9]
	v_lshl_add_u64 v[80:81], v[26:27], 4, s[8:9]
	global_load_dwordx4 v[50:53], v[54:55], off
	s_nop 0
	global_load_dwordx4 v[54:57], v[62:63], off
	global_load_dwordx4 v[58:61], v[64:65], off
	s_nop 0
	global_load_dwordx4 v[62:65], v[70:71], off
	global_load_dwordx4 v[66:69], v[72:73], off
	s_nop 0
	global_load_dwordx4 v[70:73], v[78:79], off
	global_load_dwordx4 v[74:77], v[80:81], off
	v_add_u32_e32 v26, -1, v24
	v_lshl_add_u64 v[86:87], v[26:27], 4, s[8:9]
	v_add_u32_e32 v28, 32, v28
	v_cmp_ge_i32_e32 vcc, v28, v32
	s_or_b64 s[14:15], vcc, s[14:15]
	v_add_u32_e32 v24, 0x180, v24
	s_waitcnt vmcnt(11)
	v_subrev_u32_e32 v17, s16, v17
	v_lshlrev_b32_e32 v30, 2, v17
	v_lshl_add_u64 v[30:31], v[30:31], 4, s[10:11]
	global_load_dwordx4 v[78:81], v[30:31], off
	global_load_dwordx4 v[82:85], v[30:31], off offset:16
	s_waitcnt vmcnt(1)
	v_fmac_f64_e32 v[22:23], v[46:47], v[78:79]
	v_fmac_f64_e32 v[14:15], v[48:49], v[78:79]
	v_fmac_f64_e32 v[20:21], v[42:43], v[78:79]
	v_fmac_f64_e32 v[12:13], v[44:45], v[78:79]
	v_fma_f64 v[88:89], -v[48:49], v[80:81], v[22:23]
	v_fmac_f64_e32 v[14:15], v[46:47], v[80:81]
	global_load_dwordx4 v[46:49], v[86:87], off
	v_fma_f64 v[86:87], -v[44:45], v[80:81], v[20:21]
	v_fmac_f64_e32 v[12:13], v[42:43], v[80:81]
	global_load_dwordx4 v[20:23], v[30:31], off offset:32
	global_load_dwordx4 v[42:45], v[30:31], off offset:48
	v_fmac_f64_e32 v[18:19], v[38:39], v[78:79]
	v_fmac_f64_e32 v[10:11], v[40:41], v[78:79]
	v_fma_f64 v[18:19], -v[40:41], v[80:81], v[18:19]
	v_fmac_f64_e32 v[10:11], v[38:39], v[80:81]
	s_waitcnt vmcnt(3)
	v_fmac_f64_e32 v[88:89], v[34:35], v[82:83]
	v_fmac_f64_e32 v[14:15], v[36:37], v[82:83]
	v_fmac_f64_e32 v[86:87], v[54:55], v[82:83]
	v_fmac_f64_e32 v[12:13], v[56:57], v[82:83]
	v_fmac_f64_e32 v[18:19], v[58:59], v[82:83]
	v_fmac_f64_e32 v[10:11], v[60:61], v[82:83]
	v_fma_f64 v[30:31], -v[36:37], v[84:85], v[88:89]
	v_fmac_f64_e32 v[14:15], v[34:35], v[84:85]
	v_fma_f64 v[34:35], -v[56:57], v[84:85], v[86:87]
	v_fmac_f64_e32 v[12:13], v[54:55], v[84:85]
	v_fma_f64 v[18:19], -v[60:61], v[84:85], v[18:19]
	v_fmac_f64_e32 v[10:11], v[58:59], v[84:85]
	s_waitcnt vmcnt(1)
	v_fmac_f64_e32 v[30:31], v[62:63], v[20:21]
	v_fmac_f64_e32 v[14:15], v[64:65], v[20:21]
	v_fmac_f64_e32 v[34:35], v[66:67], v[20:21]
	v_fmac_f64_e32 v[12:13], v[68:69], v[20:21]
	v_fmac_f64_e32 v[18:19], v[70:71], v[20:21]
	v_fmac_f64_e32 v[10:11], v[72:73], v[20:21]
	v_fma_f64 v[20:21], -v[64:65], v[22:23], v[30:31]
	v_fmac_f64_e32 v[14:15], v[62:63], v[22:23]
	v_fma_f64 v[30:31], -v[68:69], v[22:23], v[34:35]
	v_fmac_f64_e32 v[12:13], v[66:67], v[22:23]
	v_fma_f64 v[18:19], -v[72:73], v[22:23], v[18:19]
	v_fmac_f64_e32 v[10:11], v[70:71], v[22:23]
	s_waitcnt vmcnt(0)
	v_fmac_f64_e32 v[20:21], v[74:75], v[42:43]
	v_fmac_f64_e32 v[14:15], v[76:77], v[42:43]
	v_fmac_f64_e32 v[30:31], v[46:47], v[42:43]
	v_fmac_f64_e32 v[12:13], v[48:49], v[42:43]
	v_fmac_f64_e32 v[18:19], v[50:51], v[42:43]
	v_fmac_f64_e32 v[10:11], v[52:53], v[42:43]
	v_fma_f64 v[22:23], -v[76:77], v[44:45], v[20:21]
	v_fmac_f64_e32 v[14:15], v[74:75], v[44:45]
	v_fma_f64 v[20:21], -v[48:49], v[44:45], v[30:31]
	v_fmac_f64_e32 v[12:13], v[46:47], v[44:45]
	v_fma_f64 v[18:19], -v[52:53], v[44:45], v[18:19]
	v_fmac_f64_e32 v[10:11], v[50:51], v[44:45]
	s_andn2_b64 exec, exec, s[14:15]
	s_cbranch_execnz .LBB124_11
; %bb.12:
	s_or_b64 exec, exec, s[14:15]
.LBB124_13:
	s_or_b64 exec, exec, s[12:13]
	s_andn2_b64 vcc, exec, s[4:5]
	s_cbranch_vccz .LBB124_15
	s_branch .LBB124_20
.LBB124_14:
                                        ; implicit-def: $vgpr14_vgpr15
                                        ; implicit-def: $vgpr22_vgpr23
                                        ; implicit-def: $vgpr18_vgpr19
                                        ; implicit-def: $vgpr10_vgpr11
                                        ; implicit-def: $vgpr20_vgpr21
                                        ; implicit-def: $vgpr12_vgpr13
.LBB124_15:
	v_mov_b64_e32 v[14:15], 0
	v_mov_b64_e32 v[22:23], v[14:15]
	;; [unrolled: 1-line block ×6, first 2 shown]
	s_and_saveexec_b64 s[4:5], s[0:1]
	s_cbranch_execz .LBB124_19
; %bb.16:
	v_mad_u64_u32 v[24:25], s[0:1], v16, 12, 11
	v_mov_b64_e32 v[14:15], 0
	s_mov_b64 s[0:1], 0
	v_mov_b32_e32 v27, 0
	v_mov_b64_e32 v[22:23], v[14:15]
	v_mov_b64_e32 v[18:19], v[14:15]
	;; [unrolled: 1-line block ×5, first 2 shown]
.LBB124_17:                             ; =>This Inner Loop Header: Depth=1
	v_ashrrev_i32_e32 v17, 31, v16
	v_add_u32_e32 v26, -11, v24
	v_add_u32_e32 v28, -7, v24
	;; [unrolled: 1-line block ×3, first 2 shown]
	v_mov_b32_e32 v29, v27
	v_mov_b32_e32 v31, v27
	v_lshl_add_u64 v[54:55], v[16:17], 2, s[6:7]
	v_lshl_add_u64 v[56:57], v[26:27], 4, s[8:9]
	v_lshl_add_u64 v[58:59], v[28:29], 4, s[8:9]
	v_lshl_add_u64 v[60:61], v[30:31], 4, s[8:9]
	global_load_dword v17, v[54:55], off
	global_load_dwordx4 v[28:31], v[56:57], off offset:48
	global_load_dwordx4 v[34:37], v[56:57], off offset:32
	global_load_dwordx4 v[38:41], v[56:57], off offset:16
	global_load_dwordx4 v[42:45], v[56:57], off
	global_load_dwordx4 v[46:49], v[58:59], off
	;; [unrolled: 1-line block ×3, first 2 shown]
	v_add_u32_e32 v26, -6, v24
	v_mov_b32_e32 v63, v27
	v_lshl_add_u64 v[64:65], v[26:27], 4, s[8:9]
	v_add_u32_e32 v26, -2, v24
	v_lshl_add_u64 v[66:67], v[26:27], 4, s[8:9]
	global_load_dwordx4 v[54:57], v[64:65], off
	global_load_dwordx4 v[58:61], v[66:67], off
	v_add_u32_e32 v26, -5, v24
	v_lshl_add_u64 v[76:77], v[26:27], 4, s[8:9]
	v_add_u32_e32 v26, -1, v24
	v_mov_b32_e32 v25, v27
	v_lshl_add_u64 v[78:79], v[26:27], 4, s[8:9]
	v_add_u32_e32 v26, -4, v24
	v_lshl_add_u64 v[74:75], v[24:25], 4, s[8:9]
	v_add_u32_e32 v16, 32, v16
	v_cmp_ge_i32_e32 vcc, v16, v32
	s_or_b64 s[0:1], vcc, s[0:1]
	v_add_u32_e32 v24, 0x180, v24
	s_waitcnt vmcnt(8)
	v_subrev_u32_e32 v17, s16, v17
	v_lshlrev_b32_e32 v62, 2, v17
	v_lshl_add_u64 v[80:81], v[62:63], 4, s[10:11]
	global_load_dwordx4 v[62:65], v[80:81], off
	global_load_dwordx4 v[66:69], v[80:81], off offset:16
	s_waitcnt vmcnt(1)
	v_fmac_f64_e32 v[22:23], v[42:43], v[62:63]
	v_fmac_f64_e32 v[14:15], v[44:45], v[62:63]
	;; [unrolled: 1-line block ×3, first 2 shown]
	v_fma_f64 v[22:23], -v[44:45], v[64:65], v[22:23]
	v_fmac_f64_e32 v[14:15], v[42:43], v[64:65]
	global_load_dwordx4 v[42:45], v[76:77], off
	global_load_dwordx4 v[70:73], v[78:79], off
	v_fmac_f64_e32 v[12:13], v[48:49], v[62:63]
	v_fma_f64 v[76:77], -v[48:49], v[64:65], v[20:21]
	v_lshl_add_u64 v[20:21], v[26:27], 4, s[8:9]
	v_fmac_f64_e32 v[18:19], v[50:51], v[62:63]
	v_fmac_f64_e32 v[10:11], v[52:53], v[62:63]
	;; [unrolled: 1-line block ×3, first 2 shown]
	global_load_dwordx4 v[46:49], v[20:21], off
	v_fma_f64 v[78:79], -v[52:53], v[64:65], v[18:19]
	v_fmac_f64_e32 v[10:11], v[50:51], v[64:65]
	global_load_dwordx4 v[50:53], v[74:75], off
	global_load_dwordx4 v[18:21], v[80:81], off offset:32
	global_load_dwordx4 v[62:65], v[80:81], off offset:48
	s_waitcnt vmcnt(6)
	v_fmac_f64_e32 v[22:23], v[38:39], v[66:67]
	v_fmac_f64_e32 v[14:15], v[40:41], v[66:67]
	v_fmac_f64_e32 v[76:77], v[54:55], v[66:67]
	v_fmac_f64_e32 v[12:13], v[56:57], v[66:67]
	v_fmac_f64_e32 v[78:79], v[58:59], v[66:67]
	v_fmac_f64_e32 v[10:11], v[60:61], v[66:67]
	v_fma_f64 v[22:23], -v[40:41], v[68:69], v[22:23]
	v_fmac_f64_e32 v[14:15], v[38:39], v[68:69]
	v_fma_f64 v[38:39], -v[56:57], v[68:69], v[76:77]
	v_fmac_f64_e32 v[12:13], v[54:55], v[68:69]
	v_fma_f64 v[40:41], -v[60:61], v[68:69], v[78:79]
	v_fmac_f64_e32 v[10:11], v[58:59], v[68:69]
	s_waitcnt vmcnt(1)
	v_fmac_f64_e32 v[22:23], v[34:35], v[18:19]
	v_fmac_f64_e32 v[14:15], v[36:37], v[18:19]
	v_fmac_f64_e32 v[38:39], v[42:43], v[18:19]
	v_fmac_f64_e32 v[12:13], v[44:45], v[18:19]
	v_fmac_f64_e32 v[40:41], v[70:71], v[18:19]
	v_fmac_f64_e32 v[10:11], v[72:73], v[18:19]
	v_fma_f64 v[18:19], -v[36:37], v[20:21], v[22:23]
	v_fmac_f64_e32 v[14:15], v[34:35], v[20:21]
	v_fma_f64 v[34:35], -v[44:45], v[20:21], v[38:39]
	v_fmac_f64_e32 v[12:13], v[42:43], v[20:21]
	v_fma_f64 v[36:37], -v[72:73], v[20:21], v[40:41]
	v_fmac_f64_e32 v[10:11], v[70:71], v[20:21]
	;; [unrolled: 13-line block ×3, first 2 shown]
	s_andn2_b64 exec, exec, s[0:1]
	s_cbranch_execnz .LBB124_17
; %bb.18:
	s_or_b64 exec, exec, s[0:1]
.LBB124_19:
	s_or_b64 exec, exec, s[4:5]
.LBB124_20:
	v_mov_b32_dpp v26, v20 row_shr:1 row_mask:0xf bank_mask:0xf
	v_mov_b32_dpp v27, v21 row_shr:1 row_mask:0xf bank_mask:0xf
	v_add_f64 v[20:21], v[20:21], v[26:27]
	v_mov_b32_dpp v16, v22 row_shr:1 row_mask:0xf bank_mask:0xf
	v_mov_b32_dpp v17, v23 row_shr:1 row_mask:0xf bank_mask:0xf
	v_mov_b32_dpp v26, v20 row_shr:2 row_mask:0xf bank_mask:0xf
	v_mov_b32_dpp v27, v21 row_shr:2 row_mask:0xf bank_mask:0xf
	v_add_f64 v[20:21], v[20:21], v[26:27]
	v_mov_b32_dpp v24, v14 row_shr:1 row_mask:0xf bank_mask:0xf
	v_mov_b32_dpp v25, v15 row_shr:1 row_mask:0xf bank_mask:0xf
	v_mov_b32_dpp v26, v20 row_shr:4 row_mask:0xf bank_mask:0xe
	v_mov_b32_dpp v27, v21 row_shr:4 row_mask:0xf bank_mask:0xe
	v_add_f64 v[20:21], v[20:21], v[26:27]
	v_add_f64 v[16:17], v[22:23], v[16:17]
	v_add_f64 v[14:15], v[14:15], v[24:25]
	v_mov_b32_dpp v26, v20 row_shr:8 row_mask:0xf bank_mask:0xc
	v_mov_b32_dpp v27, v21 row_shr:8 row_mask:0xf bank_mask:0xc
	v_add_f64 v[26:27], v[20:21], v[26:27]
	v_mov_b32_dpp v20, v12 row_shr:1 row_mask:0xf bank_mask:0xf
	v_mov_b32_dpp v21, v13 row_shr:1 row_mask:0xf bank_mask:0xf
	v_add_f64 v[12:13], v[12:13], v[20:21]
	v_mov_b32_dpp v22, v16 row_shr:2 row_mask:0xf bank_mask:0xf
	v_mov_b32_dpp v23, v17 row_shr:2 row_mask:0xf bank_mask:0xf
	v_mov_b32_dpp v20, v12 row_shr:2 row_mask:0xf bank_mask:0xf
	v_mov_b32_dpp v21, v13 row_shr:2 row_mask:0xf bank_mask:0xf
	v_add_f64 v[12:13], v[12:13], v[20:21]
	v_mov_b32_dpp v24, v14 row_shr:2 row_mask:0xf bank_mask:0xf
	v_mov_b32_dpp v25, v15 row_shr:2 row_mask:0xf bank_mask:0xf
	v_mov_b32_dpp v20, v12 row_shr:4 row_mask:0xf bank_mask:0xe
	v_mov_b32_dpp v21, v13 row_shr:4 row_mask:0xf bank_mask:0xe
	v_add_f64 v[12:13], v[12:13], v[20:21]
	v_add_f64 v[16:17], v[16:17], v[22:23]
	v_add_f64 v[14:15], v[14:15], v[24:25]
	v_mov_b32_dpp v20, v12 row_shr:8 row_mask:0xf bank_mask:0xc
	v_mov_b32_dpp v21, v13 row_shr:8 row_mask:0xf bank_mask:0xc
	v_add_f64 v[30:31], v[12:13], v[20:21]
	;; [unrolled: 18-line block ×4, first 2 shown]
	v_mov_b32_dpp v22, v16 row_bcast:15 row_mask:0xa bank_mask:0xf
	v_mov_b32_dpp v23, v17 row_bcast:15 row_mask:0xa bank_mask:0xf
	;; [unrolled: 1-line block ×12, first 2 shown]
	v_cmp_eq_u32_e32 vcc, 31, v9
	s_and_b64 exec, exec, vcc
	s_cbranch_execz .LBB124_25
; %bb.21:
	s_load_dwordx2 s[2:3], s[2:3], 0x48
	v_cmp_eq_f64_e32 vcc, 0, v[4:5]
	v_cmp_eq_f64_e64 s[0:1], 0, v[6:7]
	v_add_f64 v[16:17], v[16:17], v[22:23]
	v_add_f64 v[20:21], v[14:15], v[24:25]
	;; [unrolled: 1-line block ×6, first 2 shown]
	s_and_b64 s[0:1], vcc, s[0:1]
	s_and_saveexec_b64 s[4:5], s[0:1]
	s_xor_b64 s[0:1], exec, s[4:5]
	s_cbranch_execz .LBB124_23
; %bb.22:
	v_lshl_add_u32 v8, v8, 1, v8
	v_mul_f64 v[4:5], v[20:21], -v[2:3]
	v_mul_f64 v[6:7], v[0:1], v[20:21]
	v_ashrrev_i32_e32 v9, 31, v8
	v_fmac_f64_e32 v[4:5], v[0:1], v[16:17]
	v_fmac_f64_e32 v[6:7], v[2:3], v[16:17]
	s_waitcnt lgkmcnt(0)
	v_lshl_add_u64 v[8:9], v[8:9], 4, s[2:3]
	global_store_dwordx4 v[8:9], v[4:7], off
                                        ; implicit-def: $vgpr16_vgpr17
                                        ; implicit-def: $vgpr20_vgpr21
	s_nop 1
	v_mul_f64 v[4:5], v[18:19], -v[2:3]
	v_mul_f64 v[6:7], v[0:1], v[18:19]
	v_fmac_f64_e32 v[4:5], v[0:1], v[12:13]
	v_fmac_f64_e32 v[6:7], v[2:3], v[12:13]
	global_store_dwordx4 v[8:9], v[4:7], off offset:16
                                        ; implicit-def: $vgpr12_vgpr13
                                        ; implicit-def: $vgpr18_vgpr19
	s_nop 1
	v_mul_f64 v[4:5], v[14:15], -v[2:3]
	v_mul_f64 v[6:7], v[0:1], v[14:15]
	v_fmac_f64_e32 v[4:5], v[0:1], v[10:11]
	v_fmac_f64_e32 v[6:7], v[2:3], v[10:11]
	global_store_dwordx4 v[8:9], v[4:7], off offset:32
                                        ; implicit-def: $vgpr0_vgpr1
                                        ; implicit-def: $vgpr2_vgpr3
                                        ; implicit-def: $vgpr4_vgpr5
                                        ; implicit-def: $vgpr6_vgpr7
                                        ; implicit-def: $vgpr8
                                        ; implicit-def: $vgpr10_vgpr11
                                        ; implicit-def: $vgpr14_vgpr15
.LBB124_23:
	s_andn2_saveexec_b64 s[0:1], s[0:1]
	s_cbranch_execz .LBB124_25
; %bb.24:
	v_lshl_add_u32 v8, v8, 1, v8
	v_ashrrev_i32_e32 v9, 31, v8
	s_waitcnt lgkmcnt(0)
	v_lshl_add_u64 v[38:39], v[8:9], 4, s[2:3]
	global_load_dwordx4 v[22:25], v[38:39], off
	global_load_dwordx4 v[26:29], v[38:39], off offset:16
	global_load_dwordx4 v[30:33], v[38:39], off offset:32
	v_mul_f64 v[34:35], v[20:21], -v[2:3]
	v_mul_f64 v[20:21], v[0:1], v[20:21]
	v_mul_f64 v[40:41], v[18:19], -v[2:3]
	v_mul_f64 v[36:37], v[0:1], v[18:19]
	;; [unrolled: 2-line block ×3, first 2 shown]
	v_fmac_f64_e32 v[34:35], v[0:1], v[16:17]
	v_fmac_f64_e32 v[20:21], v[2:3], v[16:17]
	;; [unrolled: 1-line block ×6, first 2 shown]
	s_waitcnt vmcnt(2)
	v_fmac_f64_e32 v[34:35], v[4:5], v[22:23]
	v_fmac_f64_e32 v[20:21], v[6:7], v[22:23]
	s_waitcnt vmcnt(1)
	v_fmac_f64_e32 v[40:41], v[4:5], v[26:27]
	v_fmac_f64_e32 v[36:37], v[6:7], v[26:27]
	;; [unrolled: 3-line block ×3, first 2 shown]
	v_fma_f64 v[18:19], -v[6:7], v[24:25], v[34:35]
	v_fmac_f64_e32 v[20:21], v[4:5], v[24:25]
	v_fma_f64 v[34:35], -v[6:7], v[28:29], v[40:41]
	v_fmac_f64_e32 v[36:37], v[4:5], v[28:29]
	;; [unrolled: 2-line block ×3, first 2 shown]
	global_store_dwordx4 v[38:39], v[18:21], off
	global_store_dwordx4 v[38:39], v[34:37], off offset:16
	global_store_dwordx4 v[38:39], v[6:9], off offset:32
.LBB124_25:
	s_endpgm
	.section	.rodata,"a",@progbits
	.p2align	6, 0x0
	.amdhsa_kernel _ZN9rocsparseL19gebsrmvn_3xn_kernelILj128ELj4ELj32E21rocsparse_complex_numIdEEEvi20rocsparse_direction_NS_24const_host_device_scalarIT2_EEPKiS8_PKS5_SA_S6_PS5_21rocsparse_index_base_b
		.amdhsa_group_segment_fixed_size 2048
		.amdhsa_private_segment_fixed_size 0
		.amdhsa_kernarg_size 88
		.amdhsa_user_sgpr_count 4
		.amdhsa_user_sgpr_dispatch_ptr 1
		.amdhsa_user_sgpr_queue_ptr 0
		.amdhsa_user_sgpr_kernarg_segment_ptr 1
		.amdhsa_user_sgpr_dispatch_id 0
		.amdhsa_user_sgpr_kernarg_preload_length 0
		.amdhsa_user_sgpr_kernarg_preload_offset 0
		.amdhsa_user_sgpr_private_segment_size 0
		.amdhsa_uses_dynamic_stack 0
		.amdhsa_enable_private_segment 0
		.amdhsa_system_sgpr_workgroup_id_x 1
		.amdhsa_system_sgpr_workgroup_id_y 0
		.amdhsa_system_sgpr_workgroup_id_z 0
		.amdhsa_system_sgpr_workgroup_info 0
		.amdhsa_system_vgpr_workitem_id 2
		.amdhsa_next_free_vgpr 90
		.amdhsa_next_free_sgpr 20
		.amdhsa_accum_offset 92
		.amdhsa_reserve_vcc 1
		.amdhsa_float_round_mode_32 0
		.amdhsa_float_round_mode_16_64 0
		.amdhsa_float_denorm_mode_32 3
		.amdhsa_float_denorm_mode_16_64 3
		.amdhsa_dx10_clamp 1
		.amdhsa_ieee_mode 1
		.amdhsa_fp16_overflow 0
		.amdhsa_tg_split 0
		.amdhsa_exception_fp_ieee_invalid_op 0
		.amdhsa_exception_fp_denorm_src 0
		.amdhsa_exception_fp_ieee_div_zero 0
		.amdhsa_exception_fp_ieee_overflow 0
		.amdhsa_exception_fp_ieee_underflow 0
		.amdhsa_exception_fp_ieee_inexact 0
		.amdhsa_exception_int_div_zero 0
	.end_amdhsa_kernel
	.section	.text._ZN9rocsparseL19gebsrmvn_3xn_kernelILj128ELj4ELj32E21rocsparse_complex_numIdEEEvi20rocsparse_direction_NS_24const_host_device_scalarIT2_EEPKiS8_PKS5_SA_S6_PS5_21rocsparse_index_base_b,"axG",@progbits,_ZN9rocsparseL19gebsrmvn_3xn_kernelILj128ELj4ELj32E21rocsparse_complex_numIdEEEvi20rocsparse_direction_NS_24const_host_device_scalarIT2_EEPKiS8_PKS5_SA_S6_PS5_21rocsparse_index_base_b,comdat
.Lfunc_end124:
	.size	_ZN9rocsparseL19gebsrmvn_3xn_kernelILj128ELj4ELj32E21rocsparse_complex_numIdEEEvi20rocsparse_direction_NS_24const_host_device_scalarIT2_EEPKiS8_PKS5_SA_S6_PS5_21rocsparse_index_base_b, .Lfunc_end124-_ZN9rocsparseL19gebsrmvn_3xn_kernelILj128ELj4ELj32E21rocsparse_complex_numIdEEEvi20rocsparse_direction_NS_24const_host_device_scalarIT2_EEPKiS8_PKS5_SA_S6_PS5_21rocsparse_index_base_b
                                        ; -- End function
	.section	.AMDGPU.csdata,"",@progbits
; Kernel info:
; codeLenInByte = 2852
; NumSgprs: 26
; NumVgprs: 90
; NumAgprs: 0
; TotalNumVgprs: 90
; ScratchSize: 0
; MemoryBound: 0
; FloatMode: 240
; IeeeMode: 1
; LDSByteSize: 2048 bytes/workgroup (compile time only)
; SGPRBlocks: 3
; VGPRBlocks: 11
; NumSGPRsForWavesPerEU: 26
; NumVGPRsForWavesPerEU: 90
; AccumOffset: 92
; Occupancy: 5
; WaveLimiterHint : 1
; COMPUTE_PGM_RSRC2:SCRATCH_EN: 0
; COMPUTE_PGM_RSRC2:USER_SGPR: 4
; COMPUTE_PGM_RSRC2:TRAP_HANDLER: 0
; COMPUTE_PGM_RSRC2:TGID_X_EN: 1
; COMPUTE_PGM_RSRC2:TGID_Y_EN: 0
; COMPUTE_PGM_RSRC2:TGID_Z_EN: 0
; COMPUTE_PGM_RSRC2:TIDIG_COMP_CNT: 2
; COMPUTE_PGM_RSRC3_GFX90A:ACCUM_OFFSET: 22
; COMPUTE_PGM_RSRC3_GFX90A:TG_SPLIT: 0
	.section	.text._ZN9rocsparseL19gebsrmvn_3xn_kernelILj128ELj4ELj64E21rocsparse_complex_numIdEEEvi20rocsparse_direction_NS_24const_host_device_scalarIT2_EEPKiS8_PKS5_SA_S6_PS5_21rocsparse_index_base_b,"axG",@progbits,_ZN9rocsparseL19gebsrmvn_3xn_kernelILj128ELj4ELj64E21rocsparse_complex_numIdEEEvi20rocsparse_direction_NS_24const_host_device_scalarIT2_EEPKiS8_PKS5_SA_S6_PS5_21rocsparse_index_base_b,comdat
	.globl	_ZN9rocsparseL19gebsrmvn_3xn_kernelILj128ELj4ELj64E21rocsparse_complex_numIdEEEvi20rocsparse_direction_NS_24const_host_device_scalarIT2_EEPKiS8_PKS5_SA_S6_PS5_21rocsparse_index_base_b ; -- Begin function _ZN9rocsparseL19gebsrmvn_3xn_kernelILj128ELj4ELj64E21rocsparse_complex_numIdEEEvi20rocsparse_direction_NS_24const_host_device_scalarIT2_EEPKiS8_PKS5_SA_S6_PS5_21rocsparse_index_base_b
	.p2align	8
	.type	_ZN9rocsparseL19gebsrmvn_3xn_kernelILj128ELj4ELj64E21rocsparse_complex_numIdEEEvi20rocsparse_direction_NS_24const_host_device_scalarIT2_EEPKiS8_PKS5_SA_S6_PS5_21rocsparse_index_base_b,@function
_ZN9rocsparseL19gebsrmvn_3xn_kernelILj128ELj4ELj64E21rocsparse_complex_numIdEEEvi20rocsparse_direction_NS_24const_host_device_scalarIT2_EEPKiS8_PKS5_SA_S6_PS5_21rocsparse_index_base_b: ; @_ZN9rocsparseL19gebsrmvn_3xn_kernelILj128ELj4ELj64E21rocsparse_complex_numIdEEEvi20rocsparse_direction_NS_24const_host_device_scalarIT2_EEPKiS8_PKS5_SA_S6_PS5_21rocsparse_index_base_b
; %bb.0:
	s_load_dwordx2 s[16:17], s[2:3], 0x50
	s_load_dwordx4 s[12:15], s[2:3], 0x8
	s_load_dwordx4 s[8:11], s[2:3], 0x38
	s_load_dwordx2 s[18:19], s[0:1], 0x4
	s_mov_b64 s[6:7], src_shared_base
	s_waitcnt lgkmcnt(0)
	s_bitcmp1_b32 s17, 0
	s_cselect_b64 s[0:1], -1, 0
	s_and_b64 vcc, s[0:1], exec
	s_cselect_b32 s5, s7, s13
	s_lshr_b32 s6, s18, 16
	v_bfe_u32 v1, v0, 10, 10
	v_and_b32_e32 v10, 0x3ff, v0
	s_mul_i32 s6, s6, s19
	v_mul_u32_u24_e32 v1, s19, v1
	v_mad_u32_u24 v1, s6, v10, v1
	v_bfe_u32 v0, v0, 20, 10
	v_add_lshl_u32 v4, v1, v0, 3
	v_mov_b32_e32 v5, s12
	v_add_u32_e32 v6, 0x400, v4
	v_mov_b64_e32 v[0:1], s[12:13]
	v_mov_b64_e32 v[2:3], s[8:9]
	ds_write2st64_b64 v4, v[2:3], v[0:1] offset1:2
	v_cndmask_b32_e64 v0, v5, v6, s[0:1]
	v_mov_b32_e32 v1, s5
	flat_load_dwordx2 v[0:1], v[0:1]
	s_xor_b64 s[18:19], s[0:1], -1
	v_mov_b64_e32 v[2:3], s[14:15]
	s_cbranch_vccnz .LBB125_2
; %bb.1:
	v_mov_b64_e32 v[2:3], s[12:13]
	flat_load_dwordx2 v[2:3], v[2:3] offset:8
.LBB125_2:
	s_and_b64 s[12:13], s[0:1], exec
	s_cselect_b32 s5, s7, s9
	v_mov_b32_e32 v5, s8
	v_cndmask_b32_e64 v4, v5, v4, s[0:1]
	v_mov_b32_e32 v5, s5
	flat_load_dwordx2 v[4:5], v[4:5]
	s_andn2_b64 vcc, exec, s[18:19]
	v_mov_b64_e32 v[6:7], s[10:11]
	s_cbranch_vccnz .LBB125_4
; %bb.3:
	v_mov_b64_e32 v[6:7], s[8:9]
	flat_load_dwordx2 v[6:7], v[6:7] offset:8
.LBB125_4:
	s_waitcnt vmcnt(0) lgkmcnt(0)
	v_cmp_eq_f64_e32 vcc, 0, v[0:1]
	v_cmp_eq_f64_e64 s[0:1], 0, v[2:3]
	s_and_b64 s[8:9], vcc, s[0:1]
	s_mov_b64 s[0:1], -1
	s_and_saveexec_b64 s[6:7], s[8:9]
; %bb.5:
	v_cmp_neq_f64_e32 vcc, 1.0, v[4:5]
	v_cmp_neq_f64_e64 s[0:1], 0, v[6:7]
	s_or_b64 s[0:1], vcc, s[0:1]
	s_orn2_b64 s[0:1], s[0:1], exec
; %bb.6:
	s_or_b64 exec, exec, s[6:7]
	s_and_saveexec_b64 s[6:7], s[0:1]
	s_cbranch_execz .LBB125_25
; %bb.7:
	s_load_dwordx2 s[0:1], s[2:3], 0x0
	v_lshrrev_b32_e32 v8, 6, v10
	v_lshl_or_b32 v8, s4, 1, v8
	s_waitcnt lgkmcnt(0)
	v_cmp_gt_i32_e32 vcc, s0, v8
	s_and_b64 exec, exec, vcc
	s_cbranch_execz .LBB125_25
; %bb.8:
	s_load_dwordx8 s[4:11], s[2:3], 0x18
	v_ashrrev_i32_e32 v9, 31, v8
	s_cmp_lg_u32 s1, 0
	s_waitcnt lgkmcnt(0)
	v_lshl_add_u64 v[12:13], v[8:9], 2, s[4:5]
	global_load_dwordx2 v[12:13], v[12:13], off
	v_and_b32_e32 v9, 63, v10
	s_waitcnt vmcnt(0)
	v_subrev_u32_e32 v10, s16, v12
	v_subrev_u32_e32 v32, s16, v13
	v_add_u32_e32 v16, v10, v9
	v_cmp_lt_i32_e64 s[0:1], v16, v32
	s_cbranch_scc0 .LBB125_14
; %bb.9:
	v_mov_b64_e32 v[14:15], 0
	s_mov_b64 s[4:5], 0
	v_mov_b64_e32 v[22:23], v[14:15]
	v_mov_b64_e32 v[18:19], v[14:15]
	v_mov_b64_e32 v[10:11], v[14:15]
	v_mov_b64_e32 v[20:21], v[14:15]
	v_mov_b64_e32 v[12:13], v[14:15]
	s_and_saveexec_b64 s[12:13], s[0:1]
	s_cbranch_execz .LBB125_13
; %bb.10:
	v_mad_u64_u32 v[24:25], s[14:15], v16, 12, 11
	v_mov_b64_e32 v[14:15], 0
	s_mov_b64 s[14:15], 0
	v_mov_b32_e32 v27, 0
	v_mov_b32_e32 v28, v16
	v_mov_b64_e32 v[22:23], v[14:15]
	v_mov_b64_e32 v[18:19], v[14:15]
	;; [unrolled: 1-line block ×5, first 2 shown]
.LBB125_11:                             ; =>This Inner Loop Header: Depth=1
	v_ashrrev_i32_e32 v29, 31, v28
	v_add_u32_e32 v26, -11, v24
	v_lshl_add_u64 v[50:51], v[28:29], 2, s[6:7]
	v_lshl_add_u64 v[52:53], v[26:27], 4, s[8:9]
	global_load_dword v17, v[50:51], off
	global_load_dwordx4 v[34:37], v[52:53], off offset:48
	global_load_dwordx4 v[38:41], v[52:53], off offset:32
	;; [unrolled: 1-line block ×3, first 2 shown]
	global_load_dwordx4 v[46:49], v[52:53], off
	v_add_u32_e32 v26, -7, v24
	v_lshl_add_u64 v[62:63], v[26:27], 4, s[8:9]
	v_add_u32_e32 v26, -6, v24
	v_lshl_add_u64 v[64:65], v[26:27], 4, s[8:9]
	;; [unrolled: 2-line block ×4, first 2 shown]
	v_add_u32_e32 v26, -3, v24
	v_mov_b32_e32 v31, v27
	v_mov_b32_e32 v25, v27
	v_lshl_add_u64 v[78:79], v[26:27], 4, s[8:9]
	v_add_u32_e32 v26, -2, v24
	v_lshl_add_u64 v[54:55], v[24:25], 4, s[8:9]
	v_lshl_add_u64 v[80:81], v[26:27], 4, s[8:9]
	global_load_dwordx4 v[50:53], v[54:55], off
	s_nop 0
	global_load_dwordx4 v[54:57], v[62:63], off
	global_load_dwordx4 v[58:61], v[64:65], off
	s_nop 0
	global_load_dwordx4 v[62:65], v[70:71], off
	;; [unrolled: 3-line block ×3, first 2 shown]
	global_load_dwordx4 v[74:77], v[80:81], off
	v_add_u32_e32 v26, -1, v24
	v_lshl_add_u64 v[86:87], v[26:27], 4, s[8:9]
	v_add_u32_e32 v28, 64, v28
	v_cmp_ge_i32_e32 vcc, v28, v32
	s_or_b64 s[14:15], vcc, s[14:15]
	v_add_u32_e32 v24, 0x300, v24
	s_waitcnt vmcnt(11)
	v_subrev_u32_e32 v17, s16, v17
	v_lshlrev_b32_e32 v30, 2, v17
	v_lshl_add_u64 v[30:31], v[30:31], 4, s[10:11]
	global_load_dwordx4 v[78:81], v[30:31], off
	global_load_dwordx4 v[82:85], v[30:31], off offset:16
	s_waitcnt vmcnt(1)
	v_fmac_f64_e32 v[22:23], v[46:47], v[78:79]
	v_fmac_f64_e32 v[14:15], v[48:49], v[78:79]
	;; [unrolled: 1-line block ×4, first 2 shown]
	v_fma_f64 v[88:89], -v[48:49], v[80:81], v[22:23]
	v_fmac_f64_e32 v[14:15], v[46:47], v[80:81]
	global_load_dwordx4 v[46:49], v[86:87], off
	v_fma_f64 v[86:87], -v[44:45], v[80:81], v[20:21]
	v_fmac_f64_e32 v[12:13], v[42:43], v[80:81]
	global_load_dwordx4 v[20:23], v[30:31], off offset:32
	global_load_dwordx4 v[42:45], v[30:31], off offset:48
	v_fmac_f64_e32 v[18:19], v[38:39], v[78:79]
	v_fmac_f64_e32 v[10:11], v[40:41], v[78:79]
	v_fma_f64 v[18:19], -v[40:41], v[80:81], v[18:19]
	v_fmac_f64_e32 v[10:11], v[38:39], v[80:81]
	s_waitcnt vmcnt(3)
	v_fmac_f64_e32 v[88:89], v[34:35], v[82:83]
	v_fmac_f64_e32 v[14:15], v[36:37], v[82:83]
	v_fmac_f64_e32 v[86:87], v[54:55], v[82:83]
	v_fmac_f64_e32 v[12:13], v[56:57], v[82:83]
	v_fmac_f64_e32 v[18:19], v[58:59], v[82:83]
	v_fmac_f64_e32 v[10:11], v[60:61], v[82:83]
	v_fma_f64 v[30:31], -v[36:37], v[84:85], v[88:89]
	v_fmac_f64_e32 v[14:15], v[34:35], v[84:85]
	v_fma_f64 v[34:35], -v[56:57], v[84:85], v[86:87]
	v_fmac_f64_e32 v[12:13], v[54:55], v[84:85]
	v_fma_f64 v[18:19], -v[60:61], v[84:85], v[18:19]
	v_fmac_f64_e32 v[10:11], v[58:59], v[84:85]
	s_waitcnt vmcnt(1)
	v_fmac_f64_e32 v[30:31], v[62:63], v[20:21]
	v_fmac_f64_e32 v[14:15], v[64:65], v[20:21]
	v_fmac_f64_e32 v[34:35], v[66:67], v[20:21]
	v_fmac_f64_e32 v[12:13], v[68:69], v[20:21]
	v_fmac_f64_e32 v[18:19], v[70:71], v[20:21]
	v_fmac_f64_e32 v[10:11], v[72:73], v[20:21]
	v_fma_f64 v[20:21], -v[64:65], v[22:23], v[30:31]
	v_fmac_f64_e32 v[14:15], v[62:63], v[22:23]
	v_fma_f64 v[30:31], -v[68:69], v[22:23], v[34:35]
	;; [unrolled: 13-line block ×3, first 2 shown]
	v_fmac_f64_e32 v[12:13], v[46:47], v[44:45]
	v_fma_f64 v[18:19], -v[52:53], v[44:45], v[18:19]
	v_fmac_f64_e32 v[10:11], v[50:51], v[44:45]
	s_andn2_b64 exec, exec, s[14:15]
	s_cbranch_execnz .LBB125_11
; %bb.12:
	s_or_b64 exec, exec, s[14:15]
.LBB125_13:
	s_or_b64 exec, exec, s[12:13]
	s_andn2_b64 vcc, exec, s[4:5]
	s_cbranch_vccz .LBB125_15
	s_branch .LBB125_20
.LBB125_14:
                                        ; implicit-def: $vgpr14_vgpr15
                                        ; implicit-def: $vgpr22_vgpr23
                                        ; implicit-def: $vgpr18_vgpr19
                                        ; implicit-def: $vgpr10_vgpr11
                                        ; implicit-def: $vgpr20_vgpr21
                                        ; implicit-def: $vgpr12_vgpr13
.LBB125_15:
	v_mov_b64_e32 v[14:15], 0
	v_mov_b64_e32 v[22:23], v[14:15]
	;; [unrolled: 1-line block ×6, first 2 shown]
	s_and_saveexec_b64 s[4:5], s[0:1]
	s_cbranch_execz .LBB125_19
; %bb.16:
	v_mad_u64_u32 v[24:25], s[0:1], v16, 12, 11
	v_mov_b64_e32 v[14:15], 0
	s_mov_b64 s[0:1], 0
	v_mov_b32_e32 v27, 0
	v_mov_b64_e32 v[22:23], v[14:15]
	v_mov_b64_e32 v[18:19], v[14:15]
	;; [unrolled: 1-line block ×5, first 2 shown]
.LBB125_17:                             ; =>This Inner Loop Header: Depth=1
	v_ashrrev_i32_e32 v17, 31, v16
	v_add_u32_e32 v26, -11, v24
	v_add_u32_e32 v28, -7, v24
	;; [unrolled: 1-line block ×3, first 2 shown]
	v_mov_b32_e32 v29, v27
	v_mov_b32_e32 v31, v27
	v_lshl_add_u64 v[54:55], v[16:17], 2, s[6:7]
	v_lshl_add_u64 v[56:57], v[26:27], 4, s[8:9]
	;; [unrolled: 1-line block ×4, first 2 shown]
	global_load_dword v17, v[54:55], off
	global_load_dwordx4 v[28:31], v[56:57], off offset:48
	global_load_dwordx4 v[34:37], v[56:57], off offset:32
	;; [unrolled: 1-line block ×3, first 2 shown]
	global_load_dwordx4 v[42:45], v[56:57], off
	global_load_dwordx4 v[46:49], v[58:59], off
	;; [unrolled: 1-line block ×3, first 2 shown]
	v_add_u32_e32 v26, -6, v24
	v_mov_b32_e32 v63, v27
	v_lshl_add_u64 v[64:65], v[26:27], 4, s[8:9]
	v_add_u32_e32 v26, -2, v24
	v_lshl_add_u64 v[66:67], v[26:27], 4, s[8:9]
	global_load_dwordx4 v[54:57], v[64:65], off
	global_load_dwordx4 v[58:61], v[66:67], off
	v_add_u32_e32 v26, -5, v24
	v_lshl_add_u64 v[76:77], v[26:27], 4, s[8:9]
	v_add_u32_e32 v26, -1, v24
	v_mov_b32_e32 v25, v27
	v_lshl_add_u64 v[78:79], v[26:27], 4, s[8:9]
	v_add_u32_e32 v26, -4, v24
	v_lshl_add_u64 v[74:75], v[24:25], 4, s[8:9]
	v_add_u32_e32 v16, 64, v16
	v_cmp_ge_i32_e32 vcc, v16, v32
	s_or_b64 s[0:1], vcc, s[0:1]
	v_add_u32_e32 v24, 0x300, v24
	s_waitcnt vmcnt(8)
	v_subrev_u32_e32 v17, s16, v17
	v_lshlrev_b32_e32 v62, 2, v17
	v_lshl_add_u64 v[80:81], v[62:63], 4, s[10:11]
	global_load_dwordx4 v[62:65], v[80:81], off
	global_load_dwordx4 v[66:69], v[80:81], off offset:16
	s_waitcnt vmcnt(1)
	v_fmac_f64_e32 v[22:23], v[42:43], v[62:63]
	v_fmac_f64_e32 v[14:15], v[44:45], v[62:63]
	v_fmac_f64_e32 v[20:21], v[46:47], v[62:63]
	v_fma_f64 v[22:23], -v[44:45], v[64:65], v[22:23]
	v_fmac_f64_e32 v[14:15], v[42:43], v[64:65]
	global_load_dwordx4 v[42:45], v[76:77], off
	global_load_dwordx4 v[70:73], v[78:79], off
	v_fmac_f64_e32 v[12:13], v[48:49], v[62:63]
	v_fma_f64 v[76:77], -v[48:49], v[64:65], v[20:21]
	v_lshl_add_u64 v[20:21], v[26:27], 4, s[8:9]
	v_fmac_f64_e32 v[18:19], v[50:51], v[62:63]
	v_fmac_f64_e32 v[10:11], v[52:53], v[62:63]
	v_fmac_f64_e32 v[12:13], v[46:47], v[64:65]
	global_load_dwordx4 v[46:49], v[20:21], off
	v_fma_f64 v[78:79], -v[52:53], v[64:65], v[18:19]
	v_fmac_f64_e32 v[10:11], v[50:51], v[64:65]
	global_load_dwordx4 v[50:53], v[74:75], off
	global_load_dwordx4 v[18:21], v[80:81], off offset:32
	global_load_dwordx4 v[62:65], v[80:81], off offset:48
	s_waitcnt vmcnt(6)
	v_fmac_f64_e32 v[22:23], v[38:39], v[66:67]
	v_fmac_f64_e32 v[14:15], v[40:41], v[66:67]
	v_fmac_f64_e32 v[76:77], v[54:55], v[66:67]
	v_fmac_f64_e32 v[12:13], v[56:57], v[66:67]
	v_fmac_f64_e32 v[78:79], v[58:59], v[66:67]
	v_fmac_f64_e32 v[10:11], v[60:61], v[66:67]
	v_fma_f64 v[22:23], -v[40:41], v[68:69], v[22:23]
	v_fmac_f64_e32 v[14:15], v[38:39], v[68:69]
	v_fma_f64 v[38:39], -v[56:57], v[68:69], v[76:77]
	v_fmac_f64_e32 v[12:13], v[54:55], v[68:69]
	v_fma_f64 v[40:41], -v[60:61], v[68:69], v[78:79]
	v_fmac_f64_e32 v[10:11], v[58:59], v[68:69]
	s_waitcnt vmcnt(1)
	v_fmac_f64_e32 v[22:23], v[34:35], v[18:19]
	v_fmac_f64_e32 v[14:15], v[36:37], v[18:19]
	v_fmac_f64_e32 v[38:39], v[42:43], v[18:19]
	v_fmac_f64_e32 v[12:13], v[44:45], v[18:19]
	v_fmac_f64_e32 v[40:41], v[70:71], v[18:19]
	v_fmac_f64_e32 v[10:11], v[72:73], v[18:19]
	v_fma_f64 v[18:19], -v[36:37], v[20:21], v[22:23]
	v_fmac_f64_e32 v[14:15], v[34:35], v[20:21]
	v_fma_f64 v[34:35], -v[44:45], v[20:21], v[38:39]
	v_fmac_f64_e32 v[12:13], v[42:43], v[20:21]
	v_fma_f64 v[36:37], -v[72:73], v[20:21], v[40:41]
	v_fmac_f64_e32 v[10:11], v[70:71], v[20:21]
	;; [unrolled: 13-line block ×3, first 2 shown]
	s_andn2_b64 exec, exec, s[0:1]
	s_cbranch_execnz .LBB125_17
; %bb.18:
	s_or_b64 exec, exec, s[0:1]
.LBB125_19:
	s_or_b64 exec, exec, s[4:5]
.LBB125_20:
	v_mov_b32_dpp v28, v12 row_shr:1 row_mask:0xf bank_mask:0xf
	v_mov_b32_dpp v29, v13 row_shr:1 row_mask:0xf bank_mask:0xf
	v_add_f64 v[12:13], v[12:13], v[28:29]
	v_mov_b32_dpp v16, v22 row_shr:1 row_mask:0xf bank_mask:0xf
	v_mov_b32_dpp v17, v23 row_shr:1 row_mask:0xf bank_mask:0xf
	v_mov_b32_dpp v28, v12 row_shr:2 row_mask:0xf bank_mask:0xf
	v_mov_b32_dpp v29, v13 row_shr:2 row_mask:0xf bank_mask:0xf
	v_add_f64 v[12:13], v[12:13], v[28:29]
	v_mov_b32_dpp v24, v14 row_shr:1 row_mask:0xf bank_mask:0xf
	v_mov_b32_dpp v25, v15 row_shr:1 row_mask:0xf bank_mask:0xf
	;; [unrolled: 5-line block ×3, first 2 shown]
	v_mov_b32_dpp v28, v12 row_shr:8 row_mask:0xf bank_mask:0xc
	v_mov_b32_dpp v29, v13 row_shr:8 row_mask:0xf bank_mask:0xc
	v_add_f64 v[12:13], v[12:13], v[28:29]
	v_add_f64 v[16:17], v[22:23], v[16:17]
	;; [unrolled: 1-line block ×3, first 2 shown]
	v_mov_b32_dpp v28, v12 row_bcast:15 row_mask:0xa bank_mask:0xf
	v_mov_b32_dpp v29, v13 row_bcast:15 row_mask:0xa bank_mask:0xf
	v_add_f64 v[28:29], v[12:13], v[28:29]
	v_mov_b32_dpp v12, v18 row_shr:1 row_mask:0xf bank_mask:0xf
	v_mov_b32_dpp v13, v19 row_shr:1 row_mask:0xf bank_mask:0xf
	v_add_f64 v[12:13], v[18:19], v[12:13]
	v_add_f64 v[20:21], v[20:21], v[26:27]
	v_mov_b32_dpp v22, v16 row_shr:2 row_mask:0xf bank_mask:0xf
	v_mov_b32_dpp v18, v12 row_shr:2 row_mask:0xf bank_mask:0xf
	v_mov_b32_dpp v19, v13 row_shr:2 row_mask:0xf bank_mask:0xf
	v_add_f64 v[12:13], v[12:13], v[18:19]
	v_mov_b32_dpp v23, v17 row_shr:2 row_mask:0xf bank_mask:0xf
	v_mov_b32_dpp v24, v14 row_shr:2 row_mask:0xf bank_mask:0xf
	v_mov_b32_dpp v18, v12 row_shr:4 row_mask:0xf bank_mask:0xe
	v_mov_b32_dpp v19, v13 row_shr:4 row_mask:0xf bank_mask:0xe
	v_add_f64 v[12:13], v[12:13], v[18:19]
	v_mov_b32_dpp v25, v15 row_shr:2 row_mask:0xf bank_mask:0xf
	v_mov_b32_dpp v26, v20 row_shr:2 row_mask:0xf bank_mask:0xf
	v_mov_b32_dpp v18, v12 row_shr:8 row_mask:0xf bank_mask:0xc
	v_mov_b32_dpp v19, v13 row_shr:8 row_mask:0xf bank_mask:0xc
	v_add_f64 v[12:13], v[12:13], v[18:19]
	v_mov_b32_dpp v27, v21 row_shr:2 row_mask:0xf bank_mask:0xf
	v_add_f64 v[16:17], v[16:17], v[22:23]
	v_mov_b32_dpp v18, v12 row_bcast:15 row_mask:0xa bank_mask:0xf
	v_mov_b32_dpp v19, v13 row_bcast:15 row_mask:0xa bank_mask:0xf
	v_add_f64 v[32:33], v[12:13], v[18:19]
	v_mov_b32_dpp v12, v10 row_shr:1 row_mask:0xf bank_mask:0xf
	v_mov_b32_dpp v13, v11 row_shr:1 row_mask:0xf bank_mask:0xf
	v_add_f64 v[10:11], v[10:11], v[12:13]
	v_add_f64 v[14:15], v[14:15], v[24:25]
	;; [unrolled: 1-line block ×3, first 2 shown]
	v_mov_b32_dpp v12, v10 row_shr:2 row_mask:0xf bank_mask:0xf
	v_mov_b32_dpp v13, v11 row_shr:2 row_mask:0xf bank_mask:0xf
	v_add_f64 v[10:11], v[10:11], v[12:13]
	v_mov_b32_dpp v22, v16 row_shr:4 row_mask:0xf bank_mask:0xe
	v_mov_b32_dpp v23, v17 row_shr:4 row_mask:0xf bank_mask:0xe
	;; [unrolled: 1-line block ×8, first 2 shown]
	v_add_f64 v[16:17], v[16:17], v[22:23]
	v_add_f64 v[14:15], v[14:15], v[24:25]
	;; [unrolled: 1-line block ×4, first 2 shown]
	v_mov_b32_dpp v22, v16 row_shr:8 row_mask:0xf bank_mask:0xc
	v_mov_b32_dpp v23, v17 row_shr:8 row_mask:0xf bank_mask:0xc
	;; [unrolled: 1-line block ×8, first 2 shown]
	v_add_f64 v[16:17], v[16:17], v[22:23]
	v_add_f64 v[14:15], v[14:15], v[24:25]
	;; [unrolled: 1-line block ×4, first 2 shown]
	v_mov_b32_dpp v22, v16 row_bcast:15 row_mask:0xa bank_mask:0xf
	v_mov_b32_dpp v23, v17 row_bcast:15 row_mask:0xa bank_mask:0xf
	;; [unrolled: 1-line block ×8, first 2 shown]
	v_add_f64 v[16:17], v[16:17], v[22:23]
	v_add_f64 v[14:15], v[14:15], v[24:25]
	;; [unrolled: 1-line block ×4, first 2 shown]
	v_mov_b32_dpp v22, v16 row_bcast:31 row_mask:0xc bank_mask:0xf
	v_mov_b32_dpp v23, v17 row_bcast:31 row_mask:0xc bank_mask:0xf
	v_mov_b32_dpp v24, v14 row_bcast:31 row_mask:0xc bank_mask:0xf
	v_mov_b32_dpp v25, v15 row_bcast:31 row_mask:0xc bank_mask:0xf
	v_mov_b32_dpp v26, v20 row_bcast:31 row_mask:0xc bank_mask:0xf
	v_mov_b32_dpp v27, v21 row_bcast:31 row_mask:0xc bank_mask:0xf
	v_mov_b32_dpp v30, v28 row_bcast:31 row_mask:0xc bank_mask:0xf
	v_mov_b32_dpp v31, v29 row_bcast:31 row_mask:0xc bank_mask:0xf
	v_mov_b32_dpp v34, v32 row_bcast:31 row_mask:0xc bank_mask:0xf
	v_mov_b32_dpp v35, v33 row_bcast:31 row_mask:0xc bank_mask:0xf
	v_mov_b32_dpp v38, v36 row_bcast:31 row_mask:0xc bank_mask:0xf
	v_mov_b32_dpp v39, v37 row_bcast:31 row_mask:0xc bank_mask:0xf
	v_cmp_eq_u32_e32 vcc, 63, v9
	s_and_b64 exec, exec, vcc
	s_cbranch_execz .LBB125_25
; %bb.21:
	s_load_dwordx2 s[2:3], s[2:3], 0x48
	v_cmp_eq_f64_e32 vcc, 0, v[4:5]
	v_cmp_eq_f64_e64 s[0:1], 0, v[6:7]
	v_add_f64 v[16:17], v[16:17], v[22:23]
	v_add_f64 v[22:23], v[14:15], v[24:25]
	;; [unrolled: 1-line block ×6, first 2 shown]
	s_and_b64 s[0:1], vcc, s[0:1]
	s_and_saveexec_b64 s[4:5], s[0:1]
	s_xor_b64 s[0:1], exec, s[4:5]
	s_cbranch_execz .LBB125_23
; %bb.22:
	v_lshl_add_u32 v8, v8, 1, v8
	v_mul_f64 v[4:5], v[22:23], -v[2:3]
	v_mul_f64 v[6:7], v[0:1], v[22:23]
	v_ashrrev_i32_e32 v9, 31, v8
	v_fmac_f64_e32 v[4:5], v[0:1], v[16:17]
	v_fmac_f64_e32 v[6:7], v[2:3], v[16:17]
	s_waitcnt lgkmcnt(0)
	v_lshl_add_u64 v[8:9], v[8:9], 4, s[2:3]
	global_store_dwordx4 v[8:9], v[4:7], off
                                        ; implicit-def: $vgpr16_vgpr17
                                        ; implicit-def: $vgpr22_vgpr23
	s_nop 1
	v_mul_f64 v[4:5], v[18:19], -v[2:3]
	v_mul_f64 v[6:7], v[0:1], v[18:19]
	v_fmac_f64_e32 v[4:5], v[0:1], v[12:13]
	v_fmac_f64_e32 v[6:7], v[2:3], v[12:13]
	global_store_dwordx4 v[8:9], v[4:7], off offset:16
                                        ; implicit-def: $vgpr12_vgpr13
                                        ; implicit-def: $vgpr18_vgpr19
	s_nop 1
	v_mul_f64 v[4:5], v[14:15], -v[2:3]
	v_mul_f64 v[6:7], v[0:1], v[14:15]
	v_fmac_f64_e32 v[4:5], v[0:1], v[10:11]
	v_fmac_f64_e32 v[6:7], v[2:3], v[10:11]
	global_store_dwordx4 v[8:9], v[4:7], off offset:32
                                        ; implicit-def: $vgpr0_vgpr1
                                        ; implicit-def: $vgpr2_vgpr3
                                        ; implicit-def: $vgpr4_vgpr5
                                        ; implicit-def: $vgpr6_vgpr7
                                        ; implicit-def: $vgpr8
                                        ; implicit-def: $vgpr10_vgpr11
                                        ; implicit-def: $vgpr14_vgpr15
.LBB125_23:
	s_andn2_saveexec_b64 s[0:1], s[0:1]
	s_cbranch_execz .LBB125_25
; %bb.24:
	v_lshl_add_u32 v8, v8, 1, v8
	v_ashrrev_i32_e32 v9, 31, v8
	s_waitcnt lgkmcnt(0)
	v_lshl_add_u64 v[40:41], v[8:9], 4, s[2:3]
	global_load_dwordx4 v[24:27], v[40:41], off
	global_load_dwordx4 v[28:31], v[40:41], off offset:16
	global_load_dwordx4 v[32:35], v[40:41], off offset:32
	v_mul_f64 v[36:37], v[22:23], -v[2:3]
	v_mul_f64 v[20:21], v[0:1], v[22:23]
	v_mul_f64 v[22:23], v[18:19], -v[2:3]
	v_mul_f64 v[38:39], v[0:1], v[18:19]
	;; [unrolled: 2-line block ×3, first 2 shown]
	v_fmac_f64_e32 v[36:37], v[0:1], v[16:17]
	v_fmac_f64_e32 v[20:21], v[2:3], v[16:17]
	;; [unrolled: 1-line block ×6, first 2 shown]
	s_waitcnt vmcnt(2)
	v_fmac_f64_e32 v[36:37], v[4:5], v[24:25]
	v_fmac_f64_e32 v[20:21], v[6:7], v[24:25]
	s_waitcnt vmcnt(1)
	v_fmac_f64_e32 v[22:23], v[4:5], v[28:29]
	v_fmac_f64_e32 v[38:39], v[6:7], v[28:29]
	;; [unrolled: 3-line block ×3, first 2 shown]
	v_fma_f64 v[18:19], -v[6:7], v[26:27], v[36:37]
	v_fmac_f64_e32 v[20:21], v[4:5], v[26:27]
	v_fma_f64 v[36:37], -v[6:7], v[30:31], v[22:23]
	v_fmac_f64_e32 v[38:39], v[4:5], v[30:31]
	;; [unrolled: 2-line block ×3, first 2 shown]
	global_store_dwordx4 v[40:41], v[18:21], off
	global_store_dwordx4 v[40:41], v[36:39], off offset:16
	global_store_dwordx4 v[40:41], v[6:9], off offset:32
.LBB125_25:
	s_endpgm
	.section	.rodata,"a",@progbits
	.p2align	6, 0x0
	.amdhsa_kernel _ZN9rocsparseL19gebsrmvn_3xn_kernelILj128ELj4ELj64E21rocsparse_complex_numIdEEEvi20rocsparse_direction_NS_24const_host_device_scalarIT2_EEPKiS8_PKS5_SA_S6_PS5_21rocsparse_index_base_b
		.amdhsa_group_segment_fixed_size 2048
		.amdhsa_private_segment_fixed_size 0
		.amdhsa_kernarg_size 88
		.amdhsa_user_sgpr_count 4
		.amdhsa_user_sgpr_dispatch_ptr 1
		.amdhsa_user_sgpr_queue_ptr 0
		.amdhsa_user_sgpr_kernarg_segment_ptr 1
		.amdhsa_user_sgpr_dispatch_id 0
		.amdhsa_user_sgpr_kernarg_preload_length 0
		.amdhsa_user_sgpr_kernarg_preload_offset 0
		.amdhsa_user_sgpr_private_segment_size 0
		.amdhsa_uses_dynamic_stack 0
		.amdhsa_enable_private_segment 0
		.amdhsa_system_sgpr_workgroup_id_x 1
		.amdhsa_system_sgpr_workgroup_id_y 0
		.amdhsa_system_sgpr_workgroup_id_z 0
		.amdhsa_system_sgpr_workgroup_info 0
		.amdhsa_system_vgpr_workitem_id 2
		.amdhsa_next_free_vgpr 90
		.amdhsa_next_free_sgpr 20
		.amdhsa_accum_offset 92
		.amdhsa_reserve_vcc 1
		.amdhsa_float_round_mode_32 0
		.amdhsa_float_round_mode_16_64 0
		.amdhsa_float_denorm_mode_32 3
		.amdhsa_float_denorm_mode_16_64 3
		.amdhsa_dx10_clamp 1
		.amdhsa_ieee_mode 1
		.amdhsa_fp16_overflow 0
		.amdhsa_tg_split 0
		.amdhsa_exception_fp_ieee_invalid_op 0
		.amdhsa_exception_fp_denorm_src 0
		.amdhsa_exception_fp_ieee_div_zero 0
		.amdhsa_exception_fp_ieee_overflow 0
		.amdhsa_exception_fp_ieee_underflow 0
		.amdhsa_exception_fp_ieee_inexact 0
		.amdhsa_exception_int_div_zero 0
	.end_amdhsa_kernel
	.section	.text._ZN9rocsparseL19gebsrmvn_3xn_kernelILj128ELj4ELj64E21rocsparse_complex_numIdEEEvi20rocsparse_direction_NS_24const_host_device_scalarIT2_EEPKiS8_PKS5_SA_S6_PS5_21rocsparse_index_base_b,"axG",@progbits,_ZN9rocsparseL19gebsrmvn_3xn_kernelILj128ELj4ELj64E21rocsparse_complex_numIdEEEvi20rocsparse_direction_NS_24const_host_device_scalarIT2_EEPKiS8_PKS5_SA_S6_PS5_21rocsparse_index_base_b,comdat
.Lfunc_end125:
	.size	_ZN9rocsparseL19gebsrmvn_3xn_kernelILj128ELj4ELj64E21rocsparse_complex_numIdEEEvi20rocsparse_direction_NS_24const_host_device_scalarIT2_EEPKiS8_PKS5_SA_S6_PS5_21rocsparse_index_base_b, .Lfunc_end125-_ZN9rocsparseL19gebsrmvn_3xn_kernelILj128ELj4ELj64E21rocsparse_complex_numIdEEEvi20rocsparse_direction_NS_24const_host_device_scalarIT2_EEPKiS8_PKS5_SA_S6_PS5_21rocsparse_index_base_b
                                        ; -- End function
	.section	.AMDGPU.csdata,"",@progbits
; Kernel info:
; codeLenInByte = 2996
; NumSgprs: 26
; NumVgprs: 90
; NumAgprs: 0
; TotalNumVgprs: 90
; ScratchSize: 0
; MemoryBound: 0
; FloatMode: 240
; IeeeMode: 1
; LDSByteSize: 2048 bytes/workgroup (compile time only)
; SGPRBlocks: 3
; VGPRBlocks: 11
; NumSGPRsForWavesPerEU: 26
; NumVGPRsForWavesPerEU: 90
; AccumOffset: 92
; Occupancy: 5
; WaveLimiterHint : 1
; COMPUTE_PGM_RSRC2:SCRATCH_EN: 0
; COMPUTE_PGM_RSRC2:USER_SGPR: 4
; COMPUTE_PGM_RSRC2:TRAP_HANDLER: 0
; COMPUTE_PGM_RSRC2:TGID_X_EN: 1
; COMPUTE_PGM_RSRC2:TGID_Y_EN: 0
; COMPUTE_PGM_RSRC2:TGID_Z_EN: 0
; COMPUTE_PGM_RSRC2:TIDIG_COMP_CNT: 2
; COMPUTE_PGM_RSRC3_GFX90A:ACCUM_OFFSET: 22
; COMPUTE_PGM_RSRC3_GFX90A:TG_SPLIT: 0
	.section	.text._ZN9rocsparseL19gebsrmvn_3xn_kernelILj128ELj5ELj4E21rocsparse_complex_numIdEEEvi20rocsparse_direction_NS_24const_host_device_scalarIT2_EEPKiS8_PKS5_SA_S6_PS5_21rocsparse_index_base_b,"axG",@progbits,_ZN9rocsparseL19gebsrmvn_3xn_kernelILj128ELj5ELj4E21rocsparse_complex_numIdEEEvi20rocsparse_direction_NS_24const_host_device_scalarIT2_EEPKiS8_PKS5_SA_S6_PS5_21rocsparse_index_base_b,comdat
	.globl	_ZN9rocsparseL19gebsrmvn_3xn_kernelILj128ELj5ELj4E21rocsparse_complex_numIdEEEvi20rocsparse_direction_NS_24const_host_device_scalarIT2_EEPKiS8_PKS5_SA_S6_PS5_21rocsparse_index_base_b ; -- Begin function _ZN9rocsparseL19gebsrmvn_3xn_kernelILj128ELj5ELj4E21rocsparse_complex_numIdEEEvi20rocsparse_direction_NS_24const_host_device_scalarIT2_EEPKiS8_PKS5_SA_S6_PS5_21rocsparse_index_base_b
	.p2align	8
	.type	_ZN9rocsparseL19gebsrmvn_3xn_kernelILj128ELj5ELj4E21rocsparse_complex_numIdEEEvi20rocsparse_direction_NS_24const_host_device_scalarIT2_EEPKiS8_PKS5_SA_S6_PS5_21rocsparse_index_base_b,@function
_ZN9rocsparseL19gebsrmvn_3xn_kernelILj128ELj5ELj4E21rocsparse_complex_numIdEEEvi20rocsparse_direction_NS_24const_host_device_scalarIT2_EEPKiS8_PKS5_SA_S6_PS5_21rocsparse_index_base_b: ; @_ZN9rocsparseL19gebsrmvn_3xn_kernelILj128ELj5ELj4E21rocsparse_complex_numIdEEEvi20rocsparse_direction_NS_24const_host_device_scalarIT2_EEPKiS8_PKS5_SA_S6_PS5_21rocsparse_index_base_b
; %bb.0:
	s_load_dwordx2 s[16:17], s[2:3], 0x50
	s_load_dwordx4 s[12:15], s[2:3], 0x8
	s_load_dwordx4 s[8:11], s[2:3], 0x38
	s_load_dwordx2 s[18:19], s[0:1], 0x4
	s_mov_b64 s[6:7], src_shared_base
	s_waitcnt lgkmcnt(0)
	s_bitcmp1_b32 s17, 0
	s_cselect_b64 s[0:1], -1, 0
	s_and_b64 vcc, s[0:1], exec
	s_cselect_b32 s5, s7, s13
	s_lshr_b32 s6, s18, 16
	v_bfe_u32 v1, v0, 10, 10
	v_and_b32_e32 v10, 0x3ff, v0
	s_mul_i32 s6, s6, s19
	v_mul_u32_u24_e32 v1, s19, v1
	v_mad_u32_u24 v1, s6, v10, v1
	v_bfe_u32 v0, v0, 20, 10
	v_add_lshl_u32 v4, v1, v0, 3
	v_mov_b32_e32 v5, s12
	v_add_u32_e32 v6, 0x400, v4
	v_mov_b64_e32 v[0:1], s[12:13]
	v_mov_b64_e32 v[2:3], s[8:9]
	ds_write2st64_b64 v4, v[2:3], v[0:1] offset1:2
	v_cndmask_b32_e64 v0, v5, v6, s[0:1]
	v_mov_b32_e32 v1, s5
	flat_load_dwordx2 v[0:1], v[0:1]
	s_xor_b64 s[18:19], s[0:1], -1
	v_mov_b64_e32 v[2:3], s[14:15]
	s_cbranch_vccnz .LBB126_2
; %bb.1:
	v_mov_b64_e32 v[2:3], s[12:13]
	flat_load_dwordx2 v[2:3], v[2:3] offset:8
.LBB126_2:
	s_and_b64 s[12:13], s[0:1], exec
	s_cselect_b32 s5, s7, s9
	v_mov_b32_e32 v5, s8
	v_cndmask_b32_e64 v4, v5, v4, s[0:1]
	v_mov_b32_e32 v5, s5
	flat_load_dwordx2 v[4:5], v[4:5]
	s_andn2_b64 vcc, exec, s[18:19]
	v_mov_b64_e32 v[6:7], s[10:11]
	s_cbranch_vccnz .LBB126_4
; %bb.3:
	v_mov_b64_e32 v[6:7], s[8:9]
	flat_load_dwordx2 v[6:7], v[6:7] offset:8
.LBB126_4:
	s_waitcnt vmcnt(0) lgkmcnt(0)
	v_cmp_eq_f64_e32 vcc, 0, v[0:1]
	v_cmp_eq_f64_e64 s[0:1], 0, v[2:3]
	s_and_b64 s[8:9], vcc, s[0:1]
	s_mov_b64 s[0:1], -1
	s_and_saveexec_b64 s[6:7], s[8:9]
; %bb.5:
	v_cmp_neq_f64_e32 vcc, 1.0, v[4:5]
	v_cmp_neq_f64_e64 s[0:1], 0, v[6:7]
	s_or_b64 s[0:1], vcc, s[0:1]
	s_orn2_b64 s[0:1], s[0:1], exec
; %bb.6:
	s_or_b64 exec, exec, s[6:7]
	s_and_saveexec_b64 s[6:7], s[0:1]
	s_cbranch_execz .LBB126_25
; %bb.7:
	s_load_dwordx2 s[0:1], s[2:3], 0x0
	v_lshrrev_b32_e32 v8, 2, v10
	v_lshl_or_b32 v8, s4, 5, v8
	s_waitcnt lgkmcnt(0)
	v_cmp_gt_i32_e32 vcc, s0, v8
	s_and_b64 exec, exec, vcc
	s_cbranch_execz .LBB126_25
; %bb.8:
	s_load_dwordx8 s[4:11], s[2:3], 0x18
	v_ashrrev_i32_e32 v9, 31, v8
	s_cmp_lg_u32 s1, 0
	s_waitcnt lgkmcnt(0)
	v_lshl_add_u64 v[12:13], v[8:9], 2, s[4:5]
	global_load_dwordx2 v[12:13], v[12:13], off
	v_and_b32_e32 v9, 3, v10
	s_waitcnt vmcnt(0)
	v_subrev_u32_e32 v10, s16, v12
	v_subrev_u32_e32 v34, s16, v13
	v_add_u32_e32 v16, v10, v9
	v_cmp_lt_i32_e64 s[0:1], v16, v34
	s_cbranch_scc0 .LBB126_14
; %bb.9:
	v_mov_b64_e32 v[12:13], 0
	s_mov_b64 s[4:5], 0
	v_mov_b64_e32 v[22:23], v[12:13]
	v_mov_b64_e32 v[18:19], v[12:13]
	;; [unrolled: 1-line block ×5, first 2 shown]
	s_and_saveexec_b64 s[12:13], s[0:1]
	s_cbranch_execz .LBB126_13
; %bb.10:
	v_mad_u64_u32 v[24:25], s[14:15], v16, 15, 14
	v_mov_b64_e32 v[12:13], 0
	s_mov_b64 s[14:15], 0
	v_mov_b32_e32 v27, 0
	v_mov_b32_e32 v28, v16
	v_mov_b64_e32 v[22:23], v[12:13]
	v_mov_b64_e32 v[18:19], v[12:13]
	v_mov_b64_e32 v[10:11], v[12:13]
	v_mov_b64_e32 v[20:21], v[12:13]
	v_mov_b64_e32 v[14:15], v[12:13]
.LBB126_11:                             ; =>This Inner Loop Header: Depth=1
	v_ashrrev_i32_e32 v29, 31, v28
	v_add_u32_e32 v26, -14, v24
	v_lshl_add_u64 v[32:33], v[28:29], 2, s[6:7]
	v_lshl_add_u64 v[40:41], v[26:27], 4, s[8:9]
	global_load_dword v17, v[32:33], off
	global_load_dwordx4 v[36:39], v[40:41], off
	v_add_u32_e32 v26, -13, v24
	v_mov_b32_e32 v25, v27
	v_lshl_add_u64 v[32:33], v[26:27], 4, s[8:9]
	v_add_u32_e32 v26, -12, v24
	v_lshl_add_u64 v[42:43], v[24:25], 4, s[8:9]
	v_lshl_add_u64 v[52:53], v[26:27], 4, s[8:9]
	v_add_u32_e32 v26, -11, v24
	v_mov_b32_e32 v31, v27
	global_load_dwordx4 v[40:43], v[42:43], off
	s_nop 0
	global_load_dwordx4 v[44:47], v[32:33], off
	global_load_dwordx4 v[48:51], v[52:53], off
	v_lshl_add_u64 v[32:33], v[26:27], 4, s[8:9]
	global_load_dwordx4 v[52:55], v[32:33], off
	v_add_u32_e32 v28, 4, v28
	v_cmp_ge_i32_e32 vcc, v28, v34
	s_or_b64 s[14:15], vcc, s[14:15]
	s_waitcnt vmcnt(5)
	v_subrev_u32_e32 v17, s16, v17
	v_lshl_add_u32 v30, v17, 2, v17
	v_lshl_add_u64 v[32:33], v[30:31], 4, s[10:11]
	global_load_dwordx4 v[56:59], v[32:33], off
	v_add_u32_e32 v26, 1, v30
	v_lshl_add_u64 v[32:33], v[26:27], 4, s[10:11]
	global_load_dwordx4 v[60:63], v[32:33], off
	v_add_u32_e32 v26, -10, v24
	v_lshl_add_u64 v[32:33], v[26:27], 4, s[8:9]
	v_add_u32_e32 v26, -9, v24
	global_load_dwordx4 v[64:67], v[32:33], off
	v_lshl_add_u64 v[32:33], v[26:27], 4, s[8:9]
	v_add_u32_e32 v26, -8, v24
	global_load_dwordx4 v[68:71], v[32:33], off
	v_lshl_add_u64 v[32:33], v[26:27], 4, s[8:9]
	v_add_u32_e32 v26, 2, v30
	global_load_dwordx4 v[72:75], v[32:33], off
	v_lshl_add_u64 v[32:33], v[26:27], 4, s[10:11]
	v_add_u32_e32 v26, -7, v24
	global_load_dwordx4 v[76:79], v[32:33], off
	v_lshl_add_u64 v[32:33], v[26:27], 4, s[8:9]
	v_add_u32_e32 v26, -6, v24
	v_lshl_add_u64 v[88:89], v[26:27], 4, s[8:9]
	v_add_u32_e32 v26, -5, v24
	global_load_dwordx4 v[80:83], v[32:33], off
	global_load_dwordx4 v[84:87], v[88:89], off
	v_lshl_add_u64 v[32:33], v[26:27], 4, s[8:9]
	v_add_u32_e32 v26, 3, v30
	s_waitcnt vmcnt(7)
	v_fmac_f64_e32 v[22:23], v[36:37], v[56:57]
	v_fmac_f64_e32 v[12:13], v[38:39], v[56:57]
	v_fma_f64 v[88:89], -v[38:39], v[58:59], v[22:23]
	v_lshl_add_u64 v[22:23], v[26:27], 4, s[10:11]
	v_add_u32_e32 v26, -4, v24
	v_fmac_f64_e32 v[12:13], v[36:37], v[58:59]
	global_load_dwordx4 v[36:39], v[32:33], off
	v_lshl_add_u64 v[32:33], v[26:27], 4, s[8:9]
	v_add_u32_e32 v26, -3, v24
	v_fmac_f64_e32 v[20:21], v[44:45], v[56:57]
	v_fmac_f64_e32 v[14:15], v[46:47], v[56:57]
	;; [unrolled: 1-line block ×4, first 2 shown]
	v_lshl_add_u64 v[56:57], v[26:27], 4, s[8:9]
	v_add_u32_e32 v26, -2, v24
	v_fma_f64 v[90:91], -v[46:47], v[58:59], v[20:21]
	v_fmac_f64_e32 v[14:15], v[44:45], v[58:59]
	v_fma_f64 v[18:19], -v[50:51], v[58:59], v[18:19]
	v_fmac_f64_e32 v[10:11], v[48:49], v[58:59]
	v_lshl_add_u64 v[58:59], v[26:27], 4, s[8:9]
	v_add_u32_e32 v26, 4, v30
	s_waitcnt vmcnt(7)
	v_fmac_f64_e32 v[12:13], v[54:55], v[60:61]
	global_load_dwordx4 v[20:23], v[22:23], off
	v_fmac_f64_e32 v[88:89], v[52:53], v[60:61]
	global_load_dwordx4 v[44:47], v[32:33], off
	v_fmac_f64_e32 v[12:13], v[52:53], v[62:63]
	v_lshl_add_u64 v[52:53], v[26:27], 4, s[10:11]
	v_add_u32_e32 v26, -1, v24
	global_load_dwordx4 v[30:33], v[56:57], off
	global_load_dwordx4 v[48:51], v[58:59], off
	v_lshl_add_u64 v[56:57], v[26:27], 4, s[8:9]
	v_fma_f64 v[88:89], -v[54:55], v[62:63], v[88:89]
	global_load_dwordx4 v[52:55], v[52:53], off
	s_waitcnt vmcnt(11)
	v_fmac_f64_e32 v[90:91], v[64:65], v[60:61]
	global_load_dwordx4 v[56:59], v[56:57], off
	v_fmac_f64_e32 v[14:15], v[66:67], v[60:61]
	s_waitcnt vmcnt(11)
	v_fmac_f64_e32 v[18:19], v[68:69], v[60:61]
	v_fmac_f64_e32 v[10:11], v[70:71], v[60:61]
	v_fma_f64 v[66:67], -v[66:67], v[62:63], v[90:91]
	v_fmac_f64_e32 v[14:15], v[64:65], v[62:63]
	v_fma_f64 v[18:19], -v[70:71], v[62:63], v[18:19]
	v_fmac_f64_e32 v[10:11], v[68:69], v[62:63]
	s_waitcnt vmcnt(9)
	v_fmac_f64_e32 v[88:89], v[72:73], v[76:77]
	v_fmac_f64_e32 v[12:13], v[74:75], v[76:77]
	s_waitcnt vmcnt(8)
	v_fmac_f64_e32 v[66:67], v[80:81], v[76:77]
	;; [unrolled: 3-line block ×3, first 2 shown]
	v_fmac_f64_e32 v[10:11], v[86:87], v[76:77]
	v_fma_f64 v[60:61], -v[74:75], v[78:79], v[88:89]
	v_fmac_f64_e32 v[12:13], v[72:73], v[78:79]
	v_fma_f64 v[62:63], -v[82:83], v[78:79], v[66:67]
	;; [unrolled: 2-line block ×3, first 2 shown]
	v_fmac_f64_e32 v[10:11], v[84:85], v[78:79]
	v_add_u32_e32 v24, 60, v24
	s_waitcnt vmcnt(5)
	v_fmac_f64_e32 v[60:61], v[36:37], v[20:21]
	v_fmac_f64_e32 v[12:13], v[38:39], v[20:21]
	s_waitcnt vmcnt(4)
	v_fmac_f64_e32 v[62:63], v[44:45], v[20:21]
	v_fmac_f64_e32 v[14:15], v[46:47], v[20:21]
	v_fma_f64 v[38:39], -v[38:39], v[22:23], v[60:61]
	s_waitcnt vmcnt(3)
	v_fmac_f64_e32 v[18:19], v[30:31], v[20:21]
	v_fmac_f64_e32 v[10:11], v[32:33], v[20:21]
	;; [unrolled: 1-line block ×3, first 2 shown]
	v_fma_f64 v[36:37], -v[46:47], v[22:23], v[62:63]
	v_fmac_f64_e32 v[14:15], v[44:45], v[22:23]
	v_fma_f64 v[18:19], -v[32:33], v[22:23], v[18:19]
	v_fmac_f64_e32 v[10:11], v[30:31], v[22:23]
	s_waitcnt vmcnt(1)
	v_fmac_f64_e32 v[38:39], v[48:49], v[52:53]
	v_fmac_f64_e32 v[12:13], v[50:51], v[52:53]
	;; [unrolled: 1-line block ×4, first 2 shown]
	s_waitcnt vmcnt(0)
	v_fmac_f64_e32 v[36:37], v[56:57], v[52:53]
	v_fmac_f64_e32 v[14:15], v[58:59], v[52:53]
	v_fma_f64 v[22:23], -v[50:51], v[54:55], v[38:39]
	v_fmac_f64_e32 v[12:13], v[48:49], v[54:55]
	v_fma_f64 v[18:19], -v[42:43], v[54:55], v[18:19]
	;; [unrolled: 2-line block ×3, first 2 shown]
	v_fmac_f64_e32 v[14:15], v[56:57], v[54:55]
	s_andn2_b64 exec, exec, s[14:15]
	s_cbranch_execnz .LBB126_11
; %bb.12:
	s_or_b64 exec, exec, s[14:15]
.LBB126_13:
	s_or_b64 exec, exec, s[12:13]
	s_andn2_b64 vcc, exec, s[4:5]
	s_cbranch_vccz .LBB126_15
	s_branch .LBB126_20
.LBB126_14:
                                        ; implicit-def: $vgpr12_vgpr13
                                        ; implicit-def: $vgpr22_vgpr23
                                        ; implicit-def: $vgpr18_vgpr19
                                        ; implicit-def: $vgpr10_vgpr11
                                        ; implicit-def: $vgpr20_vgpr21
                                        ; implicit-def: $vgpr14_vgpr15
.LBB126_15:
	v_mov_b64_e32 v[12:13], 0
	v_mov_b64_e32 v[22:23], v[12:13]
	;; [unrolled: 1-line block ×6, first 2 shown]
	s_and_saveexec_b64 s[4:5], s[0:1]
	s_cbranch_execz .LBB126_19
; %bb.16:
	v_mad_u64_u32 v[24:25], s[0:1], v16, 15, 14
	v_mov_b64_e32 v[12:13], 0
	s_mov_b64 s[0:1], 0
	v_mov_b32_e32 v27, 0
	v_mov_b64_e32 v[22:23], v[12:13]
	v_mov_b64_e32 v[18:19], v[12:13]
	;; [unrolled: 1-line block ×5, first 2 shown]
.LBB126_17:                             ; =>This Inner Loop Header: Depth=1
	v_ashrrev_i32_e32 v17, 31, v16
	v_add_u32_e32 v26, -14, v24
	v_add_u32_e32 v32, -9, v24
	;; [unrolled: 1-line block ×3, first 2 shown]
	v_mov_b32_e32 v33, v27
	v_mov_b32_e32 v31, v27
	v_lshl_add_u64 v[44:45], v[16:17], 2, s[6:7]
	v_lshl_add_u64 v[46:47], v[26:27], 4, s[8:9]
	;; [unrolled: 1-line block ×4, first 2 shown]
	global_load_dword v17, v[44:45], off
	global_load_dwordx4 v[30:33], v[46:47], off
	global_load_dwordx4 v[36:39], v[48:49], off
	global_load_dwordx4 v[40:43], v[50:51], off
	v_mov_b32_e32 v29, v27
	v_add_u32_e32 v26, -13, v24
	v_lshl_add_u64 v[44:45], v[26:27], 4, s[8:9]
	global_load_dwordx4 v[44:47], v[44:45], off
	v_mov_b32_e32 v25, v27
	v_lshl_add_u64 v[76:77], v[24:25], 4, s[8:9]
	v_add_u32_e32 v16, 4, v16
	v_cmp_ge_i32_e32 vcc, v16, v34
	s_or_b64 s[0:1], vcc, s[0:1]
	s_waitcnt vmcnt(4)
	v_subrev_u32_e32 v17, s16, v17
	v_lshl_add_u32 v28, v17, 2, v17
	v_lshl_add_u64 v[48:49], v[28:29], 4, s[10:11]
	global_load_dwordx4 v[48:51], v[48:49], off
	v_add_u32_e32 v26, 1, v28
	v_lshl_add_u64 v[52:53], v[26:27], 4, s[10:11]
	global_load_dwordx4 v[52:55], v[52:53], off
	v_add_u32_e32 v26, -8, v24
	v_lshl_add_u64 v[56:57], v[26:27], 4, s[8:9]
	v_add_u32_e32 v26, -3, v24
	global_load_dwordx4 v[56:59], v[56:57], off
	v_lshl_add_u64 v[60:61], v[26:27], 4, s[8:9]
	global_load_dwordx4 v[60:63], v[60:61], off
	v_add_u32_e32 v26, -12, v24
	v_lshl_add_u64 v[64:65], v[26:27], 4, s[8:9]
	v_add_u32_e32 v26, 2, v28
	v_lshl_add_u64 v[68:69], v[26:27], 4, s[10:11]
	v_add_u32_e32 v26, -7, v24
	v_lshl_add_u64 v[78:79], v[26:27], 4, s[8:9]
	v_add_u32_e32 v26, -2, v24
	;; [unrolled: 2-line block ×3, first 2 shown]
	global_load_dwordx4 v[64:67], v[64:65], off
	s_waitcnt vmcnt(4)
	v_fmac_f64_e32 v[22:23], v[30:31], v[48:49]
	v_fmac_f64_e32 v[12:13], v[32:33], v[48:49]
	;; [unrolled: 1-line block ×3, first 2 shown]
	global_load_dwordx4 v[68:71], v[68:69], off
	v_fma_f64 v[82:83], -v[32:33], v[50:51], v[22:23]
	v_fmac_f64_e32 v[12:13], v[30:31], v[50:51]
	global_load_dwordx4 v[30:33], v[78:79], off
	global_load_dwordx4 v[72:75], v[80:81], off
	v_fmac_f64_e32 v[14:15], v[38:39], v[48:49]
	v_fma_f64 v[78:79], -v[38:39], v[50:51], v[20:21]
	v_lshl_add_u64 v[20:21], v[26:27], 4, s[8:9]
	v_add_u32_e32 v26, 3, v28
	v_fmac_f64_e32 v[14:15], v[36:37], v[50:51]
	v_fmac_f64_e32 v[10:11], v[42:43], v[48:49]
	v_lshl_add_u64 v[36:37], v[26:27], 4, s[10:11]
	v_add_u32_e32 v26, -6, v24
	v_fmac_f64_e32 v[18:19], v[40:41], v[48:49]
	v_fmac_f64_e32 v[10:11], v[40:41], v[50:51]
	v_lshl_add_u64 v[40:41], v[26:27], 4, s[8:9]
	v_add_u32_e32 v26, -1, v24
	v_lshl_add_u64 v[48:49], v[26:27], 4, s[8:9]
	v_add_u32_e32 v26, -10, v24
	v_fma_f64 v[18:19], -v[42:43], v[50:51], v[18:19]
	s_waitcnt vmcnt(6)
	v_fmac_f64_e32 v[82:83], v[44:45], v[52:53]
	v_fmac_f64_e32 v[12:13], v[46:47], v[52:53]
	v_lshl_add_u64 v[50:51], v[26:27], 4, s[8:9]
	v_add_u32_e32 v26, 4, v28
	s_waitcnt vmcnt(5)
	v_fmac_f64_e32 v[14:15], v[58:59], v[52:53]
	global_load_dwordx4 v[20:23], v[20:21], off
	v_fma_f64 v[80:81], -v[46:47], v[54:55], v[82:83]
	global_load_dwordx4 v[36:39], v[36:37], off
	v_fmac_f64_e32 v[12:13], v[44:45], v[54:55]
	global_load_dwordx4 v[40:43], v[40:41], off
	v_fmac_f64_e32 v[78:79], v[56:57], v[52:53]
	;; [unrolled: 2-line block ×3, first 2 shown]
	v_lshl_add_u64 v[56:57], v[26:27], 4, s[10:11]
	v_add_u32_e32 v26, -5, v24
	v_fma_f64 v[28:29], -v[58:59], v[54:55], v[78:79]
	s_waitcnt vmcnt(8)
	v_fmac_f64_e32 v[18:19], v[60:61], v[52:53]
	v_fmac_f64_e32 v[10:11], v[62:63], v[52:53]
	v_lshl_add_u64 v[78:79], v[26:27], 4, s[8:9]
	global_load_dwordx4 v[48:51], v[50:51], off
	v_fma_f64 v[18:19], -v[62:63], v[54:55], v[18:19]
	v_fmac_f64_e32 v[10:11], v[60:61], v[54:55]
	global_load_dwordx4 v[52:55], v[56:57], off
	s_nop 0
	global_load_dwordx4 v[56:59], v[78:79], off
	global_load_dwordx4 v[60:63], v[76:77], off
	v_add_u32_e32 v24, 60, v24
	s_waitcnt vmcnt(10)
	v_fmac_f64_e32 v[80:81], v[64:65], v[68:69]
	v_fmac_f64_e32 v[12:13], v[66:67], v[68:69]
	s_waitcnt vmcnt(9)
	v_fmac_f64_e32 v[28:29], v[30:31], v[68:69]
	v_fmac_f64_e32 v[14:15], v[32:33], v[68:69]
	s_waitcnt vmcnt(8)
	v_fmac_f64_e32 v[18:19], v[72:73], v[68:69]
	v_fmac_f64_e32 v[10:11], v[74:75], v[68:69]
	v_fma_f64 v[66:67], -v[66:67], v[70:71], v[80:81]
	v_fmac_f64_e32 v[12:13], v[64:65], v[70:71]
	v_fma_f64 v[28:29], -v[32:33], v[70:71], v[28:29]
	v_fmac_f64_e32 v[14:15], v[30:31], v[70:71]
	v_fma_f64 v[18:19], -v[74:75], v[70:71], v[18:19]
	v_fmac_f64_e32 v[10:11], v[72:73], v[70:71]
	s_waitcnt vmcnt(6)
	v_fmac_f64_e32 v[66:67], v[20:21], v[36:37]
	v_fmac_f64_e32 v[12:13], v[22:23], v[36:37]
	s_waitcnt vmcnt(5)
	v_fmac_f64_e32 v[28:29], v[40:41], v[36:37]
	v_fmac_f64_e32 v[14:15], v[42:43], v[36:37]
	s_waitcnt vmcnt(4)
	v_fmac_f64_e32 v[18:19], v[44:45], v[36:37]
	v_fmac_f64_e32 v[10:11], v[46:47], v[36:37]
	v_fma_f64 v[22:23], -v[22:23], v[38:39], v[66:67]
	v_fmac_f64_e32 v[12:13], v[20:21], v[38:39]
	v_fma_f64 v[20:21], -v[42:43], v[38:39], v[28:29]
	v_fmac_f64_e32 v[14:15], v[40:41], v[38:39]
	v_fma_f64 v[18:19], -v[46:47], v[38:39], v[18:19]
	v_fmac_f64_e32 v[10:11], v[44:45], v[38:39]
	;; [unrolled: 15-line block ×3, first 2 shown]
	s_andn2_b64 exec, exec, s[0:1]
	s_cbranch_execnz .LBB126_17
; %bb.18:
	s_or_b64 exec, exec, s[0:1]
.LBB126_19:
	s_or_b64 exec, exec, s[4:5]
.LBB126_20:
	v_mov_b32_dpp v26, v20 row_shr:1 row_mask:0xf bank_mask:0xf
	v_mov_b32_dpp v27, v21 row_shr:1 row_mask:0xf bank_mask:0xf
	v_add_f64 v[26:27], v[20:21], v[26:27]
	v_mov_b32_dpp v20, v14 row_shr:1 row_mask:0xf bank_mask:0xf
	v_mov_b32_dpp v21, v15 row_shr:1 row_mask:0xf bank_mask:0xf
	v_add_f64 v[14:15], v[14:15], v[20:21]
	v_mov_b32_dpp v20, v18 row_shr:1 row_mask:0xf bank_mask:0xf
	v_mov_b32_dpp v21, v19 row_shr:1 row_mask:0xf bank_mask:0xf
	;; [unrolled: 1-line block ×6, first 2 shown]
	v_add_f64 v[32:33], v[18:19], v[20:21]
	v_mov_b32_dpp v18, v10 row_shr:1 row_mask:0xf bank_mask:0xf
	v_mov_b32_dpp v19, v11 row_shr:1 row_mask:0xf bank_mask:0xf
	v_add_f64 v[16:17], v[22:23], v[16:17]
	v_add_f64 v[12:13], v[12:13], v[24:25]
	;; [unrolled: 1-line block ×3, first 2 shown]
	v_mov_b32_dpp v22, v16 row_shr:2 row_mask:0xf bank_mask:0xf
	v_mov_b32_dpp v23, v17 row_shr:2 row_mask:0xf bank_mask:0xf
	;; [unrolled: 1-line block ×12, first 2 shown]
	v_cmp_eq_u32_e32 vcc, 3, v9
	s_and_b64 exec, exec, vcc
	s_cbranch_execz .LBB126_25
; %bb.21:
	s_load_dwordx2 s[2:3], s[2:3], 0x48
	v_cmp_eq_f64_e32 vcc, 0, v[4:5]
	v_cmp_eq_f64_e64 s[0:1], 0, v[6:7]
	v_add_f64 v[16:17], v[16:17], v[22:23]
	v_add_f64 v[20:21], v[12:13], v[24:25]
	;; [unrolled: 1-line block ×6, first 2 shown]
	s_and_b64 s[0:1], vcc, s[0:1]
	s_and_saveexec_b64 s[4:5], s[0:1]
	s_xor_b64 s[0:1], exec, s[4:5]
	s_cbranch_execz .LBB126_23
; %bb.22:
	v_lshl_add_u32 v8, v8, 1, v8
	v_mul_f64 v[4:5], v[20:21], -v[2:3]
	v_mul_f64 v[6:7], v[0:1], v[20:21]
	v_ashrrev_i32_e32 v9, 31, v8
	v_fmac_f64_e32 v[4:5], v[0:1], v[16:17]
	v_fmac_f64_e32 v[6:7], v[2:3], v[16:17]
	s_waitcnt lgkmcnt(0)
	v_lshl_add_u64 v[8:9], v[8:9], 4, s[2:3]
	global_store_dwordx4 v[8:9], v[4:7], off
                                        ; implicit-def: $vgpr16_vgpr17
                                        ; implicit-def: $vgpr20_vgpr21
	s_nop 1
	v_mul_f64 v[4:5], v[18:19], -v[2:3]
	v_mul_f64 v[6:7], v[0:1], v[18:19]
	v_fmac_f64_e32 v[4:5], v[0:1], v[12:13]
	v_fmac_f64_e32 v[6:7], v[2:3], v[12:13]
	global_store_dwordx4 v[8:9], v[4:7], off offset:16
                                        ; implicit-def: $vgpr12_vgpr13
                                        ; implicit-def: $vgpr18_vgpr19
	s_nop 1
	v_mul_f64 v[4:5], v[14:15], -v[2:3]
	v_mul_f64 v[6:7], v[0:1], v[14:15]
	v_fmac_f64_e32 v[4:5], v[0:1], v[10:11]
	v_fmac_f64_e32 v[6:7], v[2:3], v[10:11]
	global_store_dwordx4 v[8:9], v[4:7], off offset:32
                                        ; implicit-def: $vgpr0_vgpr1
                                        ; implicit-def: $vgpr2_vgpr3
                                        ; implicit-def: $vgpr4_vgpr5
                                        ; implicit-def: $vgpr6_vgpr7
                                        ; implicit-def: $vgpr8
                                        ; implicit-def: $vgpr10_vgpr11
                                        ; implicit-def: $vgpr14_vgpr15
.LBB126_23:
	s_andn2_saveexec_b64 s[0:1], s[0:1]
	s_cbranch_execz .LBB126_25
; %bb.24:
	v_lshl_add_u32 v8, v8, 1, v8
	v_ashrrev_i32_e32 v9, 31, v8
	s_waitcnt lgkmcnt(0)
	v_lshl_add_u64 v[38:39], v[8:9], 4, s[2:3]
	global_load_dwordx4 v[22:25], v[38:39], off
	global_load_dwordx4 v[26:29], v[38:39], off offset:16
	global_load_dwordx4 v[30:33], v[38:39], off offset:32
	v_mul_f64 v[34:35], v[20:21], -v[2:3]
	v_mul_f64 v[20:21], v[0:1], v[20:21]
	v_mul_f64 v[40:41], v[18:19], -v[2:3]
	v_mul_f64 v[36:37], v[0:1], v[18:19]
	;; [unrolled: 2-line block ×3, first 2 shown]
	v_fmac_f64_e32 v[34:35], v[0:1], v[16:17]
	v_fmac_f64_e32 v[20:21], v[2:3], v[16:17]
	;; [unrolled: 1-line block ×6, first 2 shown]
	s_waitcnt vmcnt(2)
	v_fmac_f64_e32 v[34:35], v[4:5], v[22:23]
	v_fmac_f64_e32 v[20:21], v[6:7], v[22:23]
	s_waitcnt vmcnt(1)
	v_fmac_f64_e32 v[40:41], v[4:5], v[26:27]
	v_fmac_f64_e32 v[36:37], v[6:7], v[26:27]
	;; [unrolled: 3-line block ×3, first 2 shown]
	v_fma_f64 v[18:19], -v[6:7], v[24:25], v[34:35]
	v_fmac_f64_e32 v[20:21], v[4:5], v[24:25]
	v_fma_f64 v[34:35], -v[6:7], v[28:29], v[40:41]
	v_fmac_f64_e32 v[36:37], v[4:5], v[28:29]
	;; [unrolled: 2-line block ×3, first 2 shown]
	global_store_dwordx4 v[38:39], v[18:21], off
	global_store_dwordx4 v[38:39], v[34:37], off offset:16
	global_store_dwordx4 v[38:39], v[6:9], off offset:32
.LBB126_25:
	s_endpgm
	.section	.rodata,"a",@progbits
	.p2align	6, 0x0
	.amdhsa_kernel _ZN9rocsparseL19gebsrmvn_3xn_kernelILj128ELj5ELj4E21rocsparse_complex_numIdEEEvi20rocsparse_direction_NS_24const_host_device_scalarIT2_EEPKiS8_PKS5_SA_S6_PS5_21rocsparse_index_base_b
		.amdhsa_group_segment_fixed_size 2048
		.amdhsa_private_segment_fixed_size 0
		.amdhsa_kernarg_size 88
		.amdhsa_user_sgpr_count 4
		.amdhsa_user_sgpr_dispatch_ptr 1
		.amdhsa_user_sgpr_queue_ptr 0
		.amdhsa_user_sgpr_kernarg_segment_ptr 1
		.amdhsa_user_sgpr_dispatch_id 0
		.amdhsa_user_sgpr_kernarg_preload_length 0
		.amdhsa_user_sgpr_kernarg_preload_offset 0
		.amdhsa_user_sgpr_private_segment_size 0
		.amdhsa_uses_dynamic_stack 0
		.amdhsa_enable_private_segment 0
		.amdhsa_system_sgpr_workgroup_id_x 1
		.amdhsa_system_sgpr_workgroup_id_y 0
		.amdhsa_system_sgpr_workgroup_id_z 0
		.amdhsa_system_sgpr_workgroup_info 0
		.amdhsa_system_vgpr_workitem_id 2
		.amdhsa_next_free_vgpr 92
		.amdhsa_next_free_sgpr 20
		.amdhsa_accum_offset 92
		.amdhsa_reserve_vcc 1
		.amdhsa_float_round_mode_32 0
		.amdhsa_float_round_mode_16_64 0
		.amdhsa_float_denorm_mode_32 3
		.amdhsa_float_denorm_mode_16_64 3
		.amdhsa_dx10_clamp 1
		.amdhsa_ieee_mode 1
		.amdhsa_fp16_overflow 0
		.amdhsa_tg_split 0
		.amdhsa_exception_fp_ieee_invalid_op 0
		.amdhsa_exception_fp_denorm_src 0
		.amdhsa_exception_fp_ieee_div_zero 0
		.amdhsa_exception_fp_ieee_overflow 0
		.amdhsa_exception_fp_ieee_underflow 0
		.amdhsa_exception_fp_ieee_inexact 0
		.amdhsa_exception_int_div_zero 0
	.end_amdhsa_kernel
	.section	.text._ZN9rocsparseL19gebsrmvn_3xn_kernelILj128ELj5ELj4E21rocsparse_complex_numIdEEEvi20rocsparse_direction_NS_24const_host_device_scalarIT2_EEPKiS8_PKS5_SA_S6_PS5_21rocsparse_index_base_b,"axG",@progbits,_ZN9rocsparseL19gebsrmvn_3xn_kernelILj128ELj5ELj4E21rocsparse_complex_numIdEEEvi20rocsparse_direction_NS_24const_host_device_scalarIT2_EEPKiS8_PKS5_SA_S6_PS5_21rocsparse_index_base_b,comdat
.Lfunc_end126:
	.size	_ZN9rocsparseL19gebsrmvn_3xn_kernelILj128ELj5ELj4E21rocsparse_complex_numIdEEEvi20rocsparse_direction_NS_24const_host_device_scalarIT2_EEPKiS8_PKS5_SA_S6_PS5_21rocsparse_index_base_b, .Lfunc_end126-_ZN9rocsparseL19gebsrmvn_3xn_kernelILj128ELj5ELj4E21rocsparse_complex_numIdEEEvi20rocsparse_direction_NS_24const_host_device_scalarIT2_EEPKiS8_PKS5_SA_S6_PS5_21rocsparse_index_base_b
                                        ; -- End function
	.section	.AMDGPU.csdata,"",@progbits
; Kernel info:
; codeLenInByte = 2908
; NumSgprs: 26
; NumVgprs: 92
; NumAgprs: 0
; TotalNumVgprs: 92
; ScratchSize: 0
; MemoryBound: 0
; FloatMode: 240
; IeeeMode: 1
; LDSByteSize: 2048 bytes/workgroup (compile time only)
; SGPRBlocks: 3
; VGPRBlocks: 11
; NumSGPRsForWavesPerEU: 26
; NumVGPRsForWavesPerEU: 92
; AccumOffset: 92
; Occupancy: 5
; WaveLimiterHint : 1
; COMPUTE_PGM_RSRC2:SCRATCH_EN: 0
; COMPUTE_PGM_RSRC2:USER_SGPR: 4
; COMPUTE_PGM_RSRC2:TRAP_HANDLER: 0
; COMPUTE_PGM_RSRC2:TGID_X_EN: 1
; COMPUTE_PGM_RSRC2:TGID_Y_EN: 0
; COMPUTE_PGM_RSRC2:TGID_Z_EN: 0
; COMPUTE_PGM_RSRC2:TIDIG_COMP_CNT: 2
; COMPUTE_PGM_RSRC3_GFX90A:ACCUM_OFFSET: 22
; COMPUTE_PGM_RSRC3_GFX90A:TG_SPLIT: 0
	.section	.text._ZN9rocsparseL19gebsrmvn_3xn_kernelILj128ELj5ELj8E21rocsparse_complex_numIdEEEvi20rocsparse_direction_NS_24const_host_device_scalarIT2_EEPKiS8_PKS5_SA_S6_PS5_21rocsparse_index_base_b,"axG",@progbits,_ZN9rocsparseL19gebsrmvn_3xn_kernelILj128ELj5ELj8E21rocsparse_complex_numIdEEEvi20rocsparse_direction_NS_24const_host_device_scalarIT2_EEPKiS8_PKS5_SA_S6_PS5_21rocsparse_index_base_b,comdat
	.globl	_ZN9rocsparseL19gebsrmvn_3xn_kernelILj128ELj5ELj8E21rocsparse_complex_numIdEEEvi20rocsparse_direction_NS_24const_host_device_scalarIT2_EEPKiS8_PKS5_SA_S6_PS5_21rocsparse_index_base_b ; -- Begin function _ZN9rocsparseL19gebsrmvn_3xn_kernelILj128ELj5ELj8E21rocsparse_complex_numIdEEEvi20rocsparse_direction_NS_24const_host_device_scalarIT2_EEPKiS8_PKS5_SA_S6_PS5_21rocsparse_index_base_b
	.p2align	8
	.type	_ZN9rocsparseL19gebsrmvn_3xn_kernelILj128ELj5ELj8E21rocsparse_complex_numIdEEEvi20rocsparse_direction_NS_24const_host_device_scalarIT2_EEPKiS8_PKS5_SA_S6_PS5_21rocsparse_index_base_b,@function
_ZN9rocsparseL19gebsrmvn_3xn_kernelILj128ELj5ELj8E21rocsparse_complex_numIdEEEvi20rocsparse_direction_NS_24const_host_device_scalarIT2_EEPKiS8_PKS5_SA_S6_PS5_21rocsparse_index_base_b: ; @_ZN9rocsparseL19gebsrmvn_3xn_kernelILj128ELj5ELj8E21rocsparse_complex_numIdEEEvi20rocsparse_direction_NS_24const_host_device_scalarIT2_EEPKiS8_PKS5_SA_S6_PS5_21rocsparse_index_base_b
; %bb.0:
	s_load_dwordx2 s[16:17], s[2:3], 0x50
	s_load_dwordx4 s[12:15], s[2:3], 0x8
	s_load_dwordx4 s[8:11], s[2:3], 0x38
	s_load_dwordx2 s[18:19], s[0:1], 0x4
	s_mov_b64 s[6:7], src_shared_base
	s_waitcnt lgkmcnt(0)
	s_bitcmp1_b32 s17, 0
	s_cselect_b64 s[0:1], -1, 0
	s_and_b64 vcc, s[0:1], exec
	s_cselect_b32 s5, s7, s13
	s_lshr_b32 s6, s18, 16
	v_bfe_u32 v1, v0, 10, 10
	v_and_b32_e32 v10, 0x3ff, v0
	s_mul_i32 s6, s6, s19
	v_mul_u32_u24_e32 v1, s19, v1
	v_mad_u32_u24 v1, s6, v10, v1
	v_bfe_u32 v0, v0, 20, 10
	v_add_lshl_u32 v4, v1, v0, 3
	v_mov_b32_e32 v5, s12
	v_add_u32_e32 v6, 0x400, v4
	v_mov_b64_e32 v[0:1], s[12:13]
	v_mov_b64_e32 v[2:3], s[8:9]
	ds_write2st64_b64 v4, v[2:3], v[0:1] offset1:2
	v_cndmask_b32_e64 v0, v5, v6, s[0:1]
	v_mov_b32_e32 v1, s5
	flat_load_dwordx2 v[0:1], v[0:1]
	s_xor_b64 s[18:19], s[0:1], -1
	v_mov_b64_e32 v[2:3], s[14:15]
	s_cbranch_vccnz .LBB127_2
; %bb.1:
	v_mov_b64_e32 v[2:3], s[12:13]
	flat_load_dwordx2 v[2:3], v[2:3] offset:8
.LBB127_2:
	s_and_b64 s[12:13], s[0:1], exec
	s_cselect_b32 s5, s7, s9
	v_mov_b32_e32 v5, s8
	v_cndmask_b32_e64 v4, v5, v4, s[0:1]
	v_mov_b32_e32 v5, s5
	flat_load_dwordx2 v[4:5], v[4:5]
	s_andn2_b64 vcc, exec, s[18:19]
	v_mov_b64_e32 v[6:7], s[10:11]
	s_cbranch_vccnz .LBB127_4
; %bb.3:
	v_mov_b64_e32 v[6:7], s[8:9]
	flat_load_dwordx2 v[6:7], v[6:7] offset:8
.LBB127_4:
	s_waitcnt vmcnt(0) lgkmcnt(0)
	v_cmp_eq_f64_e32 vcc, 0, v[0:1]
	v_cmp_eq_f64_e64 s[0:1], 0, v[2:3]
	s_and_b64 s[8:9], vcc, s[0:1]
	s_mov_b64 s[0:1], -1
	s_and_saveexec_b64 s[6:7], s[8:9]
; %bb.5:
	v_cmp_neq_f64_e32 vcc, 1.0, v[4:5]
	v_cmp_neq_f64_e64 s[0:1], 0, v[6:7]
	s_or_b64 s[0:1], vcc, s[0:1]
	s_orn2_b64 s[0:1], s[0:1], exec
; %bb.6:
	s_or_b64 exec, exec, s[6:7]
	s_and_saveexec_b64 s[6:7], s[0:1]
	s_cbranch_execz .LBB127_25
; %bb.7:
	s_load_dwordx2 s[0:1], s[2:3], 0x0
	v_lshrrev_b32_e32 v8, 3, v10
	v_lshl_or_b32 v8, s4, 4, v8
	s_waitcnt lgkmcnt(0)
	v_cmp_gt_i32_e32 vcc, s0, v8
	s_and_b64 exec, exec, vcc
	s_cbranch_execz .LBB127_25
; %bb.8:
	s_load_dwordx8 s[4:11], s[2:3], 0x18
	v_ashrrev_i32_e32 v9, 31, v8
	s_cmp_lg_u32 s1, 0
	s_waitcnt lgkmcnt(0)
	v_lshl_add_u64 v[12:13], v[8:9], 2, s[4:5]
	global_load_dwordx2 v[12:13], v[12:13], off
	v_and_b32_e32 v9, 7, v10
	s_waitcnt vmcnt(0)
	v_subrev_u32_e32 v10, s16, v12
	v_subrev_u32_e32 v34, s16, v13
	v_add_u32_e32 v16, v10, v9
	v_cmp_lt_i32_e64 s[0:1], v16, v34
	s_cbranch_scc0 .LBB127_14
; %bb.9:
	v_mov_b64_e32 v[12:13], 0
	s_mov_b64 s[4:5], 0
	v_mov_b64_e32 v[22:23], v[12:13]
	v_mov_b64_e32 v[18:19], v[12:13]
	v_mov_b64_e32 v[10:11], v[12:13]
	v_mov_b64_e32 v[20:21], v[12:13]
	v_mov_b64_e32 v[14:15], v[12:13]
	s_and_saveexec_b64 s[12:13], s[0:1]
	s_cbranch_execz .LBB127_13
; %bb.10:
	v_mad_u64_u32 v[24:25], s[14:15], v16, 15, 14
	v_mov_b64_e32 v[12:13], 0
	s_mov_b64 s[14:15], 0
	v_mov_b32_e32 v27, 0
	v_mov_b32_e32 v28, v16
	v_mov_b64_e32 v[22:23], v[12:13]
	v_mov_b64_e32 v[18:19], v[12:13]
	;; [unrolled: 1-line block ×5, first 2 shown]
.LBB127_11:                             ; =>This Inner Loop Header: Depth=1
	v_ashrrev_i32_e32 v29, 31, v28
	v_add_u32_e32 v26, -14, v24
	v_lshl_add_u64 v[32:33], v[28:29], 2, s[6:7]
	v_lshl_add_u64 v[40:41], v[26:27], 4, s[8:9]
	global_load_dword v17, v[32:33], off
	global_load_dwordx4 v[36:39], v[40:41], off
	v_add_u32_e32 v26, -13, v24
	v_mov_b32_e32 v25, v27
	v_lshl_add_u64 v[32:33], v[26:27], 4, s[8:9]
	v_add_u32_e32 v26, -12, v24
	v_lshl_add_u64 v[42:43], v[24:25], 4, s[8:9]
	v_lshl_add_u64 v[52:53], v[26:27], 4, s[8:9]
	v_add_u32_e32 v26, -11, v24
	v_mov_b32_e32 v31, v27
	global_load_dwordx4 v[40:43], v[42:43], off
	s_nop 0
	global_load_dwordx4 v[44:47], v[32:33], off
	global_load_dwordx4 v[48:51], v[52:53], off
	v_lshl_add_u64 v[32:33], v[26:27], 4, s[8:9]
	global_load_dwordx4 v[52:55], v[32:33], off
	v_add_u32_e32 v28, 8, v28
	v_cmp_ge_i32_e32 vcc, v28, v34
	s_or_b64 s[14:15], vcc, s[14:15]
	s_waitcnt vmcnt(5)
	v_subrev_u32_e32 v17, s16, v17
	v_lshl_add_u32 v30, v17, 2, v17
	v_lshl_add_u64 v[32:33], v[30:31], 4, s[10:11]
	global_load_dwordx4 v[56:59], v[32:33], off
	v_add_u32_e32 v26, 1, v30
	v_lshl_add_u64 v[32:33], v[26:27], 4, s[10:11]
	global_load_dwordx4 v[60:63], v[32:33], off
	v_add_u32_e32 v26, -10, v24
	v_lshl_add_u64 v[32:33], v[26:27], 4, s[8:9]
	v_add_u32_e32 v26, -9, v24
	global_load_dwordx4 v[64:67], v[32:33], off
	v_lshl_add_u64 v[32:33], v[26:27], 4, s[8:9]
	v_add_u32_e32 v26, -8, v24
	global_load_dwordx4 v[68:71], v[32:33], off
	v_lshl_add_u64 v[32:33], v[26:27], 4, s[8:9]
	v_add_u32_e32 v26, 2, v30
	global_load_dwordx4 v[72:75], v[32:33], off
	v_lshl_add_u64 v[32:33], v[26:27], 4, s[10:11]
	v_add_u32_e32 v26, -7, v24
	global_load_dwordx4 v[76:79], v[32:33], off
	v_lshl_add_u64 v[32:33], v[26:27], 4, s[8:9]
	v_add_u32_e32 v26, -6, v24
	v_lshl_add_u64 v[88:89], v[26:27], 4, s[8:9]
	v_add_u32_e32 v26, -5, v24
	global_load_dwordx4 v[80:83], v[32:33], off
	global_load_dwordx4 v[84:87], v[88:89], off
	v_lshl_add_u64 v[32:33], v[26:27], 4, s[8:9]
	v_add_u32_e32 v26, 3, v30
	s_waitcnt vmcnt(7)
	v_fmac_f64_e32 v[22:23], v[36:37], v[56:57]
	v_fmac_f64_e32 v[12:13], v[38:39], v[56:57]
	v_fma_f64 v[88:89], -v[38:39], v[58:59], v[22:23]
	v_lshl_add_u64 v[22:23], v[26:27], 4, s[10:11]
	v_add_u32_e32 v26, -4, v24
	v_fmac_f64_e32 v[12:13], v[36:37], v[58:59]
	global_load_dwordx4 v[36:39], v[32:33], off
	v_lshl_add_u64 v[32:33], v[26:27], 4, s[8:9]
	v_add_u32_e32 v26, -3, v24
	v_fmac_f64_e32 v[20:21], v[44:45], v[56:57]
	v_fmac_f64_e32 v[14:15], v[46:47], v[56:57]
	;; [unrolled: 1-line block ×4, first 2 shown]
	v_lshl_add_u64 v[56:57], v[26:27], 4, s[8:9]
	v_add_u32_e32 v26, -2, v24
	v_fma_f64 v[90:91], -v[46:47], v[58:59], v[20:21]
	v_fmac_f64_e32 v[14:15], v[44:45], v[58:59]
	v_fma_f64 v[18:19], -v[50:51], v[58:59], v[18:19]
	v_fmac_f64_e32 v[10:11], v[48:49], v[58:59]
	v_lshl_add_u64 v[58:59], v[26:27], 4, s[8:9]
	v_add_u32_e32 v26, 4, v30
	s_waitcnt vmcnt(7)
	v_fmac_f64_e32 v[12:13], v[54:55], v[60:61]
	global_load_dwordx4 v[20:23], v[22:23], off
	v_fmac_f64_e32 v[88:89], v[52:53], v[60:61]
	global_load_dwordx4 v[44:47], v[32:33], off
	v_fmac_f64_e32 v[12:13], v[52:53], v[62:63]
	v_lshl_add_u64 v[52:53], v[26:27], 4, s[10:11]
	v_add_u32_e32 v26, -1, v24
	global_load_dwordx4 v[30:33], v[56:57], off
	global_load_dwordx4 v[48:51], v[58:59], off
	v_lshl_add_u64 v[56:57], v[26:27], 4, s[8:9]
	v_fma_f64 v[88:89], -v[54:55], v[62:63], v[88:89]
	global_load_dwordx4 v[52:55], v[52:53], off
	s_waitcnt vmcnt(11)
	v_fmac_f64_e32 v[90:91], v[64:65], v[60:61]
	global_load_dwordx4 v[56:59], v[56:57], off
	v_fmac_f64_e32 v[14:15], v[66:67], v[60:61]
	s_waitcnt vmcnt(11)
	v_fmac_f64_e32 v[18:19], v[68:69], v[60:61]
	v_fmac_f64_e32 v[10:11], v[70:71], v[60:61]
	v_fma_f64 v[66:67], -v[66:67], v[62:63], v[90:91]
	v_fmac_f64_e32 v[14:15], v[64:65], v[62:63]
	v_fma_f64 v[18:19], -v[70:71], v[62:63], v[18:19]
	v_fmac_f64_e32 v[10:11], v[68:69], v[62:63]
	s_waitcnt vmcnt(9)
	v_fmac_f64_e32 v[88:89], v[72:73], v[76:77]
	v_fmac_f64_e32 v[12:13], v[74:75], v[76:77]
	s_waitcnt vmcnt(8)
	v_fmac_f64_e32 v[66:67], v[80:81], v[76:77]
	;; [unrolled: 3-line block ×3, first 2 shown]
	v_fmac_f64_e32 v[10:11], v[86:87], v[76:77]
	v_fma_f64 v[60:61], -v[74:75], v[78:79], v[88:89]
	v_fmac_f64_e32 v[12:13], v[72:73], v[78:79]
	v_fma_f64 v[62:63], -v[82:83], v[78:79], v[66:67]
	;; [unrolled: 2-line block ×3, first 2 shown]
	v_fmac_f64_e32 v[10:11], v[84:85], v[78:79]
	v_add_u32_e32 v24, 0x78, v24
	s_waitcnt vmcnt(5)
	v_fmac_f64_e32 v[60:61], v[36:37], v[20:21]
	v_fmac_f64_e32 v[12:13], v[38:39], v[20:21]
	s_waitcnt vmcnt(4)
	v_fmac_f64_e32 v[62:63], v[44:45], v[20:21]
	v_fmac_f64_e32 v[14:15], v[46:47], v[20:21]
	v_fma_f64 v[38:39], -v[38:39], v[22:23], v[60:61]
	s_waitcnt vmcnt(3)
	v_fmac_f64_e32 v[18:19], v[30:31], v[20:21]
	v_fmac_f64_e32 v[10:11], v[32:33], v[20:21]
	;; [unrolled: 1-line block ×3, first 2 shown]
	v_fma_f64 v[36:37], -v[46:47], v[22:23], v[62:63]
	v_fmac_f64_e32 v[14:15], v[44:45], v[22:23]
	v_fma_f64 v[18:19], -v[32:33], v[22:23], v[18:19]
	v_fmac_f64_e32 v[10:11], v[30:31], v[22:23]
	s_waitcnt vmcnt(1)
	v_fmac_f64_e32 v[38:39], v[48:49], v[52:53]
	v_fmac_f64_e32 v[12:13], v[50:51], v[52:53]
	;; [unrolled: 1-line block ×4, first 2 shown]
	s_waitcnt vmcnt(0)
	v_fmac_f64_e32 v[36:37], v[56:57], v[52:53]
	v_fmac_f64_e32 v[14:15], v[58:59], v[52:53]
	v_fma_f64 v[22:23], -v[50:51], v[54:55], v[38:39]
	v_fmac_f64_e32 v[12:13], v[48:49], v[54:55]
	v_fma_f64 v[18:19], -v[42:43], v[54:55], v[18:19]
	;; [unrolled: 2-line block ×3, first 2 shown]
	v_fmac_f64_e32 v[14:15], v[56:57], v[54:55]
	s_andn2_b64 exec, exec, s[14:15]
	s_cbranch_execnz .LBB127_11
; %bb.12:
	s_or_b64 exec, exec, s[14:15]
.LBB127_13:
	s_or_b64 exec, exec, s[12:13]
	s_andn2_b64 vcc, exec, s[4:5]
	s_cbranch_vccz .LBB127_15
	s_branch .LBB127_20
.LBB127_14:
                                        ; implicit-def: $vgpr12_vgpr13
                                        ; implicit-def: $vgpr22_vgpr23
                                        ; implicit-def: $vgpr18_vgpr19
                                        ; implicit-def: $vgpr10_vgpr11
                                        ; implicit-def: $vgpr20_vgpr21
                                        ; implicit-def: $vgpr14_vgpr15
.LBB127_15:
	v_mov_b64_e32 v[12:13], 0
	v_mov_b64_e32 v[22:23], v[12:13]
	v_mov_b64_e32 v[18:19], v[12:13]
	v_mov_b64_e32 v[10:11], v[12:13]
	v_mov_b64_e32 v[20:21], v[12:13]
	v_mov_b64_e32 v[14:15], v[12:13]
	s_and_saveexec_b64 s[4:5], s[0:1]
	s_cbranch_execz .LBB127_19
; %bb.16:
	v_mad_u64_u32 v[24:25], s[0:1], v16, 15, 14
	v_mov_b64_e32 v[12:13], 0
	s_mov_b64 s[0:1], 0
	v_mov_b32_e32 v27, 0
	v_mov_b64_e32 v[22:23], v[12:13]
	v_mov_b64_e32 v[18:19], v[12:13]
	;; [unrolled: 1-line block ×5, first 2 shown]
.LBB127_17:                             ; =>This Inner Loop Header: Depth=1
	v_ashrrev_i32_e32 v17, 31, v16
	v_add_u32_e32 v26, -14, v24
	v_add_u32_e32 v32, -9, v24
	;; [unrolled: 1-line block ×3, first 2 shown]
	v_mov_b32_e32 v33, v27
	v_mov_b32_e32 v31, v27
	v_lshl_add_u64 v[44:45], v[16:17], 2, s[6:7]
	v_lshl_add_u64 v[46:47], v[26:27], 4, s[8:9]
	;; [unrolled: 1-line block ×4, first 2 shown]
	global_load_dword v17, v[44:45], off
	global_load_dwordx4 v[30:33], v[46:47], off
	global_load_dwordx4 v[36:39], v[48:49], off
	;; [unrolled: 1-line block ×3, first 2 shown]
	v_mov_b32_e32 v29, v27
	v_add_u32_e32 v26, -13, v24
	v_lshl_add_u64 v[44:45], v[26:27], 4, s[8:9]
	global_load_dwordx4 v[44:47], v[44:45], off
	v_mov_b32_e32 v25, v27
	v_lshl_add_u64 v[76:77], v[24:25], 4, s[8:9]
	v_add_u32_e32 v16, 8, v16
	v_cmp_ge_i32_e32 vcc, v16, v34
	s_or_b64 s[0:1], vcc, s[0:1]
	s_waitcnt vmcnt(4)
	v_subrev_u32_e32 v17, s16, v17
	v_lshl_add_u32 v28, v17, 2, v17
	v_lshl_add_u64 v[48:49], v[28:29], 4, s[10:11]
	global_load_dwordx4 v[48:51], v[48:49], off
	v_add_u32_e32 v26, 1, v28
	v_lshl_add_u64 v[52:53], v[26:27], 4, s[10:11]
	global_load_dwordx4 v[52:55], v[52:53], off
	v_add_u32_e32 v26, -8, v24
	v_lshl_add_u64 v[56:57], v[26:27], 4, s[8:9]
	v_add_u32_e32 v26, -3, v24
	global_load_dwordx4 v[56:59], v[56:57], off
	v_lshl_add_u64 v[60:61], v[26:27], 4, s[8:9]
	global_load_dwordx4 v[60:63], v[60:61], off
	v_add_u32_e32 v26, -12, v24
	v_lshl_add_u64 v[64:65], v[26:27], 4, s[8:9]
	v_add_u32_e32 v26, 2, v28
	v_lshl_add_u64 v[68:69], v[26:27], 4, s[10:11]
	v_add_u32_e32 v26, -7, v24
	v_lshl_add_u64 v[78:79], v[26:27], 4, s[8:9]
	v_add_u32_e32 v26, -2, v24
	;; [unrolled: 2-line block ×3, first 2 shown]
	global_load_dwordx4 v[64:67], v[64:65], off
	s_waitcnt vmcnt(4)
	v_fmac_f64_e32 v[22:23], v[30:31], v[48:49]
	v_fmac_f64_e32 v[12:13], v[32:33], v[48:49]
	;; [unrolled: 1-line block ×3, first 2 shown]
	global_load_dwordx4 v[68:71], v[68:69], off
	v_fma_f64 v[82:83], -v[32:33], v[50:51], v[22:23]
	v_fmac_f64_e32 v[12:13], v[30:31], v[50:51]
	global_load_dwordx4 v[30:33], v[78:79], off
	global_load_dwordx4 v[72:75], v[80:81], off
	v_fmac_f64_e32 v[14:15], v[38:39], v[48:49]
	v_fma_f64 v[78:79], -v[38:39], v[50:51], v[20:21]
	v_lshl_add_u64 v[20:21], v[26:27], 4, s[8:9]
	v_add_u32_e32 v26, 3, v28
	v_fmac_f64_e32 v[14:15], v[36:37], v[50:51]
	v_fmac_f64_e32 v[10:11], v[42:43], v[48:49]
	v_lshl_add_u64 v[36:37], v[26:27], 4, s[10:11]
	v_add_u32_e32 v26, -6, v24
	v_fmac_f64_e32 v[18:19], v[40:41], v[48:49]
	v_fmac_f64_e32 v[10:11], v[40:41], v[50:51]
	v_lshl_add_u64 v[40:41], v[26:27], 4, s[8:9]
	v_add_u32_e32 v26, -1, v24
	v_lshl_add_u64 v[48:49], v[26:27], 4, s[8:9]
	v_add_u32_e32 v26, -10, v24
	v_fma_f64 v[18:19], -v[42:43], v[50:51], v[18:19]
	s_waitcnt vmcnt(6)
	v_fmac_f64_e32 v[82:83], v[44:45], v[52:53]
	v_fmac_f64_e32 v[12:13], v[46:47], v[52:53]
	v_lshl_add_u64 v[50:51], v[26:27], 4, s[8:9]
	v_add_u32_e32 v26, 4, v28
	s_waitcnt vmcnt(5)
	v_fmac_f64_e32 v[14:15], v[58:59], v[52:53]
	global_load_dwordx4 v[20:23], v[20:21], off
	v_fma_f64 v[80:81], -v[46:47], v[54:55], v[82:83]
	global_load_dwordx4 v[36:39], v[36:37], off
	v_fmac_f64_e32 v[12:13], v[44:45], v[54:55]
	global_load_dwordx4 v[40:43], v[40:41], off
	v_fmac_f64_e32 v[78:79], v[56:57], v[52:53]
	;; [unrolled: 2-line block ×3, first 2 shown]
	v_lshl_add_u64 v[56:57], v[26:27], 4, s[10:11]
	v_add_u32_e32 v26, -5, v24
	v_fma_f64 v[28:29], -v[58:59], v[54:55], v[78:79]
	s_waitcnt vmcnt(8)
	v_fmac_f64_e32 v[18:19], v[60:61], v[52:53]
	v_fmac_f64_e32 v[10:11], v[62:63], v[52:53]
	v_lshl_add_u64 v[78:79], v[26:27], 4, s[8:9]
	global_load_dwordx4 v[48:51], v[50:51], off
	v_fma_f64 v[18:19], -v[62:63], v[54:55], v[18:19]
	v_fmac_f64_e32 v[10:11], v[60:61], v[54:55]
	global_load_dwordx4 v[52:55], v[56:57], off
	s_nop 0
	global_load_dwordx4 v[56:59], v[78:79], off
	global_load_dwordx4 v[60:63], v[76:77], off
	v_add_u32_e32 v24, 0x78, v24
	s_waitcnt vmcnt(10)
	v_fmac_f64_e32 v[80:81], v[64:65], v[68:69]
	v_fmac_f64_e32 v[12:13], v[66:67], v[68:69]
	s_waitcnt vmcnt(9)
	v_fmac_f64_e32 v[28:29], v[30:31], v[68:69]
	v_fmac_f64_e32 v[14:15], v[32:33], v[68:69]
	s_waitcnt vmcnt(8)
	v_fmac_f64_e32 v[18:19], v[72:73], v[68:69]
	v_fmac_f64_e32 v[10:11], v[74:75], v[68:69]
	v_fma_f64 v[66:67], -v[66:67], v[70:71], v[80:81]
	v_fmac_f64_e32 v[12:13], v[64:65], v[70:71]
	v_fma_f64 v[28:29], -v[32:33], v[70:71], v[28:29]
	v_fmac_f64_e32 v[14:15], v[30:31], v[70:71]
	v_fma_f64 v[18:19], -v[74:75], v[70:71], v[18:19]
	v_fmac_f64_e32 v[10:11], v[72:73], v[70:71]
	s_waitcnt vmcnt(6)
	v_fmac_f64_e32 v[66:67], v[20:21], v[36:37]
	v_fmac_f64_e32 v[12:13], v[22:23], v[36:37]
	s_waitcnt vmcnt(5)
	v_fmac_f64_e32 v[28:29], v[40:41], v[36:37]
	v_fmac_f64_e32 v[14:15], v[42:43], v[36:37]
	s_waitcnt vmcnt(4)
	v_fmac_f64_e32 v[18:19], v[44:45], v[36:37]
	v_fmac_f64_e32 v[10:11], v[46:47], v[36:37]
	v_fma_f64 v[22:23], -v[22:23], v[38:39], v[66:67]
	v_fmac_f64_e32 v[12:13], v[20:21], v[38:39]
	v_fma_f64 v[20:21], -v[42:43], v[38:39], v[28:29]
	v_fmac_f64_e32 v[14:15], v[40:41], v[38:39]
	v_fma_f64 v[18:19], -v[46:47], v[38:39], v[18:19]
	v_fmac_f64_e32 v[10:11], v[44:45], v[38:39]
	;; [unrolled: 15-line block ×3, first 2 shown]
	s_andn2_b64 exec, exec, s[0:1]
	s_cbranch_execnz .LBB127_17
; %bb.18:
	s_or_b64 exec, exec, s[0:1]
.LBB127_19:
	s_or_b64 exec, exec, s[4:5]
.LBB127_20:
	v_mov_b32_dpp v26, v20 row_shr:1 row_mask:0xf bank_mask:0xf
	v_mov_b32_dpp v27, v21 row_shr:1 row_mask:0xf bank_mask:0xf
	v_add_f64 v[20:21], v[20:21], v[26:27]
	v_mov_b32_dpp v16, v22 row_shr:1 row_mask:0xf bank_mask:0xf
	v_mov_b32_dpp v17, v23 row_shr:1 row_mask:0xf bank_mask:0xf
	;; [unrolled: 1-line block ×4, first 2 shown]
	v_add_f64 v[26:27], v[20:21], v[26:27]
	v_mov_b32_dpp v20, v14 row_shr:1 row_mask:0xf bank_mask:0xf
	v_mov_b32_dpp v21, v15 row_shr:1 row_mask:0xf bank_mask:0xf
	v_add_f64 v[14:15], v[14:15], v[20:21]
	v_mov_b32_dpp v24, v12 row_shr:1 row_mask:0xf bank_mask:0xf
	v_mov_b32_dpp v25, v13 row_shr:1 row_mask:0xf bank_mask:0xf
	;; [unrolled: 1-line block ×4, first 2 shown]
	v_add_f64 v[14:15], v[14:15], v[20:21]
	v_mov_b32_dpp v20, v18 row_shr:1 row_mask:0xf bank_mask:0xf
	v_mov_b32_dpp v21, v19 row_shr:1 row_mask:0xf bank_mask:0xf
	v_add_f64 v[18:19], v[18:19], v[20:21]
	v_add_f64 v[16:17], v[22:23], v[16:17]
	v_add_f64 v[12:13], v[12:13], v[24:25]
	v_mov_b32_dpp v20, v18 row_shr:2 row_mask:0xf bank_mask:0xf
	v_mov_b32_dpp v21, v19 row_shr:2 row_mask:0xf bank_mask:0xf
	v_add_f64 v[32:33], v[18:19], v[20:21]
	v_mov_b32_dpp v18, v10 row_shr:1 row_mask:0xf bank_mask:0xf
	v_mov_b32_dpp v19, v11 row_shr:1 row_mask:0xf bank_mask:0xf
	v_add_f64 v[10:11], v[10:11], v[18:19]
	v_mov_b32_dpp v22, v16 row_shr:2 row_mask:0xf bank_mask:0xf
	v_mov_b32_dpp v23, v17 row_shr:2 row_mask:0xf bank_mask:0xf
	;; [unrolled: 1-line block ×6, first 2 shown]
	v_add_f64 v[16:17], v[16:17], v[22:23]
	v_add_f64 v[12:13], v[12:13], v[24:25]
	;; [unrolled: 1-line block ×3, first 2 shown]
	v_mov_b32_dpp v22, v16 row_shr:4 row_mask:0xf bank_mask:0xe
	v_mov_b32_dpp v23, v17 row_shr:4 row_mask:0xf bank_mask:0xe
	;; [unrolled: 1-line block ×12, first 2 shown]
	v_cmp_eq_u32_e32 vcc, 7, v9
	s_and_b64 exec, exec, vcc
	s_cbranch_execz .LBB127_25
; %bb.21:
	s_load_dwordx2 s[2:3], s[2:3], 0x48
	v_cmp_eq_f64_e32 vcc, 0, v[4:5]
	v_cmp_eq_f64_e64 s[0:1], 0, v[6:7]
	v_add_f64 v[16:17], v[16:17], v[22:23]
	v_add_f64 v[20:21], v[12:13], v[24:25]
	;; [unrolled: 1-line block ×6, first 2 shown]
	s_and_b64 s[0:1], vcc, s[0:1]
	s_and_saveexec_b64 s[4:5], s[0:1]
	s_xor_b64 s[0:1], exec, s[4:5]
	s_cbranch_execz .LBB127_23
; %bb.22:
	v_lshl_add_u32 v8, v8, 1, v8
	v_mul_f64 v[4:5], v[20:21], -v[2:3]
	v_mul_f64 v[6:7], v[0:1], v[20:21]
	v_ashrrev_i32_e32 v9, 31, v8
	v_fmac_f64_e32 v[4:5], v[0:1], v[16:17]
	v_fmac_f64_e32 v[6:7], v[2:3], v[16:17]
	s_waitcnt lgkmcnt(0)
	v_lshl_add_u64 v[8:9], v[8:9], 4, s[2:3]
	global_store_dwordx4 v[8:9], v[4:7], off
                                        ; implicit-def: $vgpr16_vgpr17
                                        ; implicit-def: $vgpr20_vgpr21
	s_nop 1
	v_mul_f64 v[4:5], v[18:19], -v[2:3]
	v_mul_f64 v[6:7], v[0:1], v[18:19]
	v_fmac_f64_e32 v[4:5], v[0:1], v[12:13]
	v_fmac_f64_e32 v[6:7], v[2:3], v[12:13]
	global_store_dwordx4 v[8:9], v[4:7], off offset:16
                                        ; implicit-def: $vgpr12_vgpr13
                                        ; implicit-def: $vgpr18_vgpr19
	s_nop 1
	v_mul_f64 v[4:5], v[14:15], -v[2:3]
	v_mul_f64 v[6:7], v[0:1], v[14:15]
	v_fmac_f64_e32 v[4:5], v[0:1], v[10:11]
	v_fmac_f64_e32 v[6:7], v[2:3], v[10:11]
	global_store_dwordx4 v[8:9], v[4:7], off offset:32
                                        ; implicit-def: $vgpr0_vgpr1
                                        ; implicit-def: $vgpr2_vgpr3
                                        ; implicit-def: $vgpr4_vgpr5
                                        ; implicit-def: $vgpr6_vgpr7
                                        ; implicit-def: $vgpr8
                                        ; implicit-def: $vgpr10_vgpr11
                                        ; implicit-def: $vgpr14_vgpr15
.LBB127_23:
	s_andn2_saveexec_b64 s[0:1], s[0:1]
	s_cbranch_execz .LBB127_25
; %bb.24:
	v_lshl_add_u32 v8, v8, 1, v8
	v_ashrrev_i32_e32 v9, 31, v8
	s_waitcnt lgkmcnt(0)
	v_lshl_add_u64 v[38:39], v[8:9], 4, s[2:3]
	global_load_dwordx4 v[22:25], v[38:39], off
	global_load_dwordx4 v[26:29], v[38:39], off offset:16
	global_load_dwordx4 v[30:33], v[38:39], off offset:32
	v_mul_f64 v[34:35], v[20:21], -v[2:3]
	v_mul_f64 v[20:21], v[0:1], v[20:21]
	v_mul_f64 v[40:41], v[18:19], -v[2:3]
	v_mul_f64 v[36:37], v[0:1], v[18:19]
	v_mul_f64 v[42:43], v[14:15], -v[2:3]
	v_mul_f64 v[8:9], v[0:1], v[14:15]
	v_fmac_f64_e32 v[34:35], v[0:1], v[16:17]
	v_fmac_f64_e32 v[20:21], v[2:3], v[16:17]
	;; [unrolled: 1-line block ×6, first 2 shown]
	s_waitcnt vmcnt(2)
	v_fmac_f64_e32 v[34:35], v[4:5], v[22:23]
	v_fmac_f64_e32 v[20:21], v[6:7], v[22:23]
	s_waitcnt vmcnt(1)
	v_fmac_f64_e32 v[40:41], v[4:5], v[26:27]
	v_fmac_f64_e32 v[36:37], v[6:7], v[26:27]
	;; [unrolled: 3-line block ×3, first 2 shown]
	v_fma_f64 v[18:19], -v[6:7], v[24:25], v[34:35]
	v_fmac_f64_e32 v[20:21], v[4:5], v[24:25]
	v_fma_f64 v[34:35], -v[6:7], v[28:29], v[40:41]
	v_fmac_f64_e32 v[36:37], v[4:5], v[28:29]
	;; [unrolled: 2-line block ×3, first 2 shown]
	global_store_dwordx4 v[38:39], v[18:21], off
	global_store_dwordx4 v[38:39], v[34:37], off offset:16
	global_store_dwordx4 v[38:39], v[6:9], off offset:32
.LBB127_25:
	s_endpgm
	.section	.rodata,"a",@progbits
	.p2align	6, 0x0
	.amdhsa_kernel _ZN9rocsparseL19gebsrmvn_3xn_kernelILj128ELj5ELj8E21rocsparse_complex_numIdEEEvi20rocsparse_direction_NS_24const_host_device_scalarIT2_EEPKiS8_PKS5_SA_S6_PS5_21rocsparse_index_base_b
		.amdhsa_group_segment_fixed_size 2048
		.amdhsa_private_segment_fixed_size 0
		.amdhsa_kernarg_size 88
		.amdhsa_user_sgpr_count 4
		.amdhsa_user_sgpr_dispatch_ptr 1
		.amdhsa_user_sgpr_queue_ptr 0
		.amdhsa_user_sgpr_kernarg_segment_ptr 1
		.amdhsa_user_sgpr_dispatch_id 0
		.amdhsa_user_sgpr_kernarg_preload_length 0
		.amdhsa_user_sgpr_kernarg_preload_offset 0
		.amdhsa_user_sgpr_private_segment_size 0
		.amdhsa_uses_dynamic_stack 0
		.amdhsa_enable_private_segment 0
		.amdhsa_system_sgpr_workgroup_id_x 1
		.amdhsa_system_sgpr_workgroup_id_y 0
		.amdhsa_system_sgpr_workgroup_id_z 0
		.amdhsa_system_sgpr_workgroup_info 0
		.amdhsa_system_vgpr_workitem_id 2
		.amdhsa_next_free_vgpr 92
		.amdhsa_next_free_sgpr 20
		.amdhsa_accum_offset 92
		.amdhsa_reserve_vcc 1
		.amdhsa_float_round_mode_32 0
		.amdhsa_float_round_mode_16_64 0
		.amdhsa_float_denorm_mode_32 3
		.amdhsa_float_denorm_mode_16_64 3
		.amdhsa_dx10_clamp 1
		.amdhsa_ieee_mode 1
		.amdhsa_fp16_overflow 0
		.amdhsa_tg_split 0
		.amdhsa_exception_fp_ieee_invalid_op 0
		.amdhsa_exception_fp_denorm_src 0
		.amdhsa_exception_fp_ieee_div_zero 0
		.amdhsa_exception_fp_ieee_overflow 0
		.amdhsa_exception_fp_ieee_underflow 0
		.amdhsa_exception_fp_ieee_inexact 0
		.amdhsa_exception_int_div_zero 0
	.end_amdhsa_kernel
	.section	.text._ZN9rocsparseL19gebsrmvn_3xn_kernelILj128ELj5ELj8E21rocsparse_complex_numIdEEEvi20rocsparse_direction_NS_24const_host_device_scalarIT2_EEPKiS8_PKS5_SA_S6_PS5_21rocsparse_index_base_b,"axG",@progbits,_ZN9rocsparseL19gebsrmvn_3xn_kernelILj128ELj5ELj8E21rocsparse_complex_numIdEEEvi20rocsparse_direction_NS_24const_host_device_scalarIT2_EEPKiS8_PKS5_SA_S6_PS5_21rocsparse_index_base_b,comdat
.Lfunc_end127:
	.size	_ZN9rocsparseL19gebsrmvn_3xn_kernelILj128ELj5ELj8E21rocsparse_complex_numIdEEEvi20rocsparse_direction_NS_24const_host_device_scalarIT2_EEPKiS8_PKS5_SA_S6_PS5_21rocsparse_index_base_b, .Lfunc_end127-_ZN9rocsparseL19gebsrmvn_3xn_kernelILj128ELj5ELj8E21rocsparse_complex_numIdEEEvi20rocsparse_direction_NS_24const_host_device_scalarIT2_EEPKiS8_PKS5_SA_S6_PS5_21rocsparse_index_base_b
                                        ; -- End function
	.section	.AMDGPU.csdata,"",@progbits
; Kernel info:
; codeLenInByte = 3060
; NumSgprs: 26
; NumVgprs: 92
; NumAgprs: 0
; TotalNumVgprs: 92
; ScratchSize: 0
; MemoryBound: 0
; FloatMode: 240
; IeeeMode: 1
; LDSByteSize: 2048 bytes/workgroup (compile time only)
; SGPRBlocks: 3
; VGPRBlocks: 11
; NumSGPRsForWavesPerEU: 26
; NumVGPRsForWavesPerEU: 92
; AccumOffset: 92
; Occupancy: 5
; WaveLimiterHint : 1
; COMPUTE_PGM_RSRC2:SCRATCH_EN: 0
; COMPUTE_PGM_RSRC2:USER_SGPR: 4
; COMPUTE_PGM_RSRC2:TRAP_HANDLER: 0
; COMPUTE_PGM_RSRC2:TGID_X_EN: 1
; COMPUTE_PGM_RSRC2:TGID_Y_EN: 0
; COMPUTE_PGM_RSRC2:TGID_Z_EN: 0
; COMPUTE_PGM_RSRC2:TIDIG_COMP_CNT: 2
; COMPUTE_PGM_RSRC3_GFX90A:ACCUM_OFFSET: 22
; COMPUTE_PGM_RSRC3_GFX90A:TG_SPLIT: 0
	.section	.text._ZN9rocsparseL19gebsrmvn_3xn_kernelILj128ELj5ELj16E21rocsparse_complex_numIdEEEvi20rocsparse_direction_NS_24const_host_device_scalarIT2_EEPKiS8_PKS5_SA_S6_PS5_21rocsparse_index_base_b,"axG",@progbits,_ZN9rocsparseL19gebsrmvn_3xn_kernelILj128ELj5ELj16E21rocsparse_complex_numIdEEEvi20rocsparse_direction_NS_24const_host_device_scalarIT2_EEPKiS8_PKS5_SA_S6_PS5_21rocsparse_index_base_b,comdat
	.globl	_ZN9rocsparseL19gebsrmvn_3xn_kernelILj128ELj5ELj16E21rocsparse_complex_numIdEEEvi20rocsparse_direction_NS_24const_host_device_scalarIT2_EEPKiS8_PKS5_SA_S6_PS5_21rocsparse_index_base_b ; -- Begin function _ZN9rocsparseL19gebsrmvn_3xn_kernelILj128ELj5ELj16E21rocsparse_complex_numIdEEEvi20rocsparse_direction_NS_24const_host_device_scalarIT2_EEPKiS8_PKS5_SA_S6_PS5_21rocsparse_index_base_b
	.p2align	8
	.type	_ZN9rocsparseL19gebsrmvn_3xn_kernelILj128ELj5ELj16E21rocsparse_complex_numIdEEEvi20rocsparse_direction_NS_24const_host_device_scalarIT2_EEPKiS8_PKS5_SA_S6_PS5_21rocsparse_index_base_b,@function
_ZN9rocsparseL19gebsrmvn_3xn_kernelILj128ELj5ELj16E21rocsparse_complex_numIdEEEvi20rocsparse_direction_NS_24const_host_device_scalarIT2_EEPKiS8_PKS5_SA_S6_PS5_21rocsparse_index_base_b: ; @_ZN9rocsparseL19gebsrmvn_3xn_kernelILj128ELj5ELj16E21rocsparse_complex_numIdEEEvi20rocsparse_direction_NS_24const_host_device_scalarIT2_EEPKiS8_PKS5_SA_S6_PS5_21rocsparse_index_base_b
; %bb.0:
	s_load_dwordx2 s[16:17], s[2:3], 0x50
	s_load_dwordx4 s[12:15], s[2:3], 0x8
	s_load_dwordx4 s[8:11], s[2:3], 0x38
	s_load_dwordx2 s[18:19], s[0:1], 0x4
	s_mov_b64 s[6:7], src_shared_base
	s_waitcnt lgkmcnt(0)
	s_bitcmp1_b32 s17, 0
	s_cselect_b64 s[0:1], -1, 0
	s_and_b64 vcc, s[0:1], exec
	s_cselect_b32 s5, s7, s13
	s_lshr_b32 s6, s18, 16
	v_bfe_u32 v1, v0, 10, 10
	v_and_b32_e32 v10, 0x3ff, v0
	s_mul_i32 s6, s6, s19
	v_mul_u32_u24_e32 v1, s19, v1
	v_mad_u32_u24 v1, s6, v10, v1
	v_bfe_u32 v0, v0, 20, 10
	v_add_lshl_u32 v4, v1, v0, 3
	v_mov_b32_e32 v5, s12
	v_add_u32_e32 v6, 0x400, v4
	v_mov_b64_e32 v[0:1], s[12:13]
	v_mov_b64_e32 v[2:3], s[8:9]
	ds_write2st64_b64 v4, v[2:3], v[0:1] offset1:2
	v_cndmask_b32_e64 v0, v5, v6, s[0:1]
	v_mov_b32_e32 v1, s5
	flat_load_dwordx2 v[0:1], v[0:1]
	s_xor_b64 s[18:19], s[0:1], -1
	v_mov_b64_e32 v[2:3], s[14:15]
	s_cbranch_vccnz .LBB128_2
; %bb.1:
	v_mov_b64_e32 v[2:3], s[12:13]
	flat_load_dwordx2 v[2:3], v[2:3] offset:8
.LBB128_2:
	s_and_b64 s[12:13], s[0:1], exec
	s_cselect_b32 s5, s7, s9
	v_mov_b32_e32 v5, s8
	v_cndmask_b32_e64 v4, v5, v4, s[0:1]
	v_mov_b32_e32 v5, s5
	flat_load_dwordx2 v[4:5], v[4:5]
	s_andn2_b64 vcc, exec, s[18:19]
	v_mov_b64_e32 v[6:7], s[10:11]
	s_cbranch_vccnz .LBB128_4
; %bb.3:
	v_mov_b64_e32 v[6:7], s[8:9]
	flat_load_dwordx2 v[6:7], v[6:7] offset:8
.LBB128_4:
	s_waitcnt vmcnt(0) lgkmcnt(0)
	v_cmp_eq_f64_e32 vcc, 0, v[0:1]
	v_cmp_eq_f64_e64 s[0:1], 0, v[2:3]
	s_and_b64 s[8:9], vcc, s[0:1]
	s_mov_b64 s[0:1], -1
	s_and_saveexec_b64 s[6:7], s[8:9]
; %bb.5:
	v_cmp_neq_f64_e32 vcc, 1.0, v[4:5]
	v_cmp_neq_f64_e64 s[0:1], 0, v[6:7]
	s_or_b64 s[0:1], vcc, s[0:1]
	s_orn2_b64 s[0:1], s[0:1], exec
; %bb.6:
	s_or_b64 exec, exec, s[6:7]
	s_and_saveexec_b64 s[6:7], s[0:1]
	s_cbranch_execz .LBB128_25
; %bb.7:
	s_load_dwordx2 s[0:1], s[2:3], 0x0
	v_lshrrev_b32_e32 v8, 4, v10
	v_lshl_or_b32 v8, s4, 3, v8
	s_waitcnt lgkmcnt(0)
	v_cmp_gt_i32_e32 vcc, s0, v8
	s_and_b64 exec, exec, vcc
	s_cbranch_execz .LBB128_25
; %bb.8:
	s_load_dwordx8 s[4:11], s[2:3], 0x18
	v_ashrrev_i32_e32 v9, 31, v8
	s_cmp_lg_u32 s1, 0
	s_waitcnt lgkmcnt(0)
	v_lshl_add_u64 v[12:13], v[8:9], 2, s[4:5]
	global_load_dwordx2 v[12:13], v[12:13], off
	v_and_b32_e32 v9, 15, v10
	s_waitcnt vmcnt(0)
	v_subrev_u32_e32 v10, s16, v12
	v_subrev_u32_e32 v34, s16, v13
	v_add_u32_e32 v16, v10, v9
	v_cmp_lt_i32_e64 s[0:1], v16, v34
	s_cbranch_scc0 .LBB128_14
; %bb.9:
	v_mov_b64_e32 v[12:13], 0
	s_mov_b64 s[4:5], 0
	v_mov_b64_e32 v[22:23], v[12:13]
	v_mov_b64_e32 v[18:19], v[12:13]
	;; [unrolled: 1-line block ×5, first 2 shown]
	s_and_saveexec_b64 s[12:13], s[0:1]
	s_cbranch_execz .LBB128_13
; %bb.10:
	v_mad_u64_u32 v[24:25], s[14:15], v16, 15, 14
	v_mov_b64_e32 v[12:13], 0
	s_mov_b64 s[14:15], 0
	v_mov_b32_e32 v27, 0
	v_mov_b32_e32 v28, v16
	v_mov_b64_e32 v[22:23], v[12:13]
	v_mov_b64_e32 v[18:19], v[12:13]
	;; [unrolled: 1-line block ×5, first 2 shown]
.LBB128_11:                             ; =>This Inner Loop Header: Depth=1
	v_ashrrev_i32_e32 v29, 31, v28
	v_add_u32_e32 v26, -14, v24
	v_lshl_add_u64 v[32:33], v[28:29], 2, s[6:7]
	v_lshl_add_u64 v[40:41], v[26:27], 4, s[8:9]
	global_load_dword v17, v[32:33], off
	global_load_dwordx4 v[36:39], v[40:41], off
	v_add_u32_e32 v26, -13, v24
	v_mov_b32_e32 v25, v27
	v_lshl_add_u64 v[32:33], v[26:27], 4, s[8:9]
	v_add_u32_e32 v26, -12, v24
	v_lshl_add_u64 v[42:43], v[24:25], 4, s[8:9]
	v_lshl_add_u64 v[52:53], v[26:27], 4, s[8:9]
	v_add_u32_e32 v26, -11, v24
	v_mov_b32_e32 v31, v27
	global_load_dwordx4 v[40:43], v[42:43], off
	s_nop 0
	global_load_dwordx4 v[44:47], v[32:33], off
	global_load_dwordx4 v[48:51], v[52:53], off
	v_lshl_add_u64 v[32:33], v[26:27], 4, s[8:9]
	global_load_dwordx4 v[52:55], v[32:33], off
	v_add_u32_e32 v28, 16, v28
	v_cmp_ge_i32_e32 vcc, v28, v34
	s_or_b64 s[14:15], vcc, s[14:15]
	s_waitcnt vmcnt(5)
	v_subrev_u32_e32 v17, s16, v17
	v_lshl_add_u32 v30, v17, 2, v17
	v_lshl_add_u64 v[32:33], v[30:31], 4, s[10:11]
	global_load_dwordx4 v[56:59], v[32:33], off
	v_add_u32_e32 v26, 1, v30
	v_lshl_add_u64 v[32:33], v[26:27], 4, s[10:11]
	global_load_dwordx4 v[60:63], v[32:33], off
	v_add_u32_e32 v26, -10, v24
	v_lshl_add_u64 v[32:33], v[26:27], 4, s[8:9]
	v_add_u32_e32 v26, -9, v24
	global_load_dwordx4 v[64:67], v[32:33], off
	v_lshl_add_u64 v[32:33], v[26:27], 4, s[8:9]
	v_add_u32_e32 v26, -8, v24
	global_load_dwordx4 v[68:71], v[32:33], off
	v_lshl_add_u64 v[32:33], v[26:27], 4, s[8:9]
	v_add_u32_e32 v26, 2, v30
	global_load_dwordx4 v[72:75], v[32:33], off
	v_lshl_add_u64 v[32:33], v[26:27], 4, s[10:11]
	v_add_u32_e32 v26, -7, v24
	global_load_dwordx4 v[76:79], v[32:33], off
	v_lshl_add_u64 v[32:33], v[26:27], 4, s[8:9]
	v_add_u32_e32 v26, -6, v24
	v_lshl_add_u64 v[88:89], v[26:27], 4, s[8:9]
	v_add_u32_e32 v26, -5, v24
	global_load_dwordx4 v[80:83], v[32:33], off
	global_load_dwordx4 v[84:87], v[88:89], off
	v_lshl_add_u64 v[32:33], v[26:27], 4, s[8:9]
	v_add_u32_e32 v26, 3, v30
	s_waitcnt vmcnt(7)
	v_fmac_f64_e32 v[22:23], v[36:37], v[56:57]
	v_fmac_f64_e32 v[12:13], v[38:39], v[56:57]
	v_fma_f64 v[88:89], -v[38:39], v[58:59], v[22:23]
	v_lshl_add_u64 v[22:23], v[26:27], 4, s[10:11]
	v_add_u32_e32 v26, -4, v24
	v_fmac_f64_e32 v[12:13], v[36:37], v[58:59]
	global_load_dwordx4 v[36:39], v[32:33], off
	v_lshl_add_u64 v[32:33], v[26:27], 4, s[8:9]
	v_add_u32_e32 v26, -3, v24
	v_fmac_f64_e32 v[20:21], v[44:45], v[56:57]
	v_fmac_f64_e32 v[14:15], v[46:47], v[56:57]
	;; [unrolled: 1-line block ×4, first 2 shown]
	v_lshl_add_u64 v[56:57], v[26:27], 4, s[8:9]
	v_add_u32_e32 v26, -2, v24
	v_fma_f64 v[90:91], -v[46:47], v[58:59], v[20:21]
	v_fmac_f64_e32 v[14:15], v[44:45], v[58:59]
	v_fma_f64 v[18:19], -v[50:51], v[58:59], v[18:19]
	v_fmac_f64_e32 v[10:11], v[48:49], v[58:59]
	v_lshl_add_u64 v[58:59], v[26:27], 4, s[8:9]
	v_add_u32_e32 v26, 4, v30
	s_waitcnt vmcnt(7)
	v_fmac_f64_e32 v[12:13], v[54:55], v[60:61]
	global_load_dwordx4 v[20:23], v[22:23], off
	v_fmac_f64_e32 v[88:89], v[52:53], v[60:61]
	global_load_dwordx4 v[44:47], v[32:33], off
	v_fmac_f64_e32 v[12:13], v[52:53], v[62:63]
	v_lshl_add_u64 v[52:53], v[26:27], 4, s[10:11]
	v_add_u32_e32 v26, -1, v24
	global_load_dwordx4 v[30:33], v[56:57], off
	global_load_dwordx4 v[48:51], v[58:59], off
	v_lshl_add_u64 v[56:57], v[26:27], 4, s[8:9]
	v_fma_f64 v[88:89], -v[54:55], v[62:63], v[88:89]
	global_load_dwordx4 v[52:55], v[52:53], off
	s_waitcnt vmcnt(11)
	v_fmac_f64_e32 v[90:91], v[64:65], v[60:61]
	global_load_dwordx4 v[56:59], v[56:57], off
	v_fmac_f64_e32 v[14:15], v[66:67], v[60:61]
	s_waitcnt vmcnt(11)
	v_fmac_f64_e32 v[18:19], v[68:69], v[60:61]
	v_fmac_f64_e32 v[10:11], v[70:71], v[60:61]
	v_fma_f64 v[66:67], -v[66:67], v[62:63], v[90:91]
	v_fmac_f64_e32 v[14:15], v[64:65], v[62:63]
	v_fma_f64 v[18:19], -v[70:71], v[62:63], v[18:19]
	v_fmac_f64_e32 v[10:11], v[68:69], v[62:63]
	s_waitcnt vmcnt(9)
	v_fmac_f64_e32 v[88:89], v[72:73], v[76:77]
	v_fmac_f64_e32 v[12:13], v[74:75], v[76:77]
	s_waitcnt vmcnt(8)
	v_fmac_f64_e32 v[66:67], v[80:81], v[76:77]
	;; [unrolled: 3-line block ×3, first 2 shown]
	v_fmac_f64_e32 v[10:11], v[86:87], v[76:77]
	v_fma_f64 v[60:61], -v[74:75], v[78:79], v[88:89]
	v_fmac_f64_e32 v[12:13], v[72:73], v[78:79]
	v_fma_f64 v[62:63], -v[82:83], v[78:79], v[66:67]
	;; [unrolled: 2-line block ×3, first 2 shown]
	v_fmac_f64_e32 v[10:11], v[84:85], v[78:79]
	v_add_u32_e32 v24, 0xf0, v24
	s_waitcnt vmcnt(5)
	v_fmac_f64_e32 v[60:61], v[36:37], v[20:21]
	v_fmac_f64_e32 v[12:13], v[38:39], v[20:21]
	s_waitcnt vmcnt(4)
	v_fmac_f64_e32 v[62:63], v[44:45], v[20:21]
	v_fmac_f64_e32 v[14:15], v[46:47], v[20:21]
	v_fma_f64 v[38:39], -v[38:39], v[22:23], v[60:61]
	s_waitcnt vmcnt(3)
	v_fmac_f64_e32 v[18:19], v[30:31], v[20:21]
	v_fmac_f64_e32 v[10:11], v[32:33], v[20:21]
	;; [unrolled: 1-line block ×3, first 2 shown]
	v_fma_f64 v[36:37], -v[46:47], v[22:23], v[62:63]
	v_fmac_f64_e32 v[14:15], v[44:45], v[22:23]
	v_fma_f64 v[18:19], -v[32:33], v[22:23], v[18:19]
	v_fmac_f64_e32 v[10:11], v[30:31], v[22:23]
	s_waitcnt vmcnt(1)
	v_fmac_f64_e32 v[38:39], v[48:49], v[52:53]
	v_fmac_f64_e32 v[12:13], v[50:51], v[52:53]
	;; [unrolled: 1-line block ×4, first 2 shown]
	s_waitcnt vmcnt(0)
	v_fmac_f64_e32 v[36:37], v[56:57], v[52:53]
	v_fmac_f64_e32 v[14:15], v[58:59], v[52:53]
	v_fma_f64 v[22:23], -v[50:51], v[54:55], v[38:39]
	v_fmac_f64_e32 v[12:13], v[48:49], v[54:55]
	v_fma_f64 v[18:19], -v[42:43], v[54:55], v[18:19]
	;; [unrolled: 2-line block ×3, first 2 shown]
	v_fmac_f64_e32 v[14:15], v[56:57], v[54:55]
	s_andn2_b64 exec, exec, s[14:15]
	s_cbranch_execnz .LBB128_11
; %bb.12:
	s_or_b64 exec, exec, s[14:15]
.LBB128_13:
	s_or_b64 exec, exec, s[12:13]
	s_andn2_b64 vcc, exec, s[4:5]
	s_cbranch_vccz .LBB128_15
	s_branch .LBB128_20
.LBB128_14:
                                        ; implicit-def: $vgpr12_vgpr13
                                        ; implicit-def: $vgpr22_vgpr23
                                        ; implicit-def: $vgpr18_vgpr19
                                        ; implicit-def: $vgpr10_vgpr11
                                        ; implicit-def: $vgpr20_vgpr21
                                        ; implicit-def: $vgpr14_vgpr15
.LBB128_15:
	v_mov_b64_e32 v[12:13], 0
	v_mov_b64_e32 v[22:23], v[12:13]
	;; [unrolled: 1-line block ×6, first 2 shown]
	s_and_saveexec_b64 s[4:5], s[0:1]
	s_cbranch_execz .LBB128_19
; %bb.16:
	v_mad_u64_u32 v[24:25], s[0:1], v16, 15, 14
	v_mov_b64_e32 v[12:13], 0
	s_mov_b64 s[0:1], 0
	v_mov_b32_e32 v27, 0
	v_mov_b64_e32 v[22:23], v[12:13]
	v_mov_b64_e32 v[18:19], v[12:13]
	;; [unrolled: 1-line block ×5, first 2 shown]
.LBB128_17:                             ; =>This Inner Loop Header: Depth=1
	v_ashrrev_i32_e32 v17, 31, v16
	v_add_u32_e32 v26, -14, v24
	v_add_u32_e32 v32, -9, v24
	;; [unrolled: 1-line block ×3, first 2 shown]
	v_mov_b32_e32 v33, v27
	v_mov_b32_e32 v31, v27
	v_lshl_add_u64 v[44:45], v[16:17], 2, s[6:7]
	v_lshl_add_u64 v[46:47], v[26:27], 4, s[8:9]
	;; [unrolled: 1-line block ×4, first 2 shown]
	global_load_dword v17, v[44:45], off
	global_load_dwordx4 v[30:33], v[46:47], off
	global_load_dwordx4 v[36:39], v[48:49], off
	;; [unrolled: 1-line block ×3, first 2 shown]
	v_mov_b32_e32 v29, v27
	v_add_u32_e32 v26, -13, v24
	v_lshl_add_u64 v[44:45], v[26:27], 4, s[8:9]
	global_load_dwordx4 v[44:47], v[44:45], off
	v_mov_b32_e32 v25, v27
	v_lshl_add_u64 v[76:77], v[24:25], 4, s[8:9]
	v_add_u32_e32 v16, 16, v16
	v_cmp_ge_i32_e32 vcc, v16, v34
	s_or_b64 s[0:1], vcc, s[0:1]
	s_waitcnt vmcnt(4)
	v_subrev_u32_e32 v17, s16, v17
	v_lshl_add_u32 v28, v17, 2, v17
	v_lshl_add_u64 v[48:49], v[28:29], 4, s[10:11]
	global_load_dwordx4 v[48:51], v[48:49], off
	v_add_u32_e32 v26, 1, v28
	v_lshl_add_u64 v[52:53], v[26:27], 4, s[10:11]
	global_load_dwordx4 v[52:55], v[52:53], off
	v_add_u32_e32 v26, -8, v24
	v_lshl_add_u64 v[56:57], v[26:27], 4, s[8:9]
	v_add_u32_e32 v26, -3, v24
	global_load_dwordx4 v[56:59], v[56:57], off
	v_lshl_add_u64 v[60:61], v[26:27], 4, s[8:9]
	global_load_dwordx4 v[60:63], v[60:61], off
	v_add_u32_e32 v26, -12, v24
	v_lshl_add_u64 v[64:65], v[26:27], 4, s[8:9]
	v_add_u32_e32 v26, 2, v28
	v_lshl_add_u64 v[68:69], v[26:27], 4, s[10:11]
	v_add_u32_e32 v26, -7, v24
	v_lshl_add_u64 v[78:79], v[26:27], 4, s[8:9]
	v_add_u32_e32 v26, -2, v24
	;; [unrolled: 2-line block ×3, first 2 shown]
	global_load_dwordx4 v[64:67], v[64:65], off
	s_waitcnt vmcnt(4)
	v_fmac_f64_e32 v[22:23], v[30:31], v[48:49]
	v_fmac_f64_e32 v[12:13], v[32:33], v[48:49]
	;; [unrolled: 1-line block ×3, first 2 shown]
	global_load_dwordx4 v[68:71], v[68:69], off
	v_fma_f64 v[82:83], -v[32:33], v[50:51], v[22:23]
	v_fmac_f64_e32 v[12:13], v[30:31], v[50:51]
	global_load_dwordx4 v[30:33], v[78:79], off
	global_load_dwordx4 v[72:75], v[80:81], off
	v_fmac_f64_e32 v[14:15], v[38:39], v[48:49]
	v_fma_f64 v[78:79], -v[38:39], v[50:51], v[20:21]
	v_lshl_add_u64 v[20:21], v[26:27], 4, s[8:9]
	v_add_u32_e32 v26, 3, v28
	v_fmac_f64_e32 v[14:15], v[36:37], v[50:51]
	v_fmac_f64_e32 v[10:11], v[42:43], v[48:49]
	v_lshl_add_u64 v[36:37], v[26:27], 4, s[10:11]
	v_add_u32_e32 v26, -6, v24
	v_fmac_f64_e32 v[18:19], v[40:41], v[48:49]
	v_fmac_f64_e32 v[10:11], v[40:41], v[50:51]
	v_lshl_add_u64 v[40:41], v[26:27], 4, s[8:9]
	v_add_u32_e32 v26, -1, v24
	v_lshl_add_u64 v[48:49], v[26:27], 4, s[8:9]
	v_add_u32_e32 v26, -10, v24
	v_fma_f64 v[18:19], -v[42:43], v[50:51], v[18:19]
	s_waitcnt vmcnt(6)
	v_fmac_f64_e32 v[82:83], v[44:45], v[52:53]
	v_fmac_f64_e32 v[12:13], v[46:47], v[52:53]
	v_lshl_add_u64 v[50:51], v[26:27], 4, s[8:9]
	v_add_u32_e32 v26, 4, v28
	s_waitcnt vmcnt(5)
	v_fmac_f64_e32 v[14:15], v[58:59], v[52:53]
	global_load_dwordx4 v[20:23], v[20:21], off
	v_fma_f64 v[80:81], -v[46:47], v[54:55], v[82:83]
	global_load_dwordx4 v[36:39], v[36:37], off
	v_fmac_f64_e32 v[12:13], v[44:45], v[54:55]
	global_load_dwordx4 v[40:43], v[40:41], off
	v_fmac_f64_e32 v[78:79], v[56:57], v[52:53]
	;; [unrolled: 2-line block ×3, first 2 shown]
	v_lshl_add_u64 v[56:57], v[26:27], 4, s[10:11]
	v_add_u32_e32 v26, -5, v24
	v_fma_f64 v[28:29], -v[58:59], v[54:55], v[78:79]
	s_waitcnt vmcnt(8)
	v_fmac_f64_e32 v[18:19], v[60:61], v[52:53]
	v_fmac_f64_e32 v[10:11], v[62:63], v[52:53]
	v_lshl_add_u64 v[78:79], v[26:27], 4, s[8:9]
	global_load_dwordx4 v[48:51], v[50:51], off
	v_fma_f64 v[18:19], -v[62:63], v[54:55], v[18:19]
	v_fmac_f64_e32 v[10:11], v[60:61], v[54:55]
	global_load_dwordx4 v[52:55], v[56:57], off
	s_nop 0
	global_load_dwordx4 v[56:59], v[78:79], off
	global_load_dwordx4 v[60:63], v[76:77], off
	v_add_u32_e32 v24, 0xf0, v24
	s_waitcnt vmcnt(10)
	v_fmac_f64_e32 v[80:81], v[64:65], v[68:69]
	v_fmac_f64_e32 v[12:13], v[66:67], v[68:69]
	s_waitcnt vmcnt(9)
	v_fmac_f64_e32 v[28:29], v[30:31], v[68:69]
	v_fmac_f64_e32 v[14:15], v[32:33], v[68:69]
	s_waitcnt vmcnt(8)
	v_fmac_f64_e32 v[18:19], v[72:73], v[68:69]
	v_fmac_f64_e32 v[10:11], v[74:75], v[68:69]
	v_fma_f64 v[66:67], -v[66:67], v[70:71], v[80:81]
	v_fmac_f64_e32 v[12:13], v[64:65], v[70:71]
	v_fma_f64 v[28:29], -v[32:33], v[70:71], v[28:29]
	v_fmac_f64_e32 v[14:15], v[30:31], v[70:71]
	v_fma_f64 v[18:19], -v[74:75], v[70:71], v[18:19]
	v_fmac_f64_e32 v[10:11], v[72:73], v[70:71]
	s_waitcnt vmcnt(6)
	v_fmac_f64_e32 v[66:67], v[20:21], v[36:37]
	v_fmac_f64_e32 v[12:13], v[22:23], v[36:37]
	s_waitcnt vmcnt(5)
	v_fmac_f64_e32 v[28:29], v[40:41], v[36:37]
	v_fmac_f64_e32 v[14:15], v[42:43], v[36:37]
	s_waitcnt vmcnt(4)
	v_fmac_f64_e32 v[18:19], v[44:45], v[36:37]
	v_fmac_f64_e32 v[10:11], v[46:47], v[36:37]
	v_fma_f64 v[22:23], -v[22:23], v[38:39], v[66:67]
	v_fmac_f64_e32 v[12:13], v[20:21], v[38:39]
	v_fma_f64 v[20:21], -v[42:43], v[38:39], v[28:29]
	v_fmac_f64_e32 v[14:15], v[40:41], v[38:39]
	v_fma_f64 v[18:19], -v[46:47], v[38:39], v[18:19]
	v_fmac_f64_e32 v[10:11], v[44:45], v[38:39]
	;; [unrolled: 15-line block ×3, first 2 shown]
	s_andn2_b64 exec, exec, s[0:1]
	s_cbranch_execnz .LBB128_17
; %bb.18:
	s_or_b64 exec, exec, s[0:1]
.LBB128_19:
	s_or_b64 exec, exec, s[4:5]
.LBB128_20:
	v_mov_b32_dpp v26, v20 row_shr:1 row_mask:0xf bank_mask:0xf
	v_mov_b32_dpp v27, v21 row_shr:1 row_mask:0xf bank_mask:0xf
	v_add_f64 v[20:21], v[20:21], v[26:27]
	v_mov_b32_dpp v16, v22 row_shr:1 row_mask:0xf bank_mask:0xf
	v_mov_b32_dpp v17, v23 row_shr:1 row_mask:0xf bank_mask:0xf
	v_mov_b32_dpp v26, v20 row_shr:2 row_mask:0xf bank_mask:0xf
	v_mov_b32_dpp v27, v21 row_shr:2 row_mask:0xf bank_mask:0xf
	v_add_f64 v[20:21], v[20:21], v[26:27]
	v_mov_b32_dpp v24, v12 row_shr:1 row_mask:0xf bank_mask:0xf
	v_mov_b32_dpp v25, v13 row_shr:1 row_mask:0xf bank_mask:0xf
	;; [unrolled: 5-line block ×3, first 2 shown]
	v_add_f64 v[14:15], v[14:15], v[20:21]
	v_add_f64 v[16:17], v[22:23], v[16:17]
	;; [unrolled: 1-line block ×3, first 2 shown]
	v_mov_b32_dpp v20, v14 row_shr:2 row_mask:0xf bank_mask:0xf
	v_mov_b32_dpp v21, v15 row_shr:2 row_mask:0xf bank_mask:0xf
	v_add_f64 v[14:15], v[14:15], v[20:21]
	v_mov_b32_dpp v22, v16 row_shr:2 row_mask:0xf bank_mask:0xf
	v_mov_b32_dpp v23, v17 row_shr:2 row_mask:0xf bank_mask:0xf
	v_mov_b32_dpp v20, v14 row_shr:4 row_mask:0xf bank_mask:0xe
	v_mov_b32_dpp v21, v15 row_shr:4 row_mask:0xf bank_mask:0xe
	v_add_f64 v[14:15], v[14:15], v[20:21]
	v_mov_b32_dpp v20, v18 row_shr:1 row_mask:0xf bank_mask:0xf
	v_mov_b32_dpp v21, v19 row_shr:1 row_mask:0xf bank_mask:0xf
	v_add_f64 v[18:19], v[18:19], v[20:21]
	v_mov_b32_dpp v24, v12 row_shr:2 row_mask:0xf bank_mask:0xf
	v_mov_b32_dpp v25, v13 row_shr:2 row_mask:0xf bank_mask:0xf
	v_mov_b32_dpp v20, v18 row_shr:2 row_mask:0xf bank_mask:0xf
	v_mov_b32_dpp v21, v19 row_shr:2 row_mask:0xf bank_mask:0xf
	v_add_f64 v[18:19], v[18:19], v[20:21]
	v_add_f64 v[16:17], v[16:17], v[22:23]
	;; [unrolled: 1-line block ×3, first 2 shown]
	v_mov_b32_dpp v20, v18 row_shr:4 row_mask:0xf bank_mask:0xe
	v_mov_b32_dpp v21, v19 row_shr:4 row_mask:0xf bank_mask:0xe
	v_add_f64 v[32:33], v[18:19], v[20:21]
	v_mov_b32_dpp v18, v10 row_shr:1 row_mask:0xf bank_mask:0xf
	v_mov_b32_dpp v19, v11 row_shr:1 row_mask:0xf bank_mask:0xf
	v_add_f64 v[10:11], v[10:11], v[18:19]
	v_mov_b32_dpp v22, v16 row_shr:4 row_mask:0xf bank_mask:0xe
	v_mov_b32_dpp v23, v17 row_shr:4 row_mask:0xf bank_mask:0xe
	;; [unrolled: 1-line block ×4, first 2 shown]
	v_add_f64 v[10:11], v[10:11], v[18:19]
	v_mov_b32_dpp v24, v12 row_shr:4 row_mask:0xf bank_mask:0xe
	v_mov_b32_dpp v25, v13 row_shr:4 row_mask:0xf bank_mask:0xe
	;; [unrolled: 1-line block ×4, first 2 shown]
	v_add_f64 v[16:17], v[16:17], v[22:23]
	v_add_f64 v[12:13], v[12:13], v[24:25]
	;; [unrolled: 1-line block ×3, first 2 shown]
	v_mov_b32_dpp v22, v16 row_shr:8 row_mask:0xf bank_mask:0xc
	v_mov_b32_dpp v23, v17 row_shr:8 row_mask:0xf bank_mask:0xc
	;; [unrolled: 1-line block ×12, first 2 shown]
	v_cmp_eq_u32_e32 vcc, 15, v9
	s_and_b64 exec, exec, vcc
	s_cbranch_execz .LBB128_25
; %bb.21:
	s_load_dwordx2 s[2:3], s[2:3], 0x48
	v_cmp_eq_f64_e32 vcc, 0, v[4:5]
	v_cmp_eq_f64_e64 s[0:1], 0, v[6:7]
	v_add_f64 v[16:17], v[16:17], v[22:23]
	v_add_f64 v[20:21], v[12:13], v[24:25]
	;; [unrolled: 1-line block ×6, first 2 shown]
	s_and_b64 s[0:1], vcc, s[0:1]
	s_and_saveexec_b64 s[4:5], s[0:1]
	s_xor_b64 s[0:1], exec, s[4:5]
	s_cbranch_execz .LBB128_23
; %bb.22:
	v_lshl_add_u32 v8, v8, 1, v8
	v_mul_f64 v[4:5], v[20:21], -v[2:3]
	v_mul_f64 v[6:7], v[0:1], v[20:21]
	v_ashrrev_i32_e32 v9, 31, v8
	v_fmac_f64_e32 v[4:5], v[0:1], v[16:17]
	v_fmac_f64_e32 v[6:7], v[2:3], v[16:17]
	s_waitcnt lgkmcnt(0)
	v_lshl_add_u64 v[8:9], v[8:9], 4, s[2:3]
	global_store_dwordx4 v[8:9], v[4:7], off
                                        ; implicit-def: $vgpr16_vgpr17
                                        ; implicit-def: $vgpr20_vgpr21
	s_nop 1
	v_mul_f64 v[4:5], v[18:19], -v[2:3]
	v_mul_f64 v[6:7], v[0:1], v[18:19]
	v_fmac_f64_e32 v[4:5], v[0:1], v[12:13]
	v_fmac_f64_e32 v[6:7], v[2:3], v[12:13]
	global_store_dwordx4 v[8:9], v[4:7], off offset:16
                                        ; implicit-def: $vgpr12_vgpr13
                                        ; implicit-def: $vgpr18_vgpr19
	s_nop 1
	v_mul_f64 v[4:5], v[14:15], -v[2:3]
	v_mul_f64 v[6:7], v[0:1], v[14:15]
	v_fmac_f64_e32 v[4:5], v[0:1], v[10:11]
	v_fmac_f64_e32 v[6:7], v[2:3], v[10:11]
	global_store_dwordx4 v[8:9], v[4:7], off offset:32
                                        ; implicit-def: $vgpr0_vgpr1
                                        ; implicit-def: $vgpr2_vgpr3
                                        ; implicit-def: $vgpr4_vgpr5
                                        ; implicit-def: $vgpr6_vgpr7
                                        ; implicit-def: $vgpr8
                                        ; implicit-def: $vgpr10_vgpr11
                                        ; implicit-def: $vgpr14_vgpr15
.LBB128_23:
	s_andn2_saveexec_b64 s[0:1], s[0:1]
	s_cbranch_execz .LBB128_25
; %bb.24:
	v_lshl_add_u32 v8, v8, 1, v8
	v_ashrrev_i32_e32 v9, 31, v8
	s_waitcnt lgkmcnt(0)
	v_lshl_add_u64 v[38:39], v[8:9], 4, s[2:3]
	global_load_dwordx4 v[22:25], v[38:39], off
	global_load_dwordx4 v[26:29], v[38:39], off offset:16
	global_load_dwordx4 v[30:33], v[38:39], off offset:32
	v_mul_f64 v[34:35], v[20:21], -v[2:3]
	v_mul_f64 v[20:21], v[0:1], v[20:21]
	v_mul_f64 v[40:41], v[18:19], -v[2:3]
	v_mul_f64 v[36:37], v[0:1], v[18:19]
	;; [unrolled: 2-line block ×3, first 2 shown]
	v_fmac_f64_e32 v[34:35], v[0:1], v[16:17]
	v_fmac_f64_e32 v[20:21], v[2:3], v[16:17]
	;; [unrolled: 1-line block ×6, first 2 shown]
	s_waitcnt vmcnt(2)
	v_fmac_f64_e32 v[34:35], v[4:5], v[22:23]
	v_fmac_f64_e32 v[20:21], v[6:7], v[22:23]
	s_waitcnt vmcnt(1)
	v_fmac_f64_e32 v[40:41], v[4:5], v[26:27]
	v_fmac_f64_e32 v[36:37], v[6:7], v[26:27]
	;; [unrolled: 3-line block ×3, first 2 shown]
	v_fma_f64 v[18:19], -v[6:7], v[24:25], v[34:35]
	v_fmac_f64_e32 v[20:21], v[4:5], v[24:25]
	v_fma_f64 v[34:35], -v[6:7], v[28:29], v[40:41]
	v_fmac_f64_e32 v[36:37], v[4:5], v[28:29]
	;; [unrolled: 2-line block ×3, first 2 shown]
	global_store_dwordx4 v[38:39], v[18:21], off
	global_store_dwordx4 v[38:39], v[34:37], off offset:16
	global_store_dwordx4 v[38:39], v[6:9], off offset:32
.LBB128_25:
	s_endpgm
	.section	.rodata,"a",@progbits
	.p2align	6, 0x0
	.amdhsa_kernel _ZN9rocsparseL19gebsrmvn_3xn_kernelILj128ELj5ELj16E21rocsparse_complex_numIdEEEvi20rocsparse_direction_NS_24const_host_device_scalarIT2_EEPKiS8_PKS5_SA_S6_PS5_21rocsparse_index_base_b
		.amdhsa_group_segment_fixed_size 2048
		.amdhsa_private_segment_fixed_size 0
		.amdhsa_kernarg_size 88
		.amdhsa_user_sgpr_count 4
		.amdhsa_user_sgpr_dispatch_ptr 1
		.amdhsa_user_sgpr_queue_ptr 0
		.amdhsa_user_sgpr_kernarg_segment_ptr 1
		.amdhsa_user_sgpr_dispatch_id 0
		.amdhsa_user_sgpr_kernarg_preload_length 0
		.amdhsa_user_sgpr_kernarg_preload_offset 0
		.amdhsa_user_sgpr_private_segment_size 0
		.amdhsa_uses_dynamic_stack 0
		.amdhsa_enable_private_segment 0
		.amdhsa_system_sgpr_workgroup_id_x 1
		.amdhsa_system_sgpr_workgroup_id_y 0
		.amdhsa_system_sgpr_workgroup_id_z 0
		.amdhsa_system_sgpr_workgroup_info 0
		.amdhsa_system_vgpr_workitem_id 2
		.amdhsa_next_free_vgpr 92
		.amdhsa_next_free_sgpr 20
		.amdhsa_accum_offset 92
		.amdhsa_reserve_vcc 1
		.amdhsa_float_round_mode_32 0
		.amdhsa_float_round_mode_16_64 0
		.amdhsa_float_denorm_mode_32 3
		.amdhsa_float_denorm_mode_16_64 3
		.amdhsa_dx10_clamp 1
		.amdhsa_ieee_mode 1
		.amdhsa_fp16_overflow 0
		.amdhsa_tg_split 0
		.amdhsa_exception_fp_ieee_invalid_op 0
		.amdhsa_exception_fp_denorm_src 0
		.amdhsa_exception_fp_ieee_div_zero 0
		.amdhsa_exception_fp_ieee_overflow 0
		.amdhsa_exception_fp_ieee_underflow 0
		.amdhsa_exception_fp_ieee_inexact 0
		.amdhsa_exception_int_div_zero 0
	.end_amdhsa_kernel
	.section	.text._ZN9rocsparseL19gebsrmvn_3xn_kernelILj128ELj5ELj16E21rocsparse_complex_numIdEEEvi20rocsparse_direction_NS_24const_host_device_scalarIT2_EEPKiS8_PKS5_SA_S6_PS5_21rocsparse_index_base_b,"axG",@progbits,_ZN9rocsparseL19gebsrmvn_3xn_kernelILj128ELj5ELj16E21rocsparse_complex_numIdEEEvi20rocsparse_direction_NS_24const_host_device_scalarIT2_EEPKiS8_PKS5_SA_S6_PS5_21rocsparse_index_base_b,comdat
.Lfunc_end128:
	.size	_ZN9rocsparseL19gebsrmvn_3xn_kernelILj128ELj5ELj16E21rocsparse_complex_numIdEEEvi20rocsparse_direction_NS_24const_host_device_scalarIT2_EEPKiS8_PKS5_SA_S6_PS5_21rocsparse_index_base_b, .Lfunc_end128-_ZN9rocsparseL19gebsrmvn_3xn_kernelILj128ELj5ELj16E21rocsparse_complex_numIdEEEvi20rocsparse_direction_NS_24const_host_device_scalarIT2_EEPKiS8_PKS5_SA_S6_PS5_21rocsparse_index_base_b
                                        ; -- End function
	.section	.AMDGPU.csdata,"",@progbits
; Kernel info:
; codeLenInByte = 3204
; NumSgprs: 26
; NumVgprs: 92
; NumAgprs: 0
; TotalNumVgprs: 92
; ScratchSize: 0
; MemoryBound: 0
; FloatMode: 240
; IeeeMode: 1
; LDSByteSize: 2048 bytes/workgroup (compile time only)
; SGPRBlocks: 3
; VGPRBlocks: 11
; NumSGPRsForWavesPerEU: 26
; NumVGPRsForWavesPerEU: 92
; AccumOffset: 92
; Occupancy: 5
; WaveLimiterHint : 1
; COMPUTE_PGM_RSRC2:SCRATCH_EN: 0
; COMPUTE_PGM_RSRC2:USER_SGPR: 4
; COMPUTE_PGM_RSRC2:TRAP_HANDLER: 0
; COMPUTE_PGM_RSRC2:TGID_X_EN: 1
; COMPUTE_PGM_RSRC2:TGID_Y_EN: 0
; COMPUTE_PGM_RSRC2:TGID_Z_EN: 0
; COMPUTE_PGM_RSRC2:TIDIG_COMP_CNT: 2
; COMPUTE_PGM_RSRC3_GFX90A:ACCUM_OFFSET: 22
; COMPUTE_PGM_RSRC3_GFX90A:TG_SPLIT: 0
	.section	.text._ZN9rocsparseL19gebsrmvn_3xn_kernelILj128ELj5ELj32E21rocsparse_complex_numIdEEEvi20rocsparse_direction_NS_24const_host_device_scalarIT2_EEPKiS8_PKS5_SA_S6_PS5_21rocsparse_index_base_b,"axG",@progbits,_ZN9rocsparseL19gebsrmvn_3xn_kernelILj128ELj5ELj32E21rocsparse_complex_numIdEEEvi20rocsparse_direction_NS_24const_host_device_scalarIT2_EEPKiS8_PKS5_SA_S6_PS5_21rocsparse_index_base_b,comdat
	.globl	_ZN9rocsparseL19gebsrmvn_3xn_kernelILj128ELj5ELj32E21rocsparse_complex_numIdEEEvi20rocsparse_direction_NS_24const_host_device_scalarIT2_EEPKiS8_PKS5_SA_S6_PS5_21rocsparse_index_base_b ; -- Begin function _ZN9rocsparseL19gebsrmvn_3xn_kernelILj128ELj5ELj32E21rocsparse_complex_numIdEEEvi20rocsparse_direction_NS_24const_host_device_scalarIT2_EEPKiS8_PKS5_SA_S6_PS5_21rocsparse_index_base_b
	.p2align	8
	.type	_ZN9rocsparseL19gebsrmvn_3xn_kernelILj128ELj5ELj32E21rocsparse_complex_numIdEEEvi20rocsparse_direction_NS_24const_host_device_scalarIT2_EEPKiS8_PKS5_SA_S6_PS5_21rocsparse_index_base_b,@function
_ZN9rocsparseL19gebsrmvn_3xn_kernelILj128ELj5ELj32E21rocsparse_complex_numIdEEEvi20rocsparse_direction_NS_24const_host_device_scalarIT2_EEPKiS8_PKS5_SA_S6_PS5_21rocsparse_index_base_b: ; @_ZN9rocsparseL19gebsrmvn_3xn_kernelILj128ELj5ELj32E21rocsparse_complex_numIdEEEvi20rocsparse_direction_NS_24const_host_device_scalarIT2_EEPKiS8_PKS5_SA_S6_PS5_21rocsparse_index_base_b
; %bb.0:
	s_load_dwordx2 s[16:17], s[2:3], 0x50
	s_load_dwordx4 s[12:15], s[2:3], 0x8
	s_load_dwordx4 s[8:11], s[2:3], 0x38
	s_load_dwordx2 s[18:19], s[0:1], 0x4
	s_mov_b64 s[6:7], src_shared_base
	s_waitcnt lgkmcnt(0)
	s_bitcmp1_b32 s17, 0
	s_cselect_b64 s[0:1], -1, 0
	s_and_b64 vcc, s[0:1], exec
	s_cselect_b32 s5, s7, s13
	s_lshr_b32 s6, s18, 16
	v_bfe_u32 v1, v0, 10, 10
	v_and_b32_e32 v10, 0x3ff, v0
	s_mul_i32 s6, s6, s19
	v_mul_u32_u24_e32 v1, s19, v1
	v_mad_u32_u24 v1, s6, v10, v1
	v_bfe_u32 v0, v0, 20, 10
	v_add_lshl_u32 v4, v1, v0, 3
	v_mov_b32_e32 v5, s12
	v_add_u32_e32 v6, 0x400, v4
	v_mov_b64_e32 v[0:1], s[12:13]
	v_mov_b64_e32 v[2:3], s[8:9]
	ds_write2st64_b64 v4, v[2:3], v[0:1] offset1:2
	v_cndmask_b32_e64 v0, v5, v6, s[0:1]
	v_mov_b32_e32 v1, s5
	flat_load_dwordx2 v[0:1], v[0:1]
	s_xor_b64 s[18:19], s[0:1], -1
	v_mov_b64_e32 v[2:3], s[14:15]
	s_cbranch_vccnz .LBB129_2
; %bb.1:
	v_mov_b64_e32 v[2:3], s[12:13]
	flat_load_dwordx2 v[2:3], v[2:3] offset:8
.LBB129_2:
	s_and_b64 s[12:13], s[0:1], exec
	s_cselect_b32 s5, s7, s9
	v_mov_b32_e32 v5, s8
	v_cndmask_b32_e64 v4, v5, v4, s[0:1]
	v_mov_b32_e32 v5, s5
	flat_load_dwordx2 v[4:5], v[4:5]
	s_andn2_b64 vcc, exec, s[18:19]
	v_mov_b64_e32 v[6:7], s[10:11]
	s_cbranch_vccnz .LBB129_4
; %bb.3:
	v_mov_b64_e32 v[6:7], s[8:9]
	flat_load_dwordx2 v[6:7], v[6:7] offset:8
.LBB129_4:
	s_waitcnt vmcnt(0) lgkmcnt(0)
	v_cmp_eq_f64_e32 vcc, 0, v[0:1]
	v_cmp_eq_f64_e64 s[0:1], 0, v[2:3]
	s_and_b64 s[8:9], vcc, s[0:1]
	s_mov_b64 s[0:1], -1
	s_and_saveexec_b64 s[6:7], s[8:9]
; %bb.5:
	v_cmp_neq_f64_e32 vcc, 1.0, v[4:5]
	v_cmp_neq_f64_e64 s[0:1], 0, v[6:7]
	s_or_b64 s[0:1], vcc, s[0:1]
	s_orn2_b64 s[0:1], s[0:1], exec
; %bb.6:
	s_or_b64 exec, exec, s[6:7]
	s_and_saveexec_b64 s[6:7], s[0:1]
	s_cbranch_execz .LBB129_25
; %bb.7:
	s_load_dwordx2 s[0:1], s[2:3], 0x0
	v_lshrrev_b32_e32 v8, 5, v10
	v_lshl_or_b32 v8, s4, 2, v8
	s_waitcnt lgkmcnt(0)
	v_cmp_gt_i32_e32 vcc, s0, v8
	s_and_b64 exec, exec, vcc
	s_cbranch_execz .LBB129_25
; %bb.8:
	s_load_dwordx8 s[4:11], s[2:3], 0x18
	v_ashrrev_i32_e32 v9, 31, v8
	s_cmp_lg_u32 s1, 0
	s_waitcnt lgkmcnt(0)
	v_lshl_add_u64 v[12:13], v[8:9], 2, s[4:5]
	global_load_dwordx2 v[12:13], v[12:13], off
	v_and_b32_e32 v9, 31, v10
	s_waitcnt vmcnt(0)
	v_subrev_u32_e32 v10, s16, v12
	v_subrev_u32_e32 v34, s16, v13
	v_add_u32_e32 v16, v10, v9
	v_cmp_lt_i32_e64 s[0:1], v16, v34
	s_cbranch_scc0 .LBB129_14
; %bb.9:
	v_mov_b64_e32 v[14:15], 0
	s_mov_b64 s[4:5], 0
	v_mov_b64_e32 v[22:23], v[14:15]
	v_mov_b64_e32 v[18:19], v[14:15]
	;; [unrolled: 1-line block ×5, first 2 shown]
	s_and_saveexec_b64 s[12:13], s[0:1]
	s_cbranch_execz .LBB129_13
; %bb.10:
	v_mad_u64_u32 v[24:25], s[14:15], v16, 15, 14
	v_mov_b64_e32 v[14:15], 0
	s_mov_b64 s[14:15], 0
	v_mov_b32_e32 v27, 0
	v_mov_b32_e32 v28, v16
	v_mov_b64_e32 v[22:23], v[14:15]
	v_mov_b64_e32 v[18:19], v[14:15]
	;; [unrolled: 1-line block ×5, first 2 shown]
.LBB129_11:                             ; =>This Inner Loop Header: Depth=1
	v_ashrrev_i32_e32 v29, 31, v28
	v_add_u32_e32 v26, -14, v24
	v_lshl_add_u64 v[32:33], v[28:29], 2, s[6:7]
	v_lshl_add_u64 v[40:41], v[26:27], 4, s[8:9]
	global_load_dword v17, v[32:33], off
	global_load_dwordx4 v[36:39], v[40:41], off
	v_add_u32_e32 v26, -13, v24
	v_mov_b32_e32 v25, v27
	v_lshl_add_u64 v[32:33], v[26:27], 4, s[8:9]
	v_add_u32_e32 v26, -12, v24
	v_lshl_add_u64 v[42:43], v[24:25], 4, s[8:9]
	v_lshl_add_u64 v[52:53], v[26:27], 4, s[8:9]
	v_add_u32_e32 v26, -11, v24
	v_mov_b32_e32 v31, v27
	global_load_dwordx4 v[40:43], v[42:43], off
	s_nop 0
	global_load_dwordx4 v[44:47], v[32:33], off
	global_load_dwordx4 v[48:51], v[52:53], off
	v_lshl_add_u64 v[32:33], v[26:27], 4, s[8:9]
	global_load_dwordx4 v[52:55], v[32:33], off
	v_add_u32_e32 v28, 32, v28
	v_cmp_ge_i32_e32 vcc, v28, v34
	s_or_b64 s[14:15], vcc, s[14:15]
	s_waitcnt vmcnt(5)
	v_subrev_u32_e32 v17, s16, v17
	v_lshl_add_u32 v30, v17, 2, v17
	v_lshl_add_u64 v[32:33], v[30:31], 4, s[10:11]
	global_load_dwordx4 v[56:59], v[32:33], off
	v_add_u32_e32 v26, 1, v30
	v_lshl_add_u64 v[32:33], v[26:27], 4, s[10:11]
	global_load_dwordx4 v[60:63], v[32:33], off
	v_add_u32_e32 v26, -10, v24
	v_lshl_add_u64 v[32:33], v[26:27], 4, s[8:9]
	v_add_u32_e32 v26, -9, v24
	global_load_dwordx4 v[64:67], v[32:33], off
	v_lshl_add_u64 v[32:33], v[26:27], 4, s[8:9]
	v_add_u32_e32 v26, -8, v24
	global_load_dwordx4 v[68:71], v[32:33], off
	v_lshl_add_u64 v[32:33], v[26:27], 4, s[8:9]
	v_add_u32_e32 v26, 2, v30
	global_load_dwordx4 v[72:75], v[32:33], off
	v_lshl_add_u64 v[32:33], v[26:27], 4, s[10:11]
	v_add_u32_e32 v26, -7, v24
	global_load_dwordx4 v[76:79], v[32:33], off
	v_lshl_add_u64 v[32:33], v[26:27], 4, s[8:9]
	v_add_u32_e32 v26, -6, v24
	v_lshl_add_u64 v[88:89], v[26:27], 4, s[8:9]
	v_add_u32_e32 v26, -5, v24
	global_load_dwordx4 v[80:83], v[32:33], off
	global_load_dwordx4 v[84:87], v[88:89], off
	v_lshl_add_u64 v[32:33], v[26:27], 4, s[8:9]
	v_add_u32_e32 v26, 3, v30
	s_waitcnt vmcnt(7)
	v_fmac_f64_e32 v[22:23], v[36:37], v[56:57]
	v_fmac_f64_e32 v[14:15], v[38:39], v[56:57]
	v_fma_f64 v[88:89], -v[38:39], v[58:59], v[22:23]
	v_lshl_add_u64 v[22:23], v[26:27], 4, s[10:11]
	v_add_u32_e32 v26, -4, v24
	v_fmac_f64_e32 v[14:15], v[36:37], v[58:59]
	global_load_dwordx4 v[36:39], v[32:33], off
	v_lshl_add_u64 v[32:33], v[26:27], 4, s[8:9]
	v_add_u32_e32 v26, -3, v24
	v_fmac_f64_e32 v[20:21], v[44:45], v[56:57]
	v_fmac_f64_e32 v[12:13], v[46:47], v[56:57]
	;; [unrolled: 1-line block ×4, first 2 shown]
	v_lshl_add_u64 v[56:57], v[26:27], 4, s[8:9]
	v_add_u32_e32 v26, -2, v24
	v_fma_f64 v[90:91], -v[46:47], v[58:59], v[20:21]
	v_fmac_f64_e32 v[12:13], v[44:45], v[58:59]
	v_fma_f64 v[18:19], -v[50:51], v[58:59], v[18:19]
	v_fmac_f64_e32 v[10:11], v[48:49], v[58:59]
	v_lshl_add_u64 v[58:59], v[26:27], 4, s[8:9]
	v_add_u32_e32 v26, 4, v30
	s_waitcnt vmcnt(7)
	v_fmac_f64_e32 v[14:15], v[54:55], v[60:61]
	global_load_dwordx4 v[20:23], v[22:23], off
	v_fmac_f64_e32 v[88:89], v[52:53], v[60:61]
	global_load_dwordx4 v[44:47], v[32:33], off
	v_fmac_f64_e32 v[14:15], v[52:53], v[62:63]
	v_lshl_add_u64 v[52:53], v[26:27], 4, s[10:11]
	v_add_u32_e32 v26, -1, v24
	global_load_dwordx4 v[30:33], v[56:57], off
	global_load_dwordx4 v[48:51], v[58:59], off
	v_lshl_add_u64 v[56:57], v[26:27], 4, s[8:9]
	v_fma_f64 v[88:89], -v[54:55], v[62:63], v[88:89]
	global_load_dwordx4 v[52:55], v[52:53], off
	s_waitcnt vmcnt(11)
	v_fmac_f64_e32 v[90:91], v[64:65], v[60:61]
	global_load_dwordx4 v[56:59], v[56:57], off
	v_fmac_f64_e32 v[12:13], v[66:67], v[60:61]
	s_waitcnt vmcnt(11)
	v_fmac_f64_e32 v[18:19], v[68:69], v[60:61]
	v_fmac_f64_e32 v[10:11], v[70:71], v[60:61]
	v_fma_f64 v[66:67], -v[66:67], v[62:63], v[90:91]
	v_fmac_f64_e32 v[12:13], v[64:65], v[62:63]
	v_fma_f64 v[18:19], -v[70:71], v[62:63], v[18:19]
	v_fmac_f64_e32 v[10:11], v[68:69], v[62:63]
	s_waitcnt vmcnt(9)
	v_fmac_f64_e32 v[88:89], v[72:73], v[76:77]
	v_fmac_f64_e32 v[14:15], v[74:75], v[76:77]
	s_waitcnt vmcnt(8)
	v_fmac_f64_e32 v[66:67], v[80:81], v[76:77]
	;; [unrolled: 3-line block ×3, first 2 shown]
	v_fmac_f64_e32 v[10:11], v[86:87], v[76:77]
	v_fma_f64 v[60:61], -v[74:75], v[78:79], v[88:89]
	v_fmac_f64_e32 v[14:15], v[72:73], v[78:79]
	v_fma_f64 v[62:63], -v[82:83], v[78:79], v[66:67]
	;; [unrolled: 2-line block ×3, first 2 shown]
	v_fmac_f64_e32 v[10:11], v[84:85], v[78:79]
	v_add_u32_e32 v24, 0x1e0, v24
	s_waitcnt vmcnt(5)
	v_fmac_f64_e32 v[60:61], v[36:37], v[20:21]
	v_fmac_f64_e32 v[14:15], v[38:39], v[20:21]
	s_waitcnt vmcnt(4)
	v_fmac_f64_e32 v[62:63], v[44:45], v[20:21]
	v_fmac_f64_e32 v[12:13], v[46:47], v[20:21]
	v_fma_f64 v[38:39], -v[38:39], v[22:23], v[60:61]
	s_waitcnt vmcnt(3)
	v_fmac_f64_e32 v[18:19], v[30:31], v[20:21]
	v_fmac_f64_e32 v[10:11], v[32:33], v[20:21]
	;; [unrolled: 1-line block ×3, first 2 shown]
	v_fma_f64 v[36:37], -v[46:47], v[22:23], v[62:63]
	v_fmac_f64_e32 v[12:13], v[44:45], v[22:23]
	v_fma_f64 v[18:19], -v[32:33], v[22:23], v[18:19]
	v_fmac_f64_e32 v[10:11], v[30:31], v[22:23]
	s_waitcnt vmcnt(1)
	v_fmac_f64_e32 v[38:39], v[48:49], v[52:53]
	v_fmac_f64_e32 v[14:15], v[50:51], v[52:53]
	v_fmac_f64_e32 v[18:19], v[40:41], v[52:53]
	v_fmac_f64_e32 v[10:11], v[42:43], v[52:53]
	s_waitcnt vmcnt(0)
	v_fmac_f64_e32 v[36:37], v[56:57], v[52:53]
	v_fmac_f64_e32 v[12:13], v[58:59], v[52:53]
	v_fma_f64 v[22:23], -v[50:51], v[54:55], v[38:39]
	v_fmac_f64_e32 v[14:15], v[48:49], v[54:55]
	v_fma_f64 v[18:19], -v[42:43], v[54:55], v[18:19]
	;; [unrolled: 2-line block ×3, first 2 shown]
	v_fmac_f64_e32 v[12:13], v[56:57], v[54:55]
	s_andn2_b64 exec, exec, s[14:15]
	s_cbranch_execnz .LBB129_11
; %bb.12:
	s_or_b64 exec, exec, s[14:15]
.LBB129_13:
	s_or_b64 exec, exec, s[12:13]
	s_andn2_b64 vcc, exec, s[4:5]
	s_cbranch_vccz .LBB129_15
	s_branch .LBB129_20
.LBB129_14:
                                        ; implicit-def: $vgpr14_vgpr15
                                        ; implicit-def: $vgpr22_vgpr23
                                        ; implicit-def: $vgpr18_vgpr19
                                        ; implicit-def: $vgpr10_vgpr11
                                        ; implicit-def: $vgpr20_vgpr21
                                        ; implicit-def: $vgpr12_vgpr13
.LBB129_15:
	v_mov_b64_e32 v[14:15], 0
	v_mov_b64_e32 v[22:23], v[14:15]
	;; [unrolled: 1-line block ×6, first 2 shown]
	s_and_saveexec_b64 s[4:5], s[0:1]
	s_cbranch_execz .LBB129_19
; %bb.16:
	v_mad_u64_u32 v[24:25], s[0:1], v16, 15, 14
	v_mov_b64_e32 v[14:15], 0
	s_mov_b64 s[0:1], 0
	v_mov_b32_e32 v27, 0
	v_mov_b64_e32 v[22:23], v[14:15]
	v_mov_b64_e32 v[18:19], v[14:15]
	;; [unrolled: 1-line block ×5, first 2 shown]
.LBB129_17:                             ; =>This Inner Loop Header: Depth=1
	v_ashrrev_i32_e32 v17, 31, v16
	v_add_u32_e32 v26, -14, v24
	v_add_u32_e32 v32, -9, v24
	;; [unrolled: 1-line block ×3, first 2 shown]
	v_mov_b32_e32 v33, v27
	v_mov_b32_e32 v31, v27
	v_lshl_add_u64 v[44:45], v[16:17], 2, s[6:7]
	v_lshl_add_u64 v[46:47], v[26:27], 4, s[8:9]
	;; [unrolled: 1-line block ×4, first 2 shown]
	global_load_dword v17, v[44:45], off
	global_load_dwordx4 v[30:33], v[46:47], off
	global_load_dwordx4 v[36:39], v[48:49], off
	;; [unrolled: 1-line block ×3, first 2 shown]
	v_mov_b32_e32 v29, v27
	v_add_u32_e32 v26, -13, v24
	v_lshl_add_u64 v[44:45], v[26:27], 4, s[8:9]
	global_load_dwordx4 v[44:47], v[44:45], off
	v_mov_b32_e32 v25, v27
	v_lshl_add_u64 v[76:77], v[24:25], 4, s[8:9]
	v_add_u32_e32 v16, 32, v16
	v_cmp_ge_i32_e32 vcc, v16, v34
	s_or_b64 s[0:1], vcc, s[0:1]
	s_waitcnt vmcnt(4)
	v_subrev_u32_e32 v17, s16, v17
	v_lshl_add_u32 v28, v17, 2, v17
	v_lshl_add_u64 v[48:49], v[28:29], 4, s[10:11]
	global_load_dwordx4 v[48:51], v[48:49], off
	v_add_u32_e32 v26, 1, v28
	v_lshl_add_u64 v[52:53], v[26:27], 4, s[10:11]
	global_load_dwordx4 v[52:55], v[52:53], off
	v_add_u32_e32 v26, -8, v24
	v_lshl_add_u64 v[56:57], v[26:27], 4, s[8:9]
	v_add_u32_e32 v26, -3, v24
	global_load_dwordx4 v[56:59], v[56:57], off
	v_lshl_add_u64 v[60:61], v[26:27], 4, s[8:9]
	global_load_dwordx4 v[60:63], v[60:61], off
	v_add_u32_e32 v26, -12, v24
	v_lshl_add_u64 v[64:65], v[26:27], 4, s[8:9]
	v_add_u32_e32 v26, 2, v28
	v_lshl_add_u64 v[68:69], v[26:27], 4, s[10:11]
	v_add_u32_e32 v26, -7, v24
	v_lshl_add_u64 v[78:79], v[26:27], 4, s[8:9]
	v_add_u32_e32 v26, -2, v24
	;; [unrolled: 2-line block ×3, first 2 shown]
	global_load_dwordx4 v[64:67], v[64:65], off
	s_waitcnt vmcnt(4)
	v_fmac_f64_e32 v[22:23], v[30:31], v[48:49]
	v_fmac_f64_e32 v[14:15], v[32:33], v[48:49]
	;; [unrolled: 1-line block ×3, first 2 shown]
	global_load_dwordx4 v[68:71], v[68:69], off
	v_fma_f64 v[82:83], -v[32:33], v[50:51], v[22:23]
	v_fmac_f64_e32 v[14:15], v[30:31], v[50:51]
	global_load_dwordx4 v[30:33], v[78:79], off
	global_load_dwordx4 v[72:75], v[80:81], off
	v_fmac_f64_e32 v[12:13], v[38:39], v[48:49]
	v_fma_f64 v[78:79], -v[38:39], v[50:51], v[20:21]
	v_lshl_add_u64 v[20:21], v[26:27], 4, s[8:9]
	v_add_u32_e32 v26, 3, v28
	v_fmac_f64_e32 v[12:13], v[36:37], v[50:51]
	v_fmac_f64_e32 v[10:11], v[42:43], v[48:49]
	v_lshl_add_u64 v[36:37], v[26:27], 4, s[10:11]
	v_add_u32_e32 v26, -6, v24
	v_fmac_f64_e32 v[18:19], v[40:41], v[48:49]
	v_fmac_f64_e32 v[10:11], v[40:41], v[50:51]
	v_lshl_add_u64 v[40:41], v[26:27], 4, s[8:9]
	v_add_u32_e32 v26, -1, v24
	v_lshl_add_u64 v[48:49], v[26:27], 4, s[8:9]
	v_add_u32_e32 v26, -10, v24
	v_fma_f64 v[18:19], -v[42:43], v[50:51], v[18:19]
	s_waitcnt vmcnt(6)
	v_fmac_f64_e32 v[82:83], v[44:45], v[52:53]
	v_fmac_f64_e32 v[14:15], v[46:47], v[52:53]
	v_lshl_add_u64 v[50:51], v[26:27], 4, s[8:9]
	v_add_u32_e32 v26, 4, v28
	s_waitcnt vmcnt(5)
	v_fmac_f64_e32 v[12:13], v[58:59], v[52:53]
	global_load_dwordx4 v[20:23], v[20:21], off
	v_fma_f64 v[80:81], -v[46:47], v[54:55], v[82:83]
	global_load_dwordx4 v[36:39], v[36:37], off
	v_fmac_f64_e32 v[14:15], v[44:45], v[54:55]
	global_load_dwordx4 v[40:43], v[40:41], off
	v_fmac_f64_e32 v[78:79], v[56:57], v[52:53]
	;; [unrolled: 2-line block ×3, first 2 shown]
	v_lshl_add_u64 v[56:57], v[26:27], 4, s[10:11]
	v_add_u32_e32 v26, -5, v24
	v_fma_f64 v[28:29], -v[58:59], v[54:55], v[78:79]
	s_waitcnt vmcnt(8)
	v_fmac_f64_e32 v[18:19], v[60:61], v[52:53]
	v_fmac_f64_e32 v[10:11], v[62:63], v[52:53]
	v_lshl_add_u64 v[78:79], v[26:27], 4, s[8:9]
	global_load_dwordx4 v[48:51], v[50:51], off
	v_fma_f64 v[18:19], -v[62:63], v[54:55], v[18:19]
	v_fmac_f64_e32 v[10:11], v[60:61], v[54:55]
	global_load_dwordx4 v[52:55], v[56:57], off
	s_nop 0
	global_load_dwordx4 v[56:59], v[78:79], off
	global_load_dwordx4 v[60:63], v[76:77], off
	v_add_u32_e32 v24, 0x1e0, v24
	s_waitcnt vmcnt(10)
	v_fmac_f64_e32 v[80:81], v[64:65], v[68:69]
	v_fmac_f64_e32 v[14:15], v[66:67], v[68:69]
	s_waitcnt vmcnt(9)
	v_fmac_f64_e32 v[28:29], v[30:31], v[68:69]
	v_fmac_f64_e32 v[12:13], v[32:33], v[68:69]
	s_waitcnt vmcnt(8)
	v_fmac_f64_e32 v[18:19], v[72:73], v[68:69]
	v_fmac_f64_e32 v[10:11], v[74:75], v[68:69]
	v_fma_f64 v[66:67], -v[66:67], v[70:71], v[80:81]
	v_fmac_f64_e32 v[14:15], v[64:65], v[70:71]
	v_fma_f64 v[28:29], -v[32:33], v[70:71], v[28:29]
	v_fmac_f64_e32 v[12:13], v[30:31], v[70:71]
	v_fma_f64 v[18:19], -v[74:75], v[70:71], v[18:19]
	v_fmac_f64_e32 v[10:11], v[72:73], v[70:71]
	s_waitcnt vmcnt(6)
	v_fmac_f64_e32 v[66:67], v[20:21], v[36:37]
	v_fmac_f64_e32 v[14:15], v[22:23], v[36:37]
	s_waitcnt vmcnt(5)
	v_fmac_f64_e32 v[28:29], v[40:41], v[36:37]
	v_fmac_f64_e32 v[12:13], v[42:43], v[36:37]
	s_waitcnt vmcnt(4)
	v_fmac_f64_e32 v[18:19], v[44:45], v[36:37]
	v_fmac_f64_e32 v[10:11], v[46:47], v[36:37]
	v_fma_f64 v[22:23], -v[22:23], v[38:39], v[66:67]
	v_fmac_f64_e32 v[14:15], v[20:21], v[38:39]
	v_fma_f64 v[20:21], -v[42:43], v[38:39], v[28:29]
	v_fmac_f64_e32 v[12:13], v[40:41], v[38:39]
	v_fma_f64 v[18:19], -v[46:47], v[38:39], v[18:19]
	v_fmac_f64_e32 v[10:11], v[44:45], v[38:39]
	s_waitcnt vmcnt(2)
	v_fmac_f64_e32 v[22:23], v[48:49], v[52:53]
	v_fmac_f64_e32 v[14:15], v[50:51], v[52:53]
	s_waitcnt vmcnt(1)
	v_fmac_f64_e32 v[20:21], v[56:57], v[52:53]
	v_fmac_f64_e32 v[12:13], v[58:59], v[52:53]
	s_waitcnt vmcnt(0)
	v_fmac_f64_e32 v[18:19], v[60:61], v[52:53]
	v_fmac_f64_e32 v[10:11], v[62:63], v[52:53]
	v_fma_f64 v[22:23], -v[50:51], v[54:55], v[22:23]
	v_fmac_f64_e32 v[14:15], v[48:49], v[54:55]
	v_fma_f64 v[20:21], -v[58:59], v[54:55], v[20:21]
	v_fmac_f64_e32 v[12:13], v[56:57], v[54:55]
	v_fma_f64 v[18:19], -v[62:63], v[54:55], v[18:19]
	v_fmac_f64_e32 v[10:11], v[60:61], v[54:55]
	s_andn2_b64 exec, exec, s[0:1]
	s_cbranch_execnz .LBB129_17
; %bb.18:
	s_or_b64 exec, exec, s[0:1]
.LBB129_19:
	s_or_b64 exec, exec, s[4:5]
.LBB129_20:
	v_mov_b32_dpp v26, v20 row_shr:1 row_mask:0xf bank_mask:0xf
	v_mov_b32_dpp v27, v21 row_shr:1 row_mask:0xf bank_mask:0xf
	v_add_f64 v[20:21], v[20:21], v[26:27]
	v_mov_b32_dpp v16, v22 row_shr:1 row_mask:0xf bank_mask:0xf
	v_mov_b32_dpp v17, v23 row_shr:1 row_mask:0xf bank_mask:0xf
	v_mov_b32_dpp v26, v20 row_shr:2 row_mask:0xf bank_mask:0xf
	v_mov_b32_dpp v27, v21 row_shr:2 row_mask:0xf bank_mask:0xf
	v_add_f64 v[20:21], v[20:21], v[26:27]
	v_mov_b32_dpp v24, v14 row_shr:1 row_mask:0xf bank_mask:0xf
	v_mov_b32_dpp v25, v15 row_shr:1 row_mask:0xf bank_mask:0xf
	v_mov_b32_dpp v26, v20 row_shr:4 row_mask:0xf bank_mask:0xe
	v_mov_b32_dpp v27, v21 row_shr:4 row_mask:0xf bank_mask:0xe
	v_add_f64 v[20:21], v[20:21], v[26:27]
	v_add_f64 v[16:17], v[22:23], v[16:17]
	v_add_f64 v[14:15], v[14:15], v[24:25]
	v_mov_b32_dpp v26, v20 row_shr:8 row_mask:0xf bank_mask:0xc
	v_mov_b32_dpp v27, v21 row_shr:8 row_mask:0xf bank_mask:0xc
	v_add_f64 v[26:27], v[20:21], v[26:27]
	v_mov_b32_dpp v20, v12 row_shr:1 row_mask:0xf bank_mask:0xf
	v_mov_b32_dpp v21, v13 row_shr:1 row_mask:0xf bank_mask:0xf
	v_add_f64 v[12:13], v[12:13], v[20:21]
	v_mov_b32_dpp v22, v16 row_shr:2 row_mask:0xf bank_mask:0xf
	v_mov_b32_dpp v23, v17 row_shr:2 row_mask:0xf bank_mask:0xf
	v_mov_b32_dpp v20, v12 row_shr:2 row_mask:0xf bank_mask:0xf
	v_mov_b32_dpp v21, v13 row_shr:2 row_mask:0xf bank_mask:0xf
	v_add_f64 v[12:13], v[12:13], v[20:21]
	v_mov_b32_dpp v24, v14 row_shr:2 row_mask:0xf bank_mask:0xf
	v_mov_b32_dpp v25, v15 row_shr:2 row_mask:0xf bank_mask:0xf
	v_mov_b32_dpp v20, v12 row_shr:4 row_mask:0xf bank_mask:0xe
	v_mov_b32_dpp v21, v13 row_shr:4 row_mask:0xf bank_mask:0xe
	v_add_f64 v[12:13], v[12:13], v[20:21]
	v_add_f64 v[16:17], v[16:17], v[22:23]
	v_add_f64 v[14:15], v[14:15], v[24:25]
	v_mov_b32_dpp v20, v12 row_shr:8 row_mask:0xf bank_mask:0xc
	v_mov_b32_dpp v21, v13 row_shr:8 row_mask:0xf bank_mask:0xc
	v_add_f64 v[30:31], v[12:13], v[20:21]
	;; [unrolled: 18-line block ×4, first 2 shown]
	v_mov_b32_dpp v22, v16 row_bcast:15 row_mask:0xa bank_mask:0xf
	v_mov_b32_dpp v23, v17 row_bcast:15 row_mask:0xa bank_mask:0xf
	;; [unrolled: 1-line block ×12, first 2 shown]
	v_cmp_eq_u32_e32 vcc, 31, v9
	s_and_b64 exec, exec, vcc
	s_cbranch_execz .LBB129_25
; %bb.21:
	s_load_dwordx2 s[2:3], s[2:3], 0x48
	v_cmp_eq_f64_e32 vcc, 0, v[4:5]
	v_cmp_eq_f64_e64 s[0:1], 0, v[6:7]
	v_add_f64 v[16:17], v[16:17], v[22:23]
	v_add_f64 v[20:21], v[14:15], v[24:25]
	;; [unrolled: 1-line block ×6, first 2 shown]
	s_and_b64 s[0:1], vcc, s[0:1]
	s_and_saveexec_b64 s[4:5], s[0:1]
	s_xor_b64 s[0:1], exec, s[4:5]
	s_cbranch_execz .LBB129_23
; %bb.22:
	v_lshl_add_u32 v8, v8, 1, v8
	v_mul_f64 v[4:5], v[20:21], -v[2:3]
	v_mul_f64 v[6:7], v[0:1], v[20:21]
	v_ashrrev_i32_e32 v9, 31, v8
	v_fmac_f64_e32 v[4:5], v[0:1], v[16:17]
	v_fmac_f64_e32 v[6:7], v[2:3], v[16:17]
	s_waitcnt lgkmcnt(0)
	v_lshl_add_u64 v[8:9], v[8:9], 4, s[2:3]
	global_store_dwordx4 v[8:9], v[4:7], off
                                        ; implicit-def: $vgpr16_vgpr17
                                        ; implicit-def: $vgpr20_vgpr21
	s_nop 1
	v_mul_f64 v[4:5], v[18:19], -v[2:3]
	v_mul_f64 v[6:7], v[0:1], v[18:19]
	v_fmac_f64_e32 v[4:5], v[0:1], v[12:13]
	v_fmac_f64_e32 v[6:7], v[2:3], v[12:13]
	global_store_dwordx4 v[8:9], v[4:7], off offset:16
                                        ; implicit-def: $vgpr12_vgpr13
                                        ; implicit-def: $vgpr18_vgpr19
	s_nop 1
	v_mul_f64 v[4:5], v[14:15], -v[2:3]
	v_mul_f64 v[6:7], v[0:1], v[14:15]
	v_fmac_f64_e32 v[4:5], v[0:1], v[10:11]
	v_fmac_f64_e32 v[6:7], v[2:3], v[10:11]
	global_store_dwordx4 v[8:9], v[4:7], off offset:32
                                        ; implicit-def: $vgpr0_vgpr1
                                        ; implicit-def: $vgpr2_vgpr3
                                        ; implicit-def: $vgpr4_vgpr5
                                        ; implicit-def: $vgpr6_vgpr7
                                        ; implicit-def: $vgpr8
                                        ; implicit-def: $vgpr10_vgpr11
                                        ; implicit-def: $vgpr14_vgpr15
.LBB129_23:
	s_andn2_saveexec_b64 s[0:1], s[0:1]
	s_cbranch_execz .LBB129_25
; %bb.24:
	v_lshl_add_u32 v8, v8, 1, v8
	v_ashrrev_i32_e32 v9, 31, v8
	s_waitcnt lgkmcnt(0)
	v_lshl_add_u64 v[38:39], v[8:9], 4, s[2:3]
	global_load_dwordx4 v[22:25], v[38:39], off
	global_load_dwordx4 v[26:29], v[38:39], off offset:16
	global_load_dwordx4 v[30:33], v[38:39], off offset:32
	v_mul_f64 v[34:35], v[20:21], -v[2:3]
	v_mul_f64 v[20:21], v[0:1], v[20:21]
	v_mul_f64 v[40:41], v[18:19], -v[2:3]
	v_mul_f64 v[36:37], v[0:1], v[18:19]
	;; [unrolled: 2-line block ×3, first 2 shown]
	v_fmac_f64_e32 v[34:35], v[0:1], v[16:17]
	v_fmac_f64_e32 v[20:21], v[2:3], v[16:17]
	;; [unrolled: 1-line block ×6, first 2 shown]
	s_waitcnt vmcnt(2)
	v_fmac_f64_e32 v[34:35], v[4:5], v[22:23]
	v_fmac_f64_e32 v[20:21], v[6:7], v[22:23]
	s_waitcnt vmcnt(1)
	v_fmac_f64_e32 v[40:41], v[4:5], v[26:27]
	v_fmac_f64_e32 v[36:37], v[6:7], v[26:27]
	;; [unrolled: 3-line block ×3, first 2 shown]
	v_fma_f64 v[18:19], -v[6:7], v[24:25], v[34:35]
	v_fmac_f64_e32 v[20:21], v[4:5], v[24:25]
	v_fma_f64 v[34:35], -v[6:7], v[28:29], v[40:41]
	v_fmac_f64_e32 v[36:37], v[4:5], v[28:29]
	;; [unrolled: 2-line block ×3, first 2 shown]
	global_store_dwordx4 v[38:39], v[18:21], off
	global_store_dwordx4 v[38:39], v[34:37], off offset:16
	global_store_dwordx4 v[38:39], v[6:9], off offset:32
.LBB129_25:
	s_endpgm
	.section	.rodata,"a",@progbits
	.p2align	6, 0x0
	.amdhsa_kernel _ZN9rocsparseL19gebsrmvn_3xn_kernelILj128ELj5ELj32E21rocsparse_complex_numIdEEEvi20rocsparse_direction_NS_24const_host_device_scalarIT2_EEPKiS8_PKS5_SA_S6_PS5_21rocsparse_index_base_b
		.amdhsa_group_segment_fixed_size 2048
		.amdhsa_private_segment_fixed_size 0
		.amdhsa_kernarg_size 88
		.amdhsa_user_sgpr_count 4
		.amdhsa_user_sgpr_dispatch_ptr 1
		.amdhsa_user_sgpr_queue_ptr 0
		.amdhsa_user_sgpr_kernarg_segment_ptr 1
		.amdhsa_user_sgpr_dispatch_id 0
		.amdhsa_user_sgpr_kernarg_preload_length 0
		.amdhsa_user_sgpr_kernarg_preload_offset 0
		.amdhsa_user_sgpr_private_segment_size 0
		.amdhsa_uses_dynamic_stack 0
		.amdhsa_enable_private_segment 0
		.amdhsa_system_sgpr_workgroup_id_x 1
		.amdhsa_system_sgpr_workgroup_id_y 0
		.amdhsa_system_sgpr_workgroup_id_z 0
		.amdhsa_system_sgpr_workgroup_info 0
		.amdhsa_system_vgpr_workitem_id 2
		.amdhsa_next_free_vgpr 92
		.amdhsa_next_free_sgpr 20
		.amdhsa_accum_offset 92
		.amdhsa_reserve_vcc 1
		.amdhsa_float_round_mode_32 0
		.amdhsa_float_round_mode_16_64 0
		.amdhsa_float_denorm_mode_32 3
		.amdhsa_float_denorm_mode_16_64 3
		.amdhsa_dx10_clamp 1
		.amdhsa_ieee_mode 1
		.amdhsa_fp16_overflow 0
		.amdhsa_tg_split 0
		.amdhsa_exception_fp_ieee_invalid_op 0
		.amdhsa_exception_fp_denorm_src 0
		.amdhsa_exception_fp_ieee_div_zero 0
		.amdhsa_exception_fp_ieee_overflow 0
		.amdhsa_exception_fp_ieee_underflow 0
		.amdhsa_exception_fp_ieee_inexact 0
		.amdhsa_exception_int_div_zero 0
	.end_amdhsa_kernel
	.section	.text._ZN9rocsparseL19gebsrmvn_3xn_kernelILj128ELj5ELj32E21rocsparse_complex_numIdEEEvi20rocsparse_direction_NS_24const_host_device_scalarIT2_EEPKiS8_PKS5_SA_S6_PS5_21rocsparse_index_base_b,"axG",@progbits,_ZN9rocsparseL19gebsrmvn_3xn_kernelILj128ELj5ELj32E21rocsparse_complex_numIdEEEvi20rocsparse_direction_NS_24const_host_device_scalarIT2_EEPKiS8_PKS5_SA_S6_PS5_21rocsparse_index_base_b,comdat
.Lfunc_end129:
	.size	_ZN9rocsparseL19gebsrmvn_3xn_kernelILj128ELj5ELj32E21rocsparse_complex_numIdEEEvi20rocsparse_direction_NS_24const_host_device_scalarIT2_EEPKiS8_PKS5_SA_S6_PS5_21rocsparse_index_base_b, .Lfunc_end129-_ZN9rocsparseL19gebsrmvn_3xn_kernelILj128ELj5ELj32E21rocsparse_complex_numIdEEEvi20rocsparse_direction_NS_24const_host_device_scalarIT2_EEPKiS8_PKS5_SA_S6_PS5_21rocsparse_index_base_b
                                        ; -- End function
	.section	.AMDGPU.csdata,"",@progbits
; Kernel info:
; codeLenInByte = 3348
; NumSgprs: 26
; NumVgprs: 92
; NumAgprs: 0
; TotalNumVgprs: 92
; ScratchSize: 0
; MemoryBound: 0
; FloatMode: 240
; IeeeMode: 1
; LDSByteSize: 2048 bytes/workgroup (compile time only)
; SGPRBlocks: 3
; VGPRBlocks: 11
; NumSGPRsForWavesPerEU: 26
; NumVGPRsForWavesPerEU: 92
; AccumOffset: 92
; Occupancy: 5
; WaveLimiterHint : 1
; COMPUTE_PGM_RSRC2:SCRATCH_EN: 0
; COMPUTE_PGM_RSRC2:USER_SGPR: 4
; COMPUTE_PGM_RSRC2:TRAP_HANDLER: 0
; COMPUTE_PGM_RSRC2:TGID_X_EN: 1
; COMPUTE_PGM_RSRC2:TGID_Y_EN: 0
; COMPUTE_PGM_RSRC2:TGID_Z_EN: 0
; COMPUTE_PGM_RSRC2:TIDIG_COMP_CNT: 2
; COMPUTE_PGM_RSRC3_GFX90A:ACCUM_OFFSET: 22
; COMPUTE_PGM_RSRC3_GFX90A:TG_SPLIT: 0
	.section	.text._ZN9rocsparseL19gebsrmvn_3xn_kernelILj128ELj5ELj64E21rocsparse_complex_numIdEEEvi20rocsparse_direction_NS_24const_host_device_scalarIT2_EEPKiS8_PKS5_SA_S6_PS5_21rocsparse_index_base_b,"axG",@progbits,_ZN9rocsparseL19gebsrmvn_3xn_kernelILj128ELj5ELj64E21rocsparse_complex_numIdEEEvi20rocsparse_direction_NS_24const_host_device_scalarIT2_EEPKiS8_PKS5_SA_S6_PS5_21rocsparse_index_base_b,comdat
	.globl	_ZN9rocsparseL19gebsrmvn_3xn_kernelILj128ELj5ELj64E21rocsparse_complex_numIdEEEvi20rocsparse_direction_NS_24const_host_device_scalarIT2_EEPKiS8_PKS5_SA_S6_PS5_21rocsparse_index_base_b ; -- Begin function _ZN9rocsparseL19gebsrmvn_3xn_kernelILj128ELj5ELj64E21rocsparse_complex_numIdEEEvi20rocsparse_direction_NS_24const_host_device_scalarIT2_EEPKiS8_PKS5_SA_S6_PS5_21rocsparse_index_base_b
	.p2align	8
	.type	_ZN9rocsparseL19gebsrmvn_3xn_kernelILj128ELj5ELj64E21rocsparse_complex_numIdEEEvi20rocsparse_direction_NS_24const_host_device_scalarIT2_EEPKiS8_PKS5_SA_S6_PS5_21rocsparse_index_base_b,@function
_ZN9rocsparseL19gebsrmvn_3xn_kernelILj128ELj5ELj64E21rocsparse_complex_numIdEEEvi20rocsparse_direction_NS_24const_host_device_scalarIT2_EEPKiS8_PKS5_SA_S6_PS5_21rocsparse_index_base_b: ; @_ZN9rocsparseL19gebsrmvn_3xn_kernelILj128ELj5ELj64E21rocsparse_complex_numIdEEEvi20rocsparse_direction_NS_24const_host_device_scalarIT2_EEPKiS8_PKS5_SA_S6_PS5_21rocsparse_index_base_b
; %bb.0:
	s_load_dwordx2 s[16:17], s[2:3], 0x50
	s_load_dwordx4 s[12:15], s[2:3], 0x8
	s_load_dwordx4 s[8:11], s[2:3], 0x38
	s_load_dwordx2 s[18:19], s[0:1], 0x4
	s_mov_b64 s[6:7], src_shared_base
	s_waitcnt lgkmcnt(0)
	s_bitcmp1_b32 s17, 0
	s_cselect_b64 s[0:1], -1, 0
	s_and_b64 vcc, s[0:1], exec
	s_cselect_b32 s5, s7, s13
	s_lshr_b32 s6, s18, 16
	v_bfe_u32 v1, v0, 10, 10
	v_and_b32_e32 v10, 0x3ff, v0
	s_mul_i32 s6, s6, s19
	v_mul_u32_u24_e32 v1, s19, v1
	v_mad_u32_u24 v1, s6, v10, v1
	v_bfe_u32 v0, v0, 20, 10
	v_add_lshl_u32 v4, v1, v0, 3
	v_mov_b32_e32 v5, s12
	v_add_u32_e32 v6, 0x400, v4
	v_mov_b64_e32 v[0:1], s[12:13]
	v_mov_b64_e32 v[2:3], s[8:9]
	ds_write2st64_b64 v4, v[2:3], v[0:1] offset1:2
	v_cndmask_b32_e64 v0, v5, v6, s[0:1]
	v_mov_b32_e32 v1, s5
	flat_load_dwordx2 v[0:1], v[0:1]
	s_xor_b64 s[18:19], s[0:1], -1
	v_mov_b64_e32 v[2:3], s[14:15]
	s_cbranch_vccnz .LBB130_2
; %bb.1:
	v_mov_b64_e32 v[2:3], s[12:13]
	flat_load_dwordx2 v[2:3], v[2:3] offset:8
.LBB130_2:
	s_and_b64 s[12:13], s[0:1], exec
	s_cselect_b32 s5, s7, s9
	v_mov_b32_e32 v5, s8
	v_cndmask_b32_e64 v4, v5, v4, s[0:1]
	v_mov_b32_e32 v5, s5
	flat_load_dwordx2 v[4:5], v[4:5]
	s_andn2_b64 vcc, exec, s[18:19]
	v_mov_b64_e32 v[6:7], s[10:11]
	s_cbranch_vccnz .LBB130_4
; %bb.3:
	v_mov_b64_e32 v[6:7], s[8:9]
	flat_load_dwordx2 v[6:7], v[6:7] offset:8
.LBB130_4:
	s_waitcnt vmcnt(0) lgkmcnt(0)
	v_cmp_eq_f64_e32 vcc, 0, v[0:1]
	v_cmp_eq_f64_e64 s[0:1], 0, v[2:3]
	s_and_b64 s[8:9], vcc, s[0:1]
	s_mov_b64 s[0:1], -1
	s_and_saveexec_b64 s[6:7], s[8:9]
; %bb.5:
	v_cmp_neq_f64_e32 vcc, 1.0, v[4:5]
	v_cmp_neq_f64_e64 s[0:1], 0, v[6:7]
	s_or_b64 s[0:1], vcc, s[0:1]
	s_orn2_b64 s[0:1], s[0:1], exec
; %bb.6:
	s_or_b64 exec, exec, s[6:7]
	s_and_saveexec_b64 s[6:7], s[0:1]
	s_cbranch_execz .LBB130_25
; %bb.7:
	s_load_dwordx2 s[0:1], s[2:3], 0x0
	v_lshrrev_b32_e32 v8, 6, v10
	v_lshl_or_b32 v8, s4, 1, v8
	s_waitcnt lgkmcnt(0)
	v_cmp_gt_i32_e32 vcc, s0, v8
	s_and_b64 exec, exec, vcc
	s_cbranch_execz .LBB130_25
; %bb.8:
	s_load_dwordx8 s[4:11], s[2:3], 0x18
	v_ashrrev_i32_e32 v9, 31, v8
	s_cmp_lg_u32 s1, 0
	s_waitcnt lgkmcnt(0)
	v_lshl_add_u64 v[12:13], v[8:9], 2, s[4:5]
	global_load_dwordx2 v[12:13], v[12:13], off
	v_and_b32_e32 v9, 63, v10
	s_waitcnt vmcnt(0)
	v_subrev_u32_e32 v10, s16, v12
	v_subrev_u32_e32 v34, s16, v13
	v_add_u32_e32 v16, v10, v9
	v_cmp_lt_i32_e64 s[0:1], v16, v34
	s_cbranch_scc0 .LBB130_14
; %bb.9:
	v_mov_b64_e32 v[14:15], 0
	s_mov_b64 s[4:5], 0
	v_mov_b64_e32 v[22:23], v[14:15]
	v_mov_b64_e32 v[18:19], v[14:15]
	;; [unrolled: 1-line block ×5, first 2 shown]
	s_and_saveexec_b64 s[12:13], s[0:1]
	s_cbranch_execz .LBB130_13
; %bb.10:
	v_mad_u64_u32 v[24:25], s[14:15], v16, 15, 14
	v_mov_b64_e32 v[14:15], 0
	s_mov_b64 s[14:15], 0
	v_mov_b32_e32 v27, 0
	v_mov_b32_e32 v28, v16
	v_mov_b64_e32 v[22:23], v[14:15]
	v_mov_b64_e32 v[18:19], v[14:15]
	;; [unrolled: 1-line block ×5, first 2 shown]
.LBB130_11:                             ; =>This Inner Loop Header: Depth=1
	v_ashrrev_i32_e32 v29, 31, v28
	v_add_u32_e32 v26, -14, v24
	v_lshl_add_u64 v[32:33], v[28:29], 2, s[6:7]
	v_lshl_add_u64 v[40:41], v[26:27], 4, s[8:9]
	global_load_dword v17, v[32:33], off
	global_load_dwordx4 v[36:39], v[40:41], off
	v_add_u32_e32 v26, -13, v24
	v_mov_b32_e32 v25, v27
	v_lshl_add_u64 v[32:33], v[26:27], 4, s[8:9]
	v_add_u32_e32 v26, -12, v24
	v_lshl_add_u64 v[42:43], v[24:25], 4, s[8:9]
	v_lshl_add_u64 v[52:53], v[26:27], 4, s[8:9]
	v_add_u32_e32 v26, -11, v24
	v_mov_b32_e32 v31, v27
	global_load_dwordx4 v[40:43], v[42:43], off
	s_nop 0
	global_load_dwordx4 v[44:47], v[32:33], off
	global_load_dwordx4 v[48:51], v[52:53], off
	v_lshl_add_u64 v[32:33], v[26:27], 4, s[8:9]
	global_load_dwordx4 v[52:55], v[32:33], off
	v_add_u32_e32 v28, 64, v28
	v_cmp_ge_i32_e32 vcc, v28, v34
	s_or_b64 s[14:15], vcc, s[14:15]
	s_waitcnt vmcnt(5)
	v_subrev_u32_e32 v17, s16, v17
	v_lshl_add_u32 v30, v17, 2, v17
	v_lshl_add_u64 v[32:33], v[30:31], 4, s[10:11]
	global_load_dwordx4 v[56:59], v[32:33], off
	v_add_u32_e32 v26, 1, v30
	v_lshl_add_u64 v[32:33], v[26:27], 4, s[10:11]
	global_load_dwordx4 v[60:63], v[32:33], off
	v_add_u32_e32 v26, -10, v24
	v_lshl_add_u64 v[32:33], v[26:27], 4, s[8:9]
	v_add_u32_e32 v26, -9, v24
	global_load_dwordx4 v[64:67], v[32:33], off
	v_lshl_add_u64 v[32:33], v[26:27], 4, s[8:9]
	v_add_u32_e32 v26, -8, v24
	global_load_dwordx4 v[68:71], v[32:33], off
	v_lshl_add_u64 v[32:33], v[26:27], 4, s[8:9]
	v_add_u32_e32 v26, 2, v30
	global_load_dwordx4 v[72:75], v[32:33], off
	v_lshl_add_u64 v[32:33], v[26:27], 4, s[10:11]
	v_add_u32_e32 v26, -7, v24
	global_load_dwordx4 v[76:79], v[32:33], off
	v_lshl_add_u64 v[32:33], v[26:27], 4, s[8:9]
	v_add_u32_e32 v26, -6, v24
	v_lshl_add_u64 v[88:89], v[26:27], 4, s[8:9]
	v_add_u32_e32 v26, -5, v24
	global_load_dwordx4 v[80:83], v[32:33], off
	global_load_dwordx4 v[84:87], v[88:89], off
	v_lshl_add_u64 v[32:33], v[26:27], 4, s[8:9]
	v_add_u32_e32 v26, 3, v30
	s_waitcnt vmcnt(7)
	v_fmac_f64_e32 v[22:23], v[36:37], v[56:57]
	v_fmac_f64_e32 v[14:15], v[38:39], v[56:57]
	v_fma_f64 v[88:89], -v[38:39], v[58:59], v[22:23]
	v_lshl_add_u64 v[22:23], v[26:27], 4, s[10:11]
	v_add_u32_e32 v26, -4, v24
	v_fmac_f64_e32 v[14:15], v[36:37], v[58:59]
	global_load_dwordx4 v[36:39], v[32:33], off
	v_lshl_add_u64 v[32:33], v[26:27], 4, s[8:9]
	v_add_u32_e32 v26, -3, v24
	v_fmac_f64_e32 v[20:21], v[44:45], v[56:57]
	v_fmac_f64_e32 v[12:13], v[46:47], v[56:57]
	;; [unrolled: 1-line block ×4, first 2 shown]
	v_lshl_add_u64 v[56:57], v[26:27], 4, s[8:9]
	v_add_u32_e32 v26, -2, v24
	v_fma_f64 v[90:91], -v[46:47], v[58:59], v[20:21]
	v_fmac_f64_e32 v[12:13], v[44:45], v[58:59]
	v_fma_f64 v[18:19], -v[50:51], v[58:59], v[18:19]
	v_fmac_f64_e32 v[10:11], v[48:49], v[58:59]
	v_lshl_add_u64 v[58:59], v[26:27], 4, s[8:9]
	v_add_u32_e32 v26, 4, v30
	s_waitcnt vmcnt(7)
	v_fmac_f64_e32 v[14:15], v[54:55], v[60:61]
	global_load_dwordx4 v[20:23], v[22:23], off
	v_fmac_f64_e32 v[88:89], v[52:53], v[60:61]
	global_load_dwordx4 v[44:47], v[32:33], off
	v_fmac_f64_e32 v[14:15], v[52:53], v[62:63]
	v_lshl_add_u64 v[52:53], v[26:27], 4, s[10:11]
	v_add_u32_e32 v26, -1, v24
	global_load_dwordx4 v[30:33], v[56:57], off
	global_load_dwordx4 v[48:51], v[58:59], off
	v_lshl_add_u64 v[56:57], v[26:27], 4, s[8:9]
	v_fma_f64 v[88:89], -v[54:55], v[62:63], v[88:89]
	global_load_dwordx4 v[52:55], v[52:53], off
	s_waitcnt vmcnt(11)
	v_fmac_f64_e32 v[90:91], v[64:65], v[60:61]
	global_load_dwordx4 v[56:59], v[56:57], off
	v_fmac_f64_e32 v[12:13], v[66:67], v[60:61]
	s_waitcnt vmcnt(11)
	v_fmac_f64_e32 v[18:19], v[68:69], v[60:61]
	v_fmac_f64_e32 v[10:11], v[70:71], v[60:61]
	v_fma_f64 v[66:67], -v[66:67], v[62:63], v[90:91]
	v_fmac_f64_e32 v[12:13], v[64:65], v[62:63]
	v_fma_f64 v[18:19], -v[70:71], v[62:63], v[18:19]
	v_fmac_f64_e32 v[10:11], v[68:69], v[62:63]
	s_waitcnt vmcnt(9)
	v_fmac_f64_e32 v[88:89], v[72:73], v[76:77]
	v_fmac_f64_e32 v[14:15], v[74:75], v[76:77]
	s_waitcnt vmcnt(8)
	v_fmac_f64_e32 v[66:67], v[80:81], v[76:77]
	v_fmac_f64_e32 v[12:13], v[82:83], v[76:77]
	s_waitcnt vmcnt(7)
	v_fmac_f64_e32 v[18:19], v[84:85], v[76:77]
	v_fmac_f64_e32 v[10:11], v[86:87], v[76:77]
	v_fma_f64 v[60:61], -v[74:75], v[78:79], v[88:89]
	v_fmac_f64_e32 v[14:15], v[72:73], v[78:79]
	v_fma_f64 v[62:63], -v[82:83], v[78:79], v[66:67]
	;; [unrolled: 2-line block ×3, first 2 shown]
	v_fmac_f64_e32 v[10:11], v[84:85], v[78:79]
	v_add_u32_e32 v24, 0x3c0, v24
	s_waitcnt vmcnt(5)
	v_fmac_f64_e32 v[60:61], v[36:37], v[20:21]
	v_fmac_f64_e32 v[14:15], v[38:39], v[20:21]
	s_waitcnt vmcnt(4)
	v_fmac_f64_e32 v[62:63], v[44:45], v[20:21]
	v_fmac_f64_e32 v[12:13], v[46:47], v[20:21]
	v_fma_f64 v[38:39], -v[38:39], v[22:23], v[60:61]
	s_waitcnt vmcnt(3)
	v_fmac_f64_e32 v[18:19], v[30:31], v[20:21]
	v_fmac_f64_e32 v[10:11], v[32:33], v[20:21]
	;; [unrolled: 1-line block ×3, first 2 shown]
	v_fma_f64 v[36:37], -v[46:47], v[22:23], v[62:63]
	v_fmac_f64_e32 v[12:13], v[44:45], v[22:23]
	v_fma_f64 v[18:19], -v[32:33], v[22:23], v[18:19]
	v_fmac_f64_e32 v[10:11], v[30:31], v[22:23]
	s_waitcnt vmcnt(1)
	v_fmac_f64_e32 v[38:39], v[48:49], v[52:53]
	v_fmac_f64_e32 v[14:15], v[50:51], v[52:53]
	;; [unrolled: 1-line block ×4, first 2 shown]
	s_waitcnt vmcnt(0)
	v_fmac_f64_e32 v[36:37], v[56:57], v[52:53]
	v_fmac_f64_e32 v[12:13], v[58:59], v[52:53]
	v_fma_f64 v[22:23], -v[50:51], v[54:55], v[38:39]
	v_fmac_f64_e32 v[14:15], v[48:49], v[54:55]
	v_fma_f64 v[18:19], -v[42:43], v[54:55], v[18:19]
	;; [unrolled: 2-line block ×3, first 2 shown]
	v_fmac_f64_e32 v[12:13], v[56:57], v[54:55]
	s_andn2_b64 exec, exec, s[14:15]
	s_cbranch_execnz .LBB130_11
; %bb.12:
	s_or_b64 exec, exec, s[14:15]
.LBB130_13:
	s_or_b64 exec, exec, s[12:13]
	s_andn2_b64 vcc, exec, s[4:5]
	s_cbranch_vccz .LBB130_15
	s_branch .LBB130_20
.LBB130_14:
                                        ; implicit-def: $vgpr14_vgpr15
                                        ; implicit-def: $vgpr22_vgpr23
                                        ; implicit-def: $vgpr18_vgpr19
                                        ; implicit-def: $vgpr10_vgpr11
                                        ; implicit-def: $vgpr20_vgpr21
                                        ; implicit-def: $vgpr12_vgpr13
.LBB130_15:
	v_mov_b64_e32 v[14:15], 0
	v_mov_b64_e32 v[22:23], v[14:15]
	;; [unrolled: 1-line block ×6, first 2 shown]
	s_and_saveexec_b64 s[4:5], s[0:1]
	s_cbranch_execz .LBB130_19
; %bb.16:
	v_mad_u64_u32 v[24:25], s[0:1], v16, 15, 14
	v_mov_b64_e32 v[14:15], 0
	s_mov_b64 s[0:1], 0
	v_mov_b32_e32 v27, 0
	v_mov_b64_e32 v[22:23], v[14:15]
	v_mov_b64_e32 v[18:19], v[14:15]
	;; [unrolled: 1-line block ×5, first 2 shown]
.LBB130_17:                             ; =>This Inner Loop Header: Depth=1
	v_ashrrev_i32_e32 v17, 31, v16
	v_add_u32_e32 v26, -14, v24
	v_add_u32_e32 v32, -9, v24
	;; [unrolled: 1-line block ×3, first 2 shown]
	v_mov_b32_e32 v33, v27
	v_mov_b32_e32 v31, v27
	v_lshl_add_u64 v[44:45], v[16:17], 2, s[6:7]
	v_lshl_add_u64 v[46:47], v[26:27], 4, s[8:9]
	;; [unrolled: 1-line block ×4, first 2 shown]
	global_load_dword v17, v[44:45], off
	global_load_dwordx4 v[30:33], v[46:47], off
	global_load_dwordx4 v[36:39], v[48:49], off
	;; [unrolled: 1-line block ×3, first 2 shown]
	v_mov_b32_e32 v29, v27
	v_add_u32_e32 v26, -13, v24
	v_lshl_add_u64 v[44:45], v[26:27], 4, s[8:9]
	global_load_dwordx4 v[44:47], v[44:45], off
	v_mov_b32_e32 v25, v27
	v_lshl_add_u64 v[76:77], v[24:25], 4, s[8:9]
	v_add_u32_e32 v16, 64, v16
	v_cmp_ge_i32_e32 vcc, v16, v34
	s_or_b64 s[0:1], vcc, s[0:1]
	s_waitcnt vmcnt(4)
	v_subrev_u32_e32 v17, s16, v17
	v_lshl_add_u32 v28, v17, 2, v17
	v_lshl_add_u64 v[48:49], v[28:29], 4, s[10:11]
	global_load_dwordx4 v[48:51], v[48:49], off
	v_add_u32_e32 v26, 1, v28
	v_lshl_add_u64 v[52:53], v[26:27], 4, s[10:11]
	global_load_dwordx4 v[52:55], v[52:53], off
	v_add_u32_e32 v26, -8, v24
	v_lshl_add_u64 v[56:57], v[26:27], 4, s[8:9]
	v_add_u32_e32 v26, -3, v24
	global_load_dwordx4 v[56:59], v[56:57], off
	v_lshl_add_u64 v[60:61], v[26:27], 4, s[8:9]
	global_load_dwordx4 v[60:63], v[60:61], off
	v_add_u32_e32 v26, -12, v24
	v_lshl_add_u64 v[64:65], v[26:27], 4, s[8:9]
	v_add_u32_e32 v26, 2, v28
	v_lshl_add_u64 v[68:69], v[26:27], 4, s[10:11]
	v_add_u32_e32 v26, -7, v24
	v_lshl_add_u64 v[78:79], v[26:27], 4, s[8:9]
	v_add_u32_e32 v26, -2, v24
	;; [unrolled: 2-line block ×3, first 2 shown]
	global_load_dwordx4 v[64:67], v[64:65], off
	s_waitcnt vmcnt(4)
	v_fmac_f64_e32 v[22:23], v[30:31], v[48:49]
	v_fmac_f64_e32 v[14:15], v[32:33], v[48:49]
	;; [unrolled: 1-line block ×3, first 2 shown]
	global_load_dwordx4 v[68:71], v[68:69], off
	v_fma_f64 v[82:83], -v[32:33], v[50:51], v[22:23]
	v_fmac_f64_e32 v[14:15], v[30:31], v[50:51]
	global_load_dwordx4 v[30:33], v[78:79], off
	global_load_dwordx4 v[72:75], v[80:81], off
	v_fmac_f64_e32 v[12:13], v[38:39], v[48:49]
	v_fma_f64 v[78:79], -v[38:39], v[50:51], v[20:21]
	v_lshl_add_u64 v[20:21], v[26:27], 4, s[8:9]
	v_add_u32_e32 v26, 3, v28
	v_fmac_f64_e32 v[12:13], v[36:37], v[50:51]
	v_fmac_f64_e32 v[10:11], v[42:43], v[48:49]
	v_lshl_add_u64 v[36:37], v[26:27], 4, s[10:11]
	v_add_u32_e32 v26, -6, v24
	v_fmac_f64_e32 v[18:19], v[40:41], v[48:49]
	v_fmac_f64_e32 v[10:11], v[40:41], v[50:51]
	v_lshl_add_u64 v[40:41], v[26:27], 4, s[8:9]
	v_add_u32_e32 v26, -1, v24
	v_lshl_add_u64 v[48:49], v[26:27], 4, s[8:9]
	v_add_u32_e32 v26, -10, v24
	v_fma_f64 v[18:19], -v[42:43], v[50:51], v[18:19]
	s_waitcnt vmcnt(6)
	v_fmac_f64_e32 v[82:83], v[44:45], v[52:53]
	v_fmac_f64_e32 v[14:15], v[46:47], v[52:53]
	v_lshl_add_u64 v[50:51], v[26:27], 4, s[8:9]
	v_add_u32_e32 v26, 4, v28
	s_waitcnt vmcnt(5)
	v_fmac_f64_e32 v[12:13], v[58:59], v[52:53]
	global_load_dwordx4 v[20:23], v[20:21], off
	v_fma_f64 v[80:81], -v[46:47], v[54:55], v[82:83]
	global_load_dwordx4 v[36:39], v[36:37], off
	v_fmac_f64_e32 v[14:15], v[44:45], v[54:55]
	global_load_dwordx4 v[40:43], v[40:41], off
	v_fmac_f64_e32 v[78:79], v[56:57], v[52:53]
	;; [unrolled: 2-line block ×3, first 2 shown]
	v_lshl_add_u64 v[56:57], v[26:27], 4, s[10:11]
	v_add_u32_e32 v26, -5, v24
	v_fma_f64 v[28:29], -v[58:59], v[54:55], v[78:79]
	s_waitcnt vmcnt(8)
	v_fmac_f64_e32 v[18:19], v[60:61], v[52:53]
	v_fmac_f64_e32 v[10:11], v[62:63], v[52:53]
	v_lshl_add_u64 v[78:79], v[26:27], 4, s[8:9]
	global_load_dwordx4 v[48:51], v[50:51], off
	v_fma_f64 v[18:19], -v[62:63], v[54:55], v[18:19]
	v_fmac_f64_e32 v[10:11], v[60:61], v[54:55]
	global_load_dwordx4 v[52:55], v[56:57], off
	s_nop 0
	global_load_dwordx4 v[56:59], v[78:79], off
	global_load_dwordx4 v[60:63], v[76:77], off
	v_add_u32_e32 v24, 0x3c0, v24
	s_waitcnt vmcnt(10)
	v_fmac_f64_e32 v[80:81], v[64:65], v[68:69]
	v_fmac_f64_e32 v[14:15], v[66:67], v[68:69]
	s_waitcnt vmcnt(9)
	v_fmac_f64_e32 v[28:29], v[30:31], v[68:69]
	v_fmac_f64_e32 v[12:13], v[32:33], v[68:69]
	s_waitcnt vmcnt(8)
	v_fmac_f64_e32 v[18:19], v[72:73], v[68:69]
	v_fmac_f64_e32 v[10:11], v[74:75], v[68:69]
	v_fma_f64 v[66:67], -v[66:67], v[70:71], v[80:81]
	v_fmac_f64_e32 v[14:15], v[64:65], v[70:71]
	v_fma_f64 v[28:29], -v[32:33], v[70:71], v[28:29]
	v_fmac_f64_e32 v[12:13], v[30:31], v[70:71]
	v_fma_f64 v[18:19], -v[74:75], v[70:71], v[18:19]
	v_fmac_f64_e32 v[10:11], v[72:73], v[70:71]
	s_waitcnt vmcnt(6)
	v_fmac_f64_e32 v[66:67], v[20:21], v[36:37]
	v_fmac_f64_e32 v[14:15], v[22:23], v[36:37]
	s_waitcnt vmcnt(5)
	v_fmac_f64_e32 v[28:29], v[40:41], v[36:37]
	v_fmac_f64_e32 v[12:13], v[42:43], v[36:37]
	s_waitcnt vmcnt(4)
	v_fmac_f64_e32 v[18:19], v[44:45], v[36:37]
	v_fmac_f64_e32 v[10:11], v[46:47], v[36:37]
	v_fma_f64 v[22:23], -v[22:23], v[38:39], v[66:67]
	v_fmac_f64_e32 v[14:15], v[20:21], v[38:39]
	v_fma_f64 v[20:21], -v[42:43], v[38:39], v[28:29]
	v_fmac_f64_e32 v[12:13], v[40:41], v[38:39]
	v_fma_f64 v[18:19], -v[46:47], v[38:39], v[18:19]
	v_fmac_f64_e32 v[10:11], v[44:45], v[38:39]
	;; [unrolled: 15-line block ×3, first 2 shown]
	s_andn2_b64 exec, exec, s[0:1]
	s_cbranch_execnz .LBB130_17
; %bb.18:
	s_or_b64 exec, exec, s[0:1]
.LBB130_19:
	s_or_b64 exec, exec, s[4:5]
.LBB130_20:
	v_mov_b32_dpp v28, v12 row_shr:1 row_mask:0xf bank_mask:0xf
	v_mov_b32_dpp v29, v13 row_shr:1 row_mask:0xf bank_mask:0xf
	v_add_f64 v[12:13], v[12:13], v[28:29]
	v_mov_b32_dpp v16, v22 row_shr:1 row_mask:0xf bank_mask:0xf
	v_mov_b32_dpp v17, v23 row_shr:1 row_mask:0xf bank_mask:0xf
	v_mov_b32_dpp v28, v12 row_shr:2 row_mask:0xf bank_mask:0xf
	v_mov_b32_dpp v29, v13 row_shr:2 row_mask:0xf bank_mask:0xf
	v_add_f64 v[12:13], v[12:13], v[28:29]
	v_mov_b32_dpp v24, v14 row_shr:1 row_mask:0xf bank_mask:0xf
	v_mov_b32_dpp v25, v15 row_shr:1 row_mask:0xf bank_mask:0xf
	;; [unrolled: 5-line block ×3, first 2 shown]
	v_mov_b32_dpp v28, v12 row_shr:8 row_mask:0xf bank_mask:0xc
	v_mov_b32_dpp v29, v13 row_shr:8 row_mask:0xf bank_mask:0xc
	v_add_f64 v[12:13], v[12:13], v[28:29]
	v_add_f64 v[16:17], v[22:23], v[16:17]
	;; [unrolled: 1-line block ×3, first 2 shown]
	v_mov_b32_dpp v28, v12 row_bcast:15 row_mask:0xa bank_mask:0xf
	v_mov_b32_dpp v29, v13 row_bcast:15 row_mask:0xa bank_mask:0xf
	v_add_f64 v[28:29], v[12:13], v[28:29]
	v_mov_b32_dpp v12, v18 row_shr:1 row_mask:0xf bank_mask:0xf
	v_mov_b32_dpp v13, v19 row_shr:1 row_mask:0xf bank_mask:0xf
	v_add_f64 v[12:13], v[18:19], v[12:13]
	v_add_f64 v[20:21], v[20:21], v[26:27]
	v_mov_b32_dpp v22, v16 row_shr:2 row_mask:0xf bank_mask:0xf
	v_mov_b32_dpp v18, v12 row_shr:2 row_mask:0xf bank_mask:0xf
	v_mov_b32_dpp v19, v13 row_shr:2 row_mask:0xf bank_mask:0xf
	v_add_f64 v[12:13], v[12:13], v[18:19]
	v_mov_b32_dpp v23, v17 row_shr:2 row_mask:0xf bank_mask:0xf
	v_mov_b32_dpp v24, v14 row_shr:2 row_mask:0xf bank_mask:0xf
	v_mov_b32_dpp v18, v12 row_shr:4 row_mask:0xf bank_mask:0xe
	v_mov_b32_dpp v19, v13 row_shr:4 row_mask:0xf bank_mask:0xe
	v_add_f64 v[12:13], v[12:13], v[18:19]
	v_mov_b32_dpp v25, v15 row_shr:2 row_mask:0xf bank_mask:0xf
	;; [unrolled: 5-line block ×3, first 2 shown]
	v_add_f64 v[16:17], v[16:17], v[22:23]
	v_mov_b32_dpp v18, v12 row_bcast:15 row_mask:0xa bank_mask:0xf
	v_mov_b32_dpp v19, v13 row_bcast:15 row_mask:0xa bank_mask:0xf
	v_add_f64 v[32:33], v[12:13], v[18:19]
	v_mov_b32_dpp v12, v10 row_shr:1 row_mask:0xf bank_mask:0xf
	v_mov_b32_dpp v13, v11 row_shr:1 row_mask:0xf bank_mask:0xf
	v_add_f64 v[10:11], v[10:11], v[12:13]
	v_add_f64 v[14:15], v[14:15], v[24:25]
	;; [unrolled: 1-line block ×3, first 2 shown]
	v_mov_b32_dpp v12, v10 row_shr:2 row_mask:0xf bank_mask:0xf
	v_mov_b32_dpp v13, v11 row_shr:2 row_mask:0xf bank_mask:0xf
	v_add_f64 v[10:11], v[10:11], v[12:13]
	v_mov_b32_dpp v22, v16 row_shr:4 row_mask:0xf bank_mask:0xe
	v_mov_b32_dpp v23, v17 row_shr:4 row_mask:0xf bank_mask:0xe
	;; [unrolled: 1-line block ×8, first 2 shown]
	v_add_f64 v[16:17], v[16:17], v[22:23]
	v_add_f64 v[14:15], v[14:15], v[24:25]
	;; [unrolled: 1-line block ×4, first 2 shown]
	v_mov_b32_dpp v22, v16 row_shr:8 row_mask:0xf bank_mask:0xc
	v_mov_b32_dpp v23, v17 row_shr:8 row_mask:0xf bank_mask:0xc
	;; [unrolled: 1-line block ×8, first 2 shown]
	v_add_f64 v[16:17], v[16:17], v[22:23]
	v_add_f64 v[14:15], v[14:15], v[24:25]
	;; [unrolled: 1-line block ×4, first 2 shown]
	v_mov_b32_dpp v22, v16 row_bcast:15 row_mask:0xa bank_mask:0xf
	v_mov_b32_dpp v23, v17 row_bcast:15 row_mask:0xa bank_mask:0xf
	;; [unrolled: 1-line block ×8, first 2 shown]
	v_add_f64 v[16:17], v[16:17], v[22:23]
	v_add_f64 v[14:15], v[14:15], v[24:25]
	;; [unrolled: 1-line block ×4, first 2 shown]
	v_mov_b32_dpp v22, v16 row_bcast:31 row_mask:0xc bank_mask:0xf
	v_mov_b32_dpp v23, v17 row_bcast:31 row_mask:0xc bank_mask:0xf
	;; [unrolled: 1-line block ×12, first 2 shown]
	v_cmp_eq_u32_e32 vcc, 63, v9
	s_and_b64 exec, exec, vcc
	s_cbranch_execz .LBB130_25
; %bb.21:
	s_load_dwordx2 s[2:3], s[2:3], 0x48
	v_cmp_eq_f64_e32 vcc, 0, v[4:5]
	v_cmp_eq_f64_e64 s[0:1], 0, v[6:7]
	v_add_f64 v[16:17], v[16:17], v[22:23]
	v_add_f64 v[22:23], v[14:15], v[24:25]
	;; [unrolled: 1-line block ×6, first 2 shown]
	s_and_b64 s[0:1], vcc, s[0:1]
	s_and_saveexec_b64 s[4:5], s[0:1]
	s_xor_b64 s[0:1], exec, s[4:5]
	s_cbranch_execz .LBB130_23
; %bb.22:
	v_lshl_add_u32 v8, v8, 1, v8
	v_mul_f64 v[4:5], v[22:23], -v[2:3]
	v_mul_f64 v[6:7], v[0:1], v[22:23]
	v_ashrrev_i32_e32 v9, 31, v8
	v_fmac_f64_e32 v[4:5], v[0:1], v[16:17]
	v_fmac_f64_e32 v[6:7], v[2:3], v[16:17]
	s_waitcnt lgkmcnt(0)
	v_lshl_add_u64 v[8:9], v[8:9], 4, s[2:3]
	global_store_dwordx4 v[8:9], v[4:7], off
                                        ; implicit-def: $vgpr16_vgpr17
                                        ; implicit-def: $vgpr22_vgpr23
	s_nop 1
	v_mul_f64 v[4:5], v[18:19], -v[2:3]
	v_mul_f64 v[6:7], v[0:1], v[18:19]
	v_fmac_f64_e32 v[4:5], v[0:1], v[12:13]
	v_fmac_f64_e32 v[6:7], v[2:3], v[12:13]
	global_store_dwordx4 v[8:9], v[4:7], off offset:16
                                        ; implicit-def: $vgpr12_vgpr13
                                        ; implicit-def: $vgpr18_vgpr19
	s_nop 1
	v_mul_f64 v[4:5], v[14:15], -v[2:3]
	v_mul_f64 v[6:7], v[0:1], v[14:15]
	v_fmac_f64_e32 v[4:5], v[0:1], v[10:11]
	v_fmac_f64_e32 v[6:7], v[2:3], v[10:11]
	global_store_dwordx4 v[8:9], v[4:7], off offset:32
                                        ; implicit-def: $vgpr0_vgpr1
                                        ; implicit-def: $vgpr2_vgpr3
                                        ; implicit-def: $vgpr4_vgpr5
                                        ; implicit-def: $vgpr6_vgpr7
                                        ; implicit-def: $vgpr8
                                        ; implicit-def: $vgpr10_vgpr11
                                        ; implicit-def: $vgpr14_vgpr15
.LBB130_23:
	s_andn2_saveexec_b64 s[0:1], s[0:1]
	s_cbranch_execz .LBB130_25
; %bb.24:
	v_lshl_add_u32 v8, v8, 1, v8
	v_ashrrev_i32_e32 v9, 31, v8
	s_waitcnt lgkmcnt(0)
	v_lshl_add_u64 v[40:41], v[8:9], 4, s[2:3]
	global_load_dwordx4 v[24:27], v[40:41], off
	global_load_dwordx4 v[28:31], v[40:41], off offset:16
	global_load_dwordx4 v[32:35], v[40:41], off offset:32
	v_mul_f64 v[36:37], v[22:23], -v[2:3]
	v_mul_f64 v[20:21], v[0:1], v[22:23]
	v_mul_f64 v[22:23], v[18:19], -v[2:3]
	v_mul_f64 v[38:39], v[0:1], v[18:19]
	;; [unrolled: 2-line block ×3, first 2 shown]
	v_fmac_f64_e32 v[36:37], v[0:1], v[16:17]
	v_fmac_f64_e32 v[20:21], v[2:3], v[16:17]
	;; [unrolled: 1-line block ×6, first 2 shown]
	s_waitcnt vmcnt(2)
	v_fmac_f64_e32 v[36:37], v[4:5], v[24:25]
	v_fmac_f64_e32 v[20:21], v[6:7], v[24:25]
	s_waitcnt vmcnt(1)
	v_fmac_f64_e32 v[22:23], v[4:5], v[28:29]
	v_fmac_f64_e32 v[38:39], v[6:7], v[28:29]
	s_waitcnt vmcnt(0)
	v_fmac_f64_e32 v[42:43], v[4:5], v[32:33]
	v_fmac_f64_e32 v[8:9], v[6:7], v[32:33]
	v_fma_f64 v[18:19], -v[6:7], v[26:27], v[36:37]
	v_fmac_f64_e32 v[20:21], v[4:5], v[26:27]
	v_fma_f64 v[36:37], -v[6:7], v[30:31], v[22:23]
	v_fmac_f64_e32 v[38:39], v[4:5], v[30:31]
	;; [unrolled: 2-line block ×3, first 2 shown]
	global_store_dwordx4 v[40:41], v[18:21], off
	global_store_dwordx4 v[40:41], v[36:39], off offset:16
	global_store_dwordx4 v[40:41], v[6:9], off offset:32
.LBB130_25:
	s_endpgm
	.section	.rodata,"a",@progbits
	.p2align	6, 0x0
	.amdhsa_kernel _ZN9rocsparseL19gebsrmvn_3xn_kernelILj128ELj5ELj64E21rocsparse_complex_numIdEEEvi20rocsparse_direction_NS_24const_host_device_scalarIT2_EEPKiS8_PKS5_SA_S6_PS5_21rocsparse_index_base_b
		.amdhsa_group_segment_fixed_size 2048
		.amdhsa_private_segment_fixed_size 0
		.amdhsa_kernarg_size 88
		.amdhsa_user_sgpr_count 4
		.amdhsa_user_sgpr_dispatch_ptr 1
		.amdhsa_user_sgpr_queue_ptr 0
		.amdhsa_user_sgpr_kernarg_segment_ptr 1
		.amdhsa_user_sgpr_dispatch_id 0
		.amdhsa_user_sgpr_kernarg_preload_length 0
		.amdhsa_user_sgpr_kernarg_preload_offset 0
		.amdhsa_user_sgpr_private_segment_size 0
		.amdhsa_uses_dynamic_stack 0
		.amdhsa_enable_private_segment 0
		.amdhsa_system_sgpr_workgroup_id_x 1
		.amdhsa_system_sgpr_workgroup_id_y 0
		.amdhsa_system_sgpr_workgroup_id_z 0
		.amdhsa_system_sgpr_workgroup_info 0
		.amdhsa_system_vgpr_workitem_id 2
		.amdhsa_next_free_vgpr 92
		.amdhsa_next_free_sgpr 20
		.amdhsa_accum_offset 92
		.amdhsa_reserve_vcc 1
		.amdhsa_float_round_mode_32 0
		.amdhsa_float_round_mode_16_64 0
		.amdhsa_float_denorm_mode_32 3
		.amdhsa_float_denorm_mode_16_64 3
		.amdhsa_dx10_clamp 1
		.amdhsa_ieee_mode 1
		.amdhsa_fp16_overflow 0
		.amdhsa_tg_split 0
		.amdhsa_exception_fp_ieee_invalid_op 0
		.amdhsa_exception_fp_denorm_src 0
		.amdhsa_exception_fp_ieee_div_zero 0
		.amdhsa_exception_fp_ieee_overflow 0
		.amdhsa_exception_fp_ieee_underflow 0
		.amdhsa_exception_fp_ieee_inexact 0
		.amdhsa_exception_int_div_zero 0
	.end_amdhsa_kernel
	.section	.text._ZN9rocsparseL19gebsrmvn_3xn_kernelILj128ELj5ELj64E21rocsparse_complex_numIdEEEvi20rocsparse_direction_NS_24const_host_device_scalarIT2_EEPKiS8_PKS5_SA_S6_PS5_21rocsparse_index_base_b,"axG",@progbits,_ZN9rocsparseL19gebsrmvn_3xn_kernelILj128ELj5ELj64E21rocsparse_complex_numIdEEEvi20rocsparse_direction_NS_24const_host_device_scalarIT2_EEPKiS8_PKS5_SA_S6_PS5_21rocsparse_index_base_b,comdat
.Lfunc_end130:
	.size	_ZN9rocsparseL19gebsrmvn_3xn_kernelILj128ELj5ELj64E21rocsparse_complex_numIdEEEvi20rocsparse_direction_NS_24const_host_device_scalarIT2_EEPKiS8_PKS5_SA_S6_PS5_21rocsparse_index_base_b, .Lfunc_end130-_ZN9rocsparseL19gebsrmvn_3xn_kernelILj128ELj5ELj64E21rocsparse_complex_numIdEEEvi20rocsparse_direction_NS_24const_host_device_scalarIT2_EEPKiS8_PKS5_SA_S6_PS5_21rocsparse_index_base_b
                                        ; -- End function
	.section	.AMDGPU.csdata,"",@progbits
; Kernel info:
; codeLenInByte = 3492
; NumSgprs: 26
; NumVgprs: 92
; NumAgprs: 0
; TotalNumVgprs: 92
; ScratchSize: 0
; MemoryBound: 0
; FloatMode: 240
; IeeeMode: 1
; LDSByteSize: 2048 bytes/workgroup (compile time only)
; SGPRBlocks: 3
; VGPRBlocks: 11
; NumSGPRsForWavesPerEU: 26
; NumVGPRsForWavesPerEU: 92
; AccumOffset: 92
; Occupancy: 5
; WaveLimiterHint : 1
; COMPUTE_PGM_RSRC2:SCRATCH_EN: 0
; COMPUTE_PGM_RSRC2:USER_SGPR: 4
; COMPUTE_PGM_RSRC2:TRAP_HANDLER: 0
; COMPUTE_PGM_RSRC2:TGID_X_EN: 1
; COMPUTE_PGM_RSRC2:TGID_Y_EN: 0
; COMPUTE_PGM_RSRC2:TGID_Z_EN: 0
; COMPUTE_PGM_RSRC2:TIDIG_COMP_CNT: 2
; COMPUTE_PGM_RSRC3_GFX90A:ACCUM_OFFSET: 22
; COMPUTE_PGM_RSRC3_GFX90A:TG_SPLIT: 0
	.section	.text._ZN9rocsparseL19gebsrmvn_3xn_kernelILj128ELj6ELj4E21rocsparse_complex_numIdEEEvi20rocsparse_direction_NS_24const_host_device_scalarIT2_EEPKiS8_PKS5_SA_S6_PS5_21rocsparse_index_base_b,"axG",@progbits,_ZN9rocsparseL19gebsrmvn_3xn_kernelILj128ELj6ELj4E21rocsparse_complex_numIdEEEvi20rocsparse_direction_NS_24const_host_device_scalarIT2_EEPKiS8_PKS5_SA_S6_PS5_21rocsparse_index_base_b,comdat
	.globl	_ZN9rocsparseL19gebsrmvn_3xn_kernelILj128ELj6ELj4E21rocsparse_complex_numIdEEEvi20rocsparse_direction_NS_24const_host_device_scalarIT2_EEPKiS8_PKS5_SA_S6_PS5_21rocsparse_index_base_b ; -- Begin function _ZN9rocsparseL19gebsrmvn_3xn_kernelILj128ELj6ELj4E21rocsparse_complex_numIdEEEvi20rocsparse_direction_NS_24const_host_device_scalarIT2_EEPKiS8_PKS5_SA_S6_PS5_21rocsparse_index_base_b
	.p2align	8
	.type	_ZN9rocsparseL19gebsrmvn_3xn_kernelILj128ELj6ELj4E21rocsparse_complex_numIdEEEvi20rocsparse_direction_NS_24const_host_device_scalarIT2_EEPKiS8_PKS5_SA_S6_PS5_21rocsparse_index_base_b,@function
_ZN9rocsparseL19gebsrmvn_3xn_kernelILj128ELj6ELj4E21rocsparse_complex_numIdEEEvi20rocsparse_direction_NS_24const_host_device_scalarIT2_EEPKiS8_PKS5_SA_S6_PS5_21rocsparse_index_base_b: ; @_ZN9rocsparseL19gebsrmvn_3xn_kernelILj128ELj6ELj4E21rocsparse_complex_numIdEEEvi20rocsparse_direction_NS_24const_host_device_scalarIT2_EEPKiS8_PKS5_SA_S6_PS5_21rocsparse_index_base_b
; %bb.0:
	s_load_dwordx2 s[16:17], s[2:3], 0x50
	s_load_dwordx4 s[12:15], s[2:3], 0x8
	s_load_dwordx4 s[8:11], s[2:3], 0x38
	s_load_dwordx2 s[18:19], s[0:1], 0x4
	s_mov_b64 s[6:7], src_shared_base
	s_waitcnt lgkmcnt(0)
	s_bitcmp1_b32 s17, 0
	s_cselect_b64 s[0:1], -1, 0
	s_and_b64 vcc, s[0:1], exec
	s_cselect_b32 s5, s7, s13
	s_lshr_b32 s6, s18, 16
	v_bfe_u32 v1, v0, 10, 10
	v_and_b32_e32 v10, 0x3ff, v0
	s_mul_i32 s6, s6, s19
	v_mul_u32_u24_e32 v1, s19, v1
	v_mad_u32_u24 v1, s6, v10, v1
	v_bfe_u32 v0, v0, 20, 10
	v_add_lshl_u32 v4, v1, v0, 3
	v_mov_b32_e32 v5, s12
	v_add_u32_e32 v6, 0x400, v4
	v_mov_b64_e32 v[0:1], s[12:13]
	v_mov_b64_e32 v[2:3], s[8:9]
	ds_write2st64_b64 v4, v[2:3], v[0:1] offset1:2
	v_cndmask_b32_e64 v0, v5, v6, s[0:1]
	v_mov_b32_e32 v1, s5
	flat_load_dwordx2 v[0:1], v[0:1]
	s_xor_b64 s[18:19], s[0:1], -1
	v_mov_b64_e32 v[2:3], s[14:15]
	s_cbranch_vccnz .LBB131_2
; %bb.1:
	v_mov_b64_e32 v[2:3], s[12:13]
	flat_load_dwordx2 v[2:3], v[2:3] offset:8
.LBB131_2:
	s_and_b64 s[12:13], s[0:1], exec
	s_cselect_b32 s5, s7, s9
	v_mov_b32_e32 v5, s8
	v_cndmask_b32_e64 v4, v5, v4, s[0:1]
	v_mov_b32_e32 v5, s5
	flat_load_dwordx2 v[4:5], v[4:5]
	s_andn2_b64 vcc, exec, s[18:19]
	v_mov_b64_e32 v[6:7], s[10:11]
	s_cbranch_vccnz .LBB131_4
; %bb.3:
	v_mov_b64_e32 v[6:7], s[8:9]
	flat_load_dwordx2 v[6:7], v[6:7] offset:8
.LBB131_4:
	s_waitcnt vmcnt(0) lgkmcnt(0)
	v_cmp_eq_f64_e32 vcc, 0, v[0:1]
	v_cmp_eq_f64_e64 s[0:1], 0, v[2:3]
	s_and_b64 s[8:9], vcc, s[0:1]
	s_mov_b64 s[0:1], -1
	s_and_saveexec_b64 s[6:7], s[8:9]
; %bb.5:
	v_cmp_neq_f64_e32 vcc, 1.0, v[4:5]
	v_cmp_neq_f64_e64 s[0:1], 0, v[6:7]
	s_or_b64 s[0:1], vcc, s[0:1]
	s_orn2_b64 s[0:1], s[0:1], exec
; %bb.6:
	s_or_b64 exec, exec, s[6:7]
	s_and_saveexec_b64 s[6:7], s[0:1]
	s_cbranch_execz .LBB131_25
; %bb.7:
	s_load_dwordx2 s[0:1], s[2:3], 0x0
	v_lshrrev_b32_e32 v8, 2, v10
	v_lshl_or_b32 v8, s4, 5, v8
	s_waitcnt lgkmcnt(0)
	v_cmp_gt_i32_e32 vcc, s0, v8
	s_and_b64 exec, exec, vcc
	s_cbranch_execz .LBB131_25
; %bb.8:
	s_load_dwordx8 s[4:11], s[2:3], 0x18
	v_ashrrev_i32_e32 v9, 31, v8
	s_cmp_lg_u32 s1, 0
	s_waitcnt lgkmcnt(0)
	v_lshl_add_u64 v[12:13], v[8:9], 2, s[4:5]
	global_load_dwordx2 v[12:13], v[12:13], off
	v_and_b32_e32 v9, 3, v10
	s_waitcnt vmcnt(0)
	v_subrev_u32_e32 v10, s16, v12
	v_subrev_u32_e32 v34, s16, v13
	v_add_u32_e32 v16, v10, v9
	v_cmp_lt_i32_e64 s[0:1], v16, v34
	s_cbranch_scc0 .LBB131_14
; %bb.9:
	v_mov_b64_e32 v[12:13], 0
	s_mov_b64 s[4:5], 0
	v_mov_b64_e32 v[22:23], v[12:13]
	v_mov_b64_e32 v[18:19], v[12:13]
	;; [unrolled: 1-line block ×5, first 2 shown]
	s_and_saveexec_b64 s[12:13], s[0:1]
	s_cbranch_execz .LBB131_13
; %bb.10:
	v_mad_u64_u32 v[24:25], s[14:15], v16, 18, 17
	v_mov_b64_e32 v[12:13], 0
	s_mov_b64 s[14:15], 0
	v_mov_b32_e32 v27, 0
	v_mov_b32_e32 v28, v16
	v_mov_b64_e32 v[22:23], v[12:13]
	v_mov_b64_e32 v[18:19], v[12:13]
	;; [unrolled: 1-line block ×5, first 2 shown]
.LBB131_11:                             ; =>This Inner Loop Header: Depth=1
	v_ashrrev_i32_e32 v29, 31, v28
	v_subrev_u32_e32 v26, 17, v24
	v_lshl_add_u64 v[32:33], v[28:29], 2, s[6:7]
	v_lshl_add_u64 v[44:45], v[26:27], 4, s[8:9]
	global_load_dword v17, v[32:33], off
	global_load_dwordx4 v[36:39], v[44:45], off offset:16
	global_load_dwordx4 v[40:43], v[44:45], off
	v_add_u32_e32 v26, -15, v24
	v_mov_b32_e32 v25, v27
	v_lshl_add_u64 v[32:33], v[26:27], 4, s[8:9]
	v_add_u32_e32 v26, -14, v24
	v_lshl_add_u64 v[46:47], v[24:25], 4, s[8:9]
	v_lshl_add_u64 v[56:57], v[26:27], 4, s[8:9]
	v_add_u32_e32 v26, -13, v24
	global_load_dwordx4 v[44:47], v[46:47], off
	s_nop 0
	global_load_dwordx4 v[48:51], v[32:33], off
	global_load_dwordx4 v[52:55], v[56:57], off
	v_lshl_add_u64 v[32:33], v[26:27], 4, s[8:9]
	v_add_u32_e32 v26, -12, v24
	v_lshl_add_u64 v[64:65], v[26:27], 4, s[8:9]
	v_add_u32_e32 v26, -11, v24
	v_mov_b32_e32 v31, v27
	global_load_dwordx4 v[56:59], v[32:33], off
	global_load_dwordx4 v[60:63], v[64:65], off
	v_lshl_add_u64 v[32:33], v[26:27], 4, s[8:9]
	global_load_dwordx4 v[64:67], v[32:33], off
	v_add_u32_e32 v28, 4, v28
	v_cmp_ge_i32_e32 vcc, v28, v34
	s_or_b64 s[14:15], vcc, s[14:15]
	s_waitcnt vmcnt(8)
	v_subrev_u32_e32 v17, s16, v17
	v_mul_lo_u32 v30, v17, 6
	v_lshl_add_u64 v[32:33], v[30:31], 4, s[10:11]
	global_load_dwordx4 v[68:71], v[32:33], off
	global_load_dwordx4 v[72:75], v[32:33], off offset:16
	v_add_u32_e32 v26, 2, v30
	v_lshl_add_u64 v[32:33], v[26:27], 4, s[10:11]
	global_load_dwordx4 v[76:79], v[32:33], off
	global_load_dwordx4 v[80:83], v[32:33], off offset:16
	v_add_u32_e32 v26, -10, v24
	v_lshl_add_u64 v[32:33], v[26:27], 4, s[8:9]
	v_add_u32_e32 v26, -9, v24
	global_load_dwordx4 v[84:87], v[32:33], off
	v_lshl_add_u64 v[32:33], v[26:27], 4, s[8:9]
	v_add_u32_e32 v26, -8, v24
	s_waitcnt vmcnt(4)
	v_fmac_f64_e32 v[22:23], v[40:41], v[68:69]
	v_fmac_f64_e32 v[12:13], v[42:43], v[68:69]
	v_fma_f64 v[88:89], -v[42:43], v[70:71], v[22:23]
	v_lshl_add_u64 v[22:23], v[26:27], 4, s[8:9]
	v_add_u32_e32 v26, -7, v24
	v_fmac_f64_e32 v[20:21], v[36:37], v[68:69]
	v_fmac_f64_e32 v[12:13], v[40:41], v[70:71]
	global_load_dwordx4 v[40:43], v[32:33], off
	v_fma_f64 v[90:91], -v[38:39], v[70:71], v[20:21]
	global_load_dwordx4 v[20:23], v[22:23], off
	v_lshl_add_u64 v[32:33], v[26:27], 4, s[8:9]
	v_add_u32_e32 v26, -6, v24
	v_fmac_f64_e32 v[14:15], v[38:39], v[68:69]
	v_fmac_f64_e32 v[18:19], v[48:49], v[68:69]
	;; [unrolled: 1-line block ×3, first 2 shown]
	v_lshl_add_u64 v[68:69], v[26:27], 4, s[8:9]
	v_add_u32_e32 v26, -5, v24
	v_fmac_f64_e32 v[14:15], v[36:37], v[70:71]
	v_fma_f64 v[18:19], -v[50:51], v[70:71], v[18:19]
	v_fmac_f64_e32 v[10:11], v[48:49], v[70:71]
	v_lshl_add_u64 v[70:71], v[26:27], 4, s[8:9]
	v_add_u32_e32 v26, 4, v30
	global_load_dwordx4 v[36:39], v[32:33], off
	s_nop 0
	global_load_dwordx4 v[30:33], v[68:69], off
	global_load_dwordx4 v[48:51], v[70:71], off
	s_waitcnt vmcnt(8)
	v_fmac_f64_e32 v[12:13], v[54:55], v[72:73]
	v_lshl_add_u64 v[68:69], v[26:27], 4, s[10:11]
	v_add_u32_e32 v26, -4, v24
	v_fmac_f64_e32 v[88:89], v[52:53], v[72:73]
	v_fmac_f64_e32 v[12:13], v[52:53], v[74:75]
	;; [unrolled: 1-line block ×6, first 2 shown]
	v_lshl_add_u64 v[72:73], v[26:27], 4, s[8:9]
	v_add_u32_e32 v26, -3, v24
	v_fma_f64 v[88:89], -v[54:55], v[74:75], v[88:89]
	v_fma_f64 v[90:91], -v[58:59], v[74:75], v[90:91]
	v_fmac_f64_e32 v[14:15], v[56:57], v[74:75]
	v_fma_f64 v[18:19], -v[62:63], v[74:75], v[18:19]
	v_fmac_f64_e32 v[10:11], v[60:61], v[74:75]
	v_lshl_add_u64 v[74:75], v[26:27], 4, s[8:9]
	v_add_u32_e32 v26, -2, v24
	s_waitcnt vmcnt(7)
	v_fmac_f64_e32 v[12:13], v[66:67], v[76:77]
	global_load_dwordx4 v[52:55], v[68:69], off offset:16
	global_load_dwordx4 v[56:59], v[68:69], off
	global_load_dwordx4 v[60:63], v[72:73], off
	s_nop 0
	global_load_dwordx4 v[68:71], v[74:75], off
	v_fmac_f64_e32 v[88:89], v[64:65], v[76:77]
	v_fmac_f64_e32 v[12:13], v[64:65], v[78:79]
	v_lshl_add_u64 v[64:65], v[26:27], 4, s[8:9]
	v_add_u32_e32 v26, -1, v24
	v_lshl_add_u64 v[72:73], v[26:27], 4, s[8:9]
	v_fma_f64 v[88:89], -v[66:67], v[78:79], v[88:89]
	global_load_dwordx4 v[64:67], v[64:65], off
	s_waitcnt vmcnt(10)
	v_fmac_f64_e32 v[90:91], v[84:85], v[76:77]
	global_load_dwordx4 v[72:75], v[72:73], off
	v_fmac_f64_e32 v[14:15], v[86:87], v[76:77]
	v_fma_f64 v[86:87], -v[86:87], v[78:79], v[90:91]
	v_fmac_f64_e32 v[14:15], v[84:85], v[78:79]
	v_add_u32_e32 v24, 0x48, v24
	s_waitcnt vmcnt(10)
	v_fmac_f64_e32 v[18:19], v[40:41], v[76:77]
	v_fmac_f64_e32 v[10:11], v[42:43], v[76:77]
	v_fma_f64 v[18:19], -v[42:43], v[78:79], v[18:19]
	v_fmac_f64_e32 v[10:11], v[40:41], v[78:79]
	s_waitcnt vmcnt(9)
	v_fmac_f64_e32 v[88:89], v[20:21], v[80:81]
	v_fmac_f64_e32 v[12:13], v[22:23], v[80:81]
	v_fma_f64 v[22:23], -v[22:23], v[82:83], v[88:89]
	v_fmac_f64_e32 v[12:13], v[20:21], v[82:83]
	s_waitcnt vmcnt(8)
	v_fmac_f64_e32 v[86:87], v[36:37], v[80:81]
	v_fmac_f64_e32 v[14:15], v[38:39], v[80:81]
	s_waitcnt vmcnt(7)
	v_fmac_f64_e32 v[18:19], v[30:31], v[80:81]
	v_fmac_f64_e32 v[10:11], v[32:33], v[80:81]
	v_fma_f64 v[20:21], -v[38:39], v[82:83], v[86:87]
	v_fmac_f64_e32 v[14:15], v[36:37], v[82:83]
	v_fma_f64 v[18:19], -v[32:33], v[82:83], v[18:19]
	v_fmac_f64_e32 v[10:11], v[30:31], v[82:83]
	s_waitcnt vmcnt(4)
	v_fmac_f64_e32 v[22:23], v[48:49], v[56:57]
	v_fmac_f64_e32 v[12:13], v[50:51], v[56:57]
	s_waitcnt vmcnt(3)
	v_fmac_f64_e32 v[20:21], v[60:61], v[56:57]
	;; [unrolled: 3-line block ×3, first 2 shown]
	v_fmac_f64_e32 v[10:11], v[70:71], v[56:57]
	v_fma_f64 v[22:23], -v[50:51], v[58:59], v[22:23]
	v_fmac_f64_e32 v[12:13], v[48:49], v[58:59]
	v_fma_f64 v[20:21], -v[62:63], v[58:59], v[20:21]
	;; [unrolled: 2-line block ×3, first 2 shown]
	v_fmac_f64_e32 v[10:11], v[68:69], v[58:59]
	s_waitcnt vmcnt(1)
	v_fmac_f64_e32 v[22:23], v[64:65], v[52:53]
	v_fmac_f64_e32 v[12:13], v[66:67], v[52:53]
	s_waitcnt vmcnt(0)
	v_fmac_f64_e32 v[20:21], v[72:73], v[52:53]
	v_fmac_f64_e32 v[14:15], v[74:75], v[52:53]
	;; [unrolled: 1-line block ×4, first 2 shown]
	v_fma_f64 v[22:23], -v[66:67], v[54:55], v[22:23]
	v_fmac_f64_e32 v[12:13], v[64:65], v[54:55]
	v_fma_f64 v[20:21], -v[74:75], v[54:55], v[20:21]
	v_fmac_f64_e32 v[14:15], v[72:73], v[54:55]
	;; [unrolled: 2-line block ×3, first 2 shown]
	s_andn2_b64 exec, exec, s[14:15]
	s_cbranch_execnz .LBB131_11
; %bb.12:
	s_or_b64 exec, exec, s[14:15]
.LBB131_13:
	s_or_b64 exec, exec, s[12:13]
	s_andn2_b64 vcc, exec, s[4:5]
	s_cbranch_vccz .LBB131_15
	s_branch .LBB131_20
.LBB131_14:
                                        ; implicit-def: $vgpr12_vgpr13
                                        ; implicit-def: $vgpr22_vgpr23
                                        ; implicit-def: $vgpr18_vgpr19
                                        ; implicit-def: $vgpr10_vgpr11
                                        ; implicit-def: $vgpr20_vgpr21
                                        ; implicit-def: $vgpr14_vgpr15
.LBB131_15:
	v_mov_b64_e32 v[12:13], 0
	v_mov_b64_e32 v[22:23], v[12:13]
	;; [unrolled: 1-line block ×6, first 2 shown]
	s_and_saveexec_b64 s[4:5], s[0:1]
	s_cbranch_execz .LBB131_19
; %bb.16:
	v_mad_u64_u32 v[24:25], s[0:1], v16, 18, 17
	v_mov_b64_e32 v[12:13], 0
	s_mov_b64 s[0:1], 0
	v_mov_b32_e32 v27, 0
	v_mov_b64_e32 v[22:23], v[12:13]
	v_mov_b64_e32 v[18:19], v[12:13]
	;; [unrolled: 1-line block ×5, first 2 shown]
.LBB131_17:                             ; =>This Inner Loop Header: Depth=1
	v_ashrrev_i32_e32 v17, 31, v16
	v_subrev_u32_e32 v26, 17, v24
	v_add_u32_e32 v32, -11, v24
	v_add_u32_e32 v30, -5, v24
	v_mov_b32_e32 v33, v27
	v_mov_b32_e32 v31, v27
	v_lshl_add_u64 v[48:49], v[16:17], 2, s[6:7]
	v_lshl_add_u64 v[50:51], v[26:27], 4, s[8:9]
	;; [unrolled: 1-line block ×4, first 2 shown]
	global_load_dword v17, v[48:49], off
	global_load_dwordx4 v[30:33], v[50:51], off offset:16
	global_load_dwordx4 v[36:39], v[50:51], off
	global_load_dwordx4 v[40:43], v[52:53], off
	;; [unrolled: 1-line block ×3, first 2 shown]
	v_add_u32_e32 v26, -10, v24
	v_mov_b32_e32 v25, v27
	v_lshl_add_u64 v[60:61], v[26:27], 4, s[8:9]
	v_add_u32_e32 v26, -4, v24
	v_mov_b32_e32 v29, v27
	v_lshl_add_u64 v[56:57], v[24:25], 4, s[8:9]
	v_lshl_add_u64 v[62:63], v[26:27], 4, s[8:9]
	v_add_u32_e32 v26, -15, v24
	global_load_dwordx4 v[48:51], v[56:57], off
	global_load_dwordx4 v[52:55], v[60:61], off
	s_nop 0
	global_load_dwordx4 v[56:59], v[62:63], off
	v_lshl_add_u64 v[60:61], v[26:27], 4, s[8:9]
	global_load_dwordx4 v[60:63], v[60:61], off
	v_add_u32_e32 v16, 4, v16
	v_cmp_ge_i32_e32 vcc, v16, v34
	s_or_b64 s[0:1], vcc, s[0:1]
	s_waitcnt vmcnt(8)
	v_subrev_u32_e32 v17, s16, v17
	v_mul_lo_u32 v28, v17, 6
	v_lshl_add_u64 v[72:73], v[28:29], 4, s[10:11]
	global_load_dwordx4 v[64:67], v[72:73], off
	global_load_dwordx4 v[68:71], v[72:73], off offset:16
	v_add_u32_e32 v26, 2, v28
	v_lshl_add_u64 v[76:77], v[26:27], 4, s[10:11]
	v_add_u32_e32 v26, -9, v24
	global_load_dwordx4 v[72:75], v[76:77], off
	s_waitcnt vmcnt(2)
	v_fmac_f64_e32 v[22:23], v[36:37], v[64:65]
	v_fma_f64 v[78:79], -v[38:39], v[66:67], v[22:23]
	v_lshl_add_u64 v[22:23], v[26:27], 4, s[8:9]
	v_add_u32_e32 v26, -3, v24
	v_fmac_f64_e32 v[14:15], v[42:43], v[64:65]
	v_fmac_f64_e32 v[12:13], v[38:39], v[64:65]
	v_fmac_f64_e32 v[20:21], v[40:41], v[64:65]
	v_fmac_f64_e32 v[14:15], v[40:41], v[66:67]
	v_lshl_add_u64 v[40:41], v[26:27], 4, s[8:9]
	v_fmac_f64_e32 v[12:13], v[36:37], v[66:67]
	global_load_dwordx4 v[36:39], v[76:77], off offset:16
	v_fma_f64 v[76:77], -v[42:43], v[66:67], v[20:21]
	global_load_dwordx4 v[20:23], v[22:23], off
	v_add_u32_e32 v26, -14, v24
	global_load_dwordx4 v[40:43], v[40:41], off
	v_fmac_f64_e32 v[10:11], v[46:47], v[64:65]
	v_fmac_f64_e32 v[18:19], v[44:45], v[64:65]
	;; [unrolled: 1-line block ×3, first 2 shown]
	v_lshl_add_u64 v[44:45], v[26:27], 4, s[8:9]
	v_add_u32_e32 v26, -8, v24
	v_lshl_add_u64 v[64:65], v[26:27], 4, s[8:9]
	v_add_u32_e32 v26, -2, v24
	s_waitcnt vmcnt(4)
	v_fmac_f64_e32 v[78:79], v[30:31], v[68:69]
	v_fma_f64 v[18:19], -v[46:47], v[66:67], v[18:19]
	v_fmac_f64_e32 v[12:13], v[32:33], v[68:69]
	v_fma_f64 v[32:33], -v[32:33], v[70:71], v[78:79]
	v_lshl_add_u64 v[78:79], v[26:27], 4, s[8:9]
	v_add_u32_e32 v26, -13, v24
	v_lshl_add_u64 v[80:81], v[26:27], 4, s[8:9]
	v_add_u32_e32 v26, 4, v28
	v_fmac_f64_e32 v[76:77], v[52:53], v[68:69]
	v_fmac_f64_e32 v[14:15], v[54:55], v[68:69]
	;; [unrolled: 1-line block ×3, first 2 shown]
	global_load_dwordx4 v[44:47], v[44:45], off
	v_fmac_f64_e32 v[12:13], v[30:31], v[70:71]
	global_load_dwordx4 v[28:31], v[64:65], off
	v_fma_f64 v[76:77], -v[54:55], v[70:71], v[76:77]
	v_fmac_f64_e32 v[14:15], v[52:53], v[70:71]
	global_load_dwordx4 v[52:55], v[78:79], off
	global_load_dwordx4 v[64:67], v[80:81], off
	v_fmac_f64_e32 v[10:11], v[58:59], v[68:69]
	v_fma_f64 v[78:79], -v[58:59], v[70:71], v[18:19]
	v_lshl_add_u64 v[18:19], v[26:27], 4, s[10:11]
	v_add_u32_e32 v26, -7, v24
	v_fmac_f64_e32 v[10:11], v[56:57], v[70:71]
	v_lshl_add_u64 v[80:81], v[26:27], 4, s[8:9]
	v_add_u32_e32 v26, -1, v24
	s_waitcnt vmcnt(7)
	v_fmac_f64_e32 v[32:33], v[60:61], v[72:73]
	v_fmac_f64_e32 v[12:13], v[62:63], v[72:73]
	v_lshl_add_u64 v[82:83], v[26:27], 4, s[8:9]
	v_add_u32_e32 v26, -12, v24
	global_load_dwordx4 v[56:59], v[18:19], off offset:16
	global_load_dwordx4 v[68:71], v[18:19], off
	v_fma_f64 v[32:33], -v[62:63], v[74:75], v[32:33]
	v_fmac_f64_e32 v[12:13], v[60:61], v[74:75]
	s_waitcnt vmcnt(7)
	v_fmac_f64_e32 v[14:15], v[22:23], v[72:73]
	v_fmac_f64_e32 v[76:77], v[20:21], v[72:73]
	s_waitcnt vmcnt(6)
	v_fmac_f64_e32 v[10:11], v[42:43], v[72:73]
	v_fmac_f64_e32 v[14:15], v[20:21], v[74:75]
	global_load_dwordx4 v[18:21], v[80:81], off
	global_load_dwordx4 v[60:63], v[82:83], off
	v_fmac_f64_e32 v[78:79], v[40:41], v[72:73]
	v_fmac_f64_e32 v[10:11], v[40:41], v[74:75]
	v_lshl_add_u64 v[40:41], v[26:27], 4, s[8:9]
	v_add_u32_e32 v26, -6, v24
	v_lshl_add_u64 v[72:73], v[26:27], 4, s[8:9]
	v_fma_f64 v[22:23], -v[22:23], v[74:75], v[76:77]
	v_fma_f64 v[76:77], -v[42:43], v[74:75], v[78:79]
	global_load_dwordx4 v[40:43], v[40:41], off
	v_add_u32_e32 v24, 0x48, v24
	global_load_dwordx4 v[72:75], v[72:73], off
	s_waitcnt vmcnt(9)
	v_fmac_f64_e32 v[32:33], v[44:45], v[36:37]
	v_fmac_f64_e32 v[12:13], v[46:47], v[36:37]
	s_waitcnt vmcnt(8)
	v_fmac_f64_e32 v[22:23], v[28:29], v[36:37]
	v_fmac_f64_e32 v[14:15], v[30:31], v[36:37]
	;; [unrolled: 3-line block ×3, first 2 shown]
	v_fma_f64 v[32:33], -v[46:47], v[38:39], v[32:33]
	v_fmac_f64_e32 v[12:13], v[44:45], v[38:39]
	v_fma_f64 v[22:23], -v[30:31], v[38:39], v[22:23]
	v_fmac_f64_e32 v[14:15], v[28:29], v[38:39]
	;; [unrolled: 2-line block ×3, first 2 shown]
	s_waitcnt vmcnt(4)
	v_fmac_f64_e32 v[32:33], v[64:65], v[68:69]
	v_fmac_f64_e32 v[12:13], v[66:67], v[68:69]
	v_fma_f64 v[30:31], -v[66:67], v[70:71], v[32:33]
	v_fmac_f64_e32 v[12:13], v[64:65], v[70:71]
	s_waitcnt vmcnt(3)
	v_fmac_f64_e32 v[22:23], v[18:19], v[68:69]
	v_fmac_f64_e32 v[14:15], v[20:21], v[68:69]
	s_waitcnt vmcnt(2)
	v_fmac_f64_e32 v[28:29], v[60:61], v[68:69]
	v_fmac_f64_e32 v[10:11], v[62:63], v[68:69]
	v_fma_f64 v[20:21], -v[20:21], v[70:71], v[22:23]
	v_fmac_f64_e32 v[14:15], v[18:19], v[70:71]
	v_fma_f64 v[18:19], -v[62:63], v[70:71], v[28:29]
	v_fmac_f64_e32 v[10:11], v[60:61], v[70:71]
	v_fmac_f64_e32 v[18:19], v[48:49], v[56:57]
	s_waitcnt vmcnt(1)
	v_fmac_f64_e32 v[30:31], v[40:41], v[56:57]
	v_fmac_f64_e32 v[12:13], v[42:43], v[56:57]
	s_waitcnt vmcnt(0)
	v_fmac_f64_e32 v[20:21], v[72:73], v[56:57]
	v_fmac_f64_e32 v[14:15], v[74:75], v[56:57]
	;; [unrolled: 1-line block ×3, first 2 shown]
	v_fma_f64 v[22:23], -v[42:43], v[58:59], v[30:31]
	v_fmac_f64_e32 v[12:13], v[40:41], v[58:59]
	v_fma_f64 v[20:21], -v[74:75], v[58:59], v[20:21]
	v_fmac_f64_e32 v[14:15], v[72:73], v[58:59]
	v_fma_f64 v[18:19], -v[50:51], v[58:59], v[18:19]
	v_fmac_f64_e32 v[10:11], v[48:49], v[58:59]
	s_andn2_b64 exec, exec, s[0:1]
	s_cbranch_execnz .LBB131_17
; %bb.18:
	s_or_b64 exec, exec, s[0:1]
.LBB131_19:
	s_or_b64 exec, exec, s[4:5]
.LBB131_20:
	v_mov_b32_dpp v26, v20 row_shr:1 row_mask:0xf bank_mask:0xf
	v_mov_b32_dpp v27, v21 row_shr:1 row_mask:0xf bank_mask:0xf
	v_add_f64 v[26:27], v[20:21], v[26:27]
	v_mov_b32_dpp v20, v14 row_shr:1 row_mask:0xf bank_mask:0xf
	v_mov_b32_dpp v21, v15 row_shr:1 row_mask:0xf bank_mask:0xf
	v_add_f64 v[14:15], v[14:15], v[20:21]
	v_mov_b32_dpp v20, v18 row_shr:1 row_mask:0xf bank_mask:0xf
	v_mov_b32_dpp v21, v19 row_shr:1 row_mask:0xf bank_mask:0xf
	;; [unrolled: 1-line block ×6, first 2 shown]
	v_add_f64 v[32:33], v[18:19], v[20:21]
	v_mov_b32_dpp v18, v10 row_shr:1 row_mask:0xf bank_mask:0xf
	v_mov_b32_dpp v19, v11 row_shr:1 row_mask:0xf bank_mask:0xf
	v_add_f64 v[16:17], v[22:23], v[16:17]
	v_add_f64 v[12:13], v[12:13], v[24:25]
	;; [unrolled: 1-line block ×3, first 2 shown]
	v_mov_b32_dpp v22, v16 row_shr:2 row_mask:0xf bank_mask:0xf
	v_mov_b32_dpp v23, v17 row_shr:2 row_mask:0xf bank_mask:0xf
	;; [unrolled: 1-line block ×12, first 2 shown]
	v_cmp_eq_u32_e32 vcc, 3, v9
	s_and_b64 exec, exec, vcc
	s_cbranch_execz .LBB131_25
; %bb.21:
	s_load_dwordx2 s[2:3], s[2:3], 0x48
	v_cmp_eq_f64_e32 vcc, 0, v[4:5]
	v_cmp_eq_f64_e64 s[0:1], 0, v[6:7]
	v_add_f64 v[16:17], v[16:17], v[22:23]
	v_add_f64 v[20:21], v[12:13], v[24:25]
	;; [unrolled: 1-line block ×6, first 2 shown]
	s_and_b64 s[0:1], vcc, s[0:1]
	s_and_saveexec_b64 s[4:5], s[0:1]
	s_xor_b64 s[0:1], exec, s[4:5]
	s_cbranch_execz .LBB131_23
; %bb.22:
	v_lshl_add_u32 v8, v8, 1, v8
	v_mul_f64 v[4:5], v[20:21], -v[2:3]
	v_mul_f64 v[6:7], v[0:1], v[20:21]
	v_ashrrev_i32_e32 v9, 31, v8
	v_fmac_f64_e32 v[4:5], v[0:1], v[16:17]
	v_fmac_f64_e32 v[6:7], v[2:3], v[16:17]
	s_waitcnt lgkmcnt(0)
	v_lshl_add_u64 v[8:9], v[8:9], 4, s[2:3]
	global_store_dwordx4 v[8:9], v[4:7], off
                                        ; implicit-def: $vgpr16_vgpr17
                                        ; implicit-def: $vgpr20_vgpr21
	s_nop 1
	v_mul_f64 v[4:5], v[18:19], -v[2:3]
	v_mul_f64 v[6:7], v[0:1], v[18:19]
	v_fmac_f64_e32 v[4:5], v[0:1], v[12:13]
	v_fmac_f64_e32 v[6:7], v[2:3], v[12:13]
	global_store_dwordx4 v[8:9], v[4:7], off offset:16
                                        ; implicit-def: $vgpr12_vgpr13
                                        ; implicit-def: $vgpr18_vgpr19
	s_nop 1
	v_mul_f64 v[4:5], v[14:15], -v[2:3]
	v_mul_f64 v[6:7], v[0:1], v[14:15]
	v_fmac_f64_e32 v[4:5], v[0:1], v[10:11]
	v_fmac_f64_e32 v[6:7], v[2:3], v[10:11]
	global_store_dwordx4 v[8:9], v[4:7], off offset:32
                                        ; implicit-def: $vgpr0_vgpr1
                                        ; implicit-def: $vgpr2_vgpr3
                                        ; implicit-def: $vgpr4_vgpr5
                                        ; implicit-def: $vgpr6_vgpr7
                                        ; implicit-def: $vgpr8
                                        ; implicit-def: $vgpr10_vgpr11
                                        ; implicit-def: $vgpr14_vgpr15
.LBB131_23:
	s_andn2_saveexec_b64 s[0:1], s[0:1]
	s_cbranch_execz .LBB131_25
; %bb.24:
	v_lshl_add_u32 v8, v8, 1, v8
	v_ashrrev_i32_e32 v9, 31, v8
	s_waitcnt lgkmcnt(0)
	v_lshl_add_u64 v[38:39], v[8:9], 4, s[2:3]
	global_load_dwordx4 v[22:25], v[38:39], off
	global_load_dwordx4 v[26:29], v[38:39], off offset:16
	global_load_dwordx4 v[30:33], v[38:39], off offset:32
	v_mul_f64 v[34:35], v[20:21], -v[2:3]
	v_mul_f64 v[20:21], v[0:1], v[20:21]
	v_mul_f64 v[40:41], v[18:19], -v[2:3]
	v_mul_f64 v[36:37], v[0:1], v[18:19]
	;; [unrolled: 2-line block ×3, first 2 shown]
	v_fmac_f64_e32 v[34:35], v[0:1], v[16:17]
	v_fmac_f64_e32 v[20:21], v[2:3], v[16:17]
	;; [unrolled: 1-line block ×6, first 2 shown]
	s_waitcnt vmcnt(2)
	v_fmac_f64_e32 v[34:35], v[4:5], v[22:23]
	v_fmac_f64_e32 v[20:21], v[6:7], v[22:23]
	s_waitcnt vmcnt(1)
	v_fmac_f64_e32 v[40:41], v[4:5], v[26:27]
	v_fmac_f64_e32 v[36:37], v[6:7], v[26:27]
	;; [unrolled: 3-line block ×3, first 2 shown]
	v_fma_f64 v[18:19], -v[6:7], v[24:25], v[34:35]
	v_fmac_f64_e32 v[20:21], v[4:5], v[24:25]
	v_fma_f64 v[34:35], -v[6:7], v[28:29], v[40:41]
	v_fmac_f64_e32 v[36:37], v[4:5], v[28:29]
	;; [unrolled: 2-line block ×3, first 2 shown]
	global_store_dwordx4 v[38:39], v[18:21], off
	global_store_dwordx4 v[38:39], v[34:37], off offset:16
	global_store_dwordx4 v[38:39], v[6:9], off offset:32
.LBB131_25:
	s_endpgm
	.section	.rodata,"a",@progbits
	.p2align	6, 0x0
	.amdhsa_kernel _ZN9rocsparseL19gebsrmvn_3xn_kernelILj128ELj6ELj4E21rocsparse_complex_numIdEEEvi20rocsparse_direction_NS_24const_host_device_scalarIT2_EEPKiS8_PKS5_SA_S6_PS5_21rocsparse_index_base_b
		.amdhsa_group_segment_fixed_size 2048
		.amdhsa_private_segment_fixed_size 0
		.amdhsa_kernarg_size 88
		.amdhsa_user_sgpr_count 4
		.amdhsa_user_sgpr_dispatch_ptr 1
		.amdhsa_user_sgpr_queue_ptr 0
		.amdhsa_user_sgpr_kernarg_segment_ptr 1
		.amdhsa_user_sgpr_dispatch_id 0
		.amdhsa_user_sgpr_kernarg_preload_length 0
		.amdhsa_user_sgpr_kernarg_preload_offset 0
		.amdhsa_user_sgpr_private_segment_size 0
		.amdhsa_uses_dynamic_stack 0
		.amdhsa_enable_private_segment 0
		.amdhsa_system_sgpr_workgroup_id_x 1
		.amdhsa_system_sgpr_workgroup_id_y 0
		.amdhsa_system_sgpr_workgroup_id_z 0
		.amdhsa_system_sgpr_workgroup_info 0
		.amdhsa_system_vgpr_workitem_id 2
		.amdhsa_next_free_vgpr 92
		.amdhsa_next_free_sgpr 20
		.amdhsa_accum_offset 92
		.amdhsa_reserve_vcc 1
		.amdhsa_float_round_mode_32 0
		.amdhsa_float_round_mode_16_64 0
		.amdhsa_float_denorm_mode_32 3
		.amdhsa_float_denorm_mode_16_64 3
		.amdhsa_dx10_clamp 1
		.amdhsa_ieee_mode 1
		.amdhsa_fp16_overflow 0
		.amdhsa_tg_split 0
		.amdhsa_exception_fp_ieee_invalid_op 0
		.amdhsa_exception_fp_denorm_src 0
		.amdhsa_exception_fp_ieee_div_zero 0
		.amdhsa_exception_fp_ieee_overflow 0
		.amdhsa_exception_fp_ieee_underflow 0
		.amdhsa_exception_fp_ieee_inexact 0
		.amdhsa_exception_int_div_zero 0
	.end_amdhsa_kernel
	.section	.text._ZN9rocsparseL19gebsrmvn_3xn_kernelILj128ELj6ELj4E21rocsparse_complex_numIdEEEvi20rocsparse_direction_NS_24const_host_device_scalarIT2_EEPKiS8_PKS5_SA_S6_PS5_21rocsparse_index_base_b,"axG",@progbits,_ZN9rocsparseL19gebsrmvn_3xn_kernelILj128ELj6ELj4E21rocsparse_complex_numIdEEEvi20rocsparse_direction_NS_24const_host_device_scalarIT2_EEPKiS8_PKS5_SA_S6_PS5_21rocsparse_index_base_b,comdat
.Lfunc_end131:
	.size	_ZN9rocsparseL19gebsrmvn_3xn_kernelILj128ELj6ELj4E21rocsparse_complex_numIdEEEvi20rocsparse_direction_NS_24const_host_device_scalarIT2_EEPKiS8_PKS5_SA_S6_PS5_21rocsparse_index_base_b, .Lfunc_end131-_ZN9rocsparseL19gebsrmvn_3xn_kernelILj128ELj6ELj4E21rocsparse_complex_numIdEEEvi20rocsparse_direction_NS_24const_host_device_scalarIT2_EEPKiS8_PKS5_SA_S6_PS5_21rocsparse_index_base_b
                                        ; -- End function
	.section	.AMDGPU.csdata,"",@progbits
; Kernel info:
; codeLenInByte = 3112
; NumSgprs: 26
; NumVgprs: 92
; NumAgprs: 0
; TotalNumVgprs: 92
; ScratchSize: 0
; MemoryBound: 0
; FloatMode: 240
; IeeeMode: 1
; LDSByteSize: 2048 bytes/workgroup (compile time only)
; SGPRBlocks: 3
; VGPRBlocks: 11
; NumSGPRsForWavesPerEU: 26
; NumVGPRsForWavesPerEU: 92
; AccumOffset: 92
; Occupancy: 5
; WaveLimiterHint : 1
; COMPUTE_PGM_RSRC2:SCRATCH_EN: 0
; COMPUTE_PGM_RSRC2:USER_SGPR: 4
; COMPUTE_PGM_RSRC2:TRAP_HANDLER: 0
; COMPUTE_PGM_RSRC2:TGID_X_EN: 1
; COMPUTE_PGM_RSRC2:TGID_Y_EN: 0
; COMPUTE_PGM_RSRC2:TGID_Z_EN: 0
; COMPUTE_PGM_RSRC2:TIDIG_COMP_CNT: 2
; COMPUTE_PGM_RSRC3_GFX90A:ACCUM_OFFSET: 22
; COMPUTE_PGM_RSRC3_GFX90A:TG_SPLIT: 0
	.section	.text._ZN9rocsparseL19gebsrmvn_3xn_kernelILj128ELj6ELj8E21rocsparse_complex_numIdEEEvi20rocsparse_direction_NS_24const_host_device_scalarIT2_EEPKiS8_PKS5_SA_S6_PS5_21rocsparse_index_base_b,"axG",@progbits,_ZN9rocsparseL19gebsrmvn_3xn_kernelILj128ELj6ELj8E21rocsparse_complex_numIdEEEvi20rocsparse_direction_NS_24const_host_device_scalarIT2_EEPKiS8_PKS5_SA_S6_PS5_21rocsparse_index_base_b,comdat
	.globl	_ZN9rocsparseL19gebsrmvn_3xn_kernelILj128ELj6ELj8E21rocsparse_complex_numIdEEEvi20rocsparse_direction_NS_24const_host_device_scalarIT2_EEPKiS8_PKS5_SA_S6_PS5_21rocsparse_index_base_b ; -- Begin function _ZN9rocsparseL19gebsrmvn_3xn_kernelILj128ELj6ELj8E21rocsparse_complex_numIdEEEvi20rocsparse_direction_NS_24const_host_device_scalarIT2_EEPKiS8_PKS5_SA_S6_PS5_21rocsparse_index_base_b
	.p2align	8
	.type	_ZN9rocsparseL19gebsrmvn_3xn_kernelILj128ELj6ELj8E21rocsparse_complex_numIdEEEvi20rocsparse_direction_NS_24const_host_device_scalarIT2_EEPKiS8_PKS5_SA_S6_PS5_21rocsparse_index_base_b,@function
_ZN9rocsparseL19gebsrmvn_3xn_kernelILj128ELj6ELj8E21rocsparse_complex_numIdEEEvi20rocsparse_direction_NS_24const_host_device_scalarIT2_EEPKiS8_PKS5_SA_S6_PS5_21rocsparse_index_base_b: ; @_ZN9rocsparseL19gebsrmvn_3xn_kernelILj128ELj6ELj8E21rocsparse_complex_numIdEEEvi20rocsparse_direction_NS_24const_host_device_scalarIT2_EEPKiS8_PKS5_SA_S6_PS5_21rocsparse_index_base_b
; %bb.0:
	s_load_dwordx2 s[16:17], s[2:3], 0x50
	s_load_dwordx4 s[12:15], s[2:3], 0x8
	s_load_dwordx4 s[8:11], s[2:3], 0x38
	s_load_dwordx2 s[18:19], s[0:1], 0x4
	s_mov_b64 s[6:7], src_shared_base
	s_waitcnt lgkmcnt(0)
	s_bitcmp1_b32 s17, 0
	s_cselect_b64 s[0:1], -1, 0
	s_and_b64 vcc, s[0:1], exec
	s_cselect_b32 s5, s7, s13
	s_lshr_b32 s6, s18, 16
	v_bfe_u32 v1, v0, 10, 10
	v_and_b32_e32 v10, 0x3ff, v0
	s_mul_i32 s6, s6, s19
	v_mul_u32_u24_e32 v1, s19, v1
	v_mad_u32_u24 v1, s6, v10, v1
	v_bfe_u32 v0, v0, 20, 10
	v_add_lshl_u32 v4, v1, v0, 3
	v_mov_b32_e32 v5, s12
	v_add_u32_e32 v6, 0x400, v4
	v_mov_b64_e32 v[0:1], s[12:13]
	v_mov_b64_e32 v[2:3], s[8:9]
	ds_write2st64_b64 v4, v[2:3], v[0:1] offset1:2
	v_cndmask_b32_e64 v0, v5, v6, s[0:1]
	v_mov_b32_e32 v1, s5
	flat_load_dwordx2 v[0:1], v[0:1]
	s_xor_b64 s[18:19], s[0:1], -1
	v_mov_b64_e32 v[2:3], s[14:15]
	s_cbranch_vccnz .LBB132_2
; %bb.1:
	v_mov_b64_e32 v[2:3], s[12:13]
	flat_load_dwordx2 v[2:3], v[2:3] offset:8
.LBB132_2:
	s_and_b64 s[12:13], s[0:1], exec
	s_cselect_b32 s5, s7, s9
	v_mov_b32_e32 v5, s8
	v_cndmask_b32_e64 v4, v5, v4, s[0:1]
	v_mov_b32_e32 v5, s5
	flat_load_dwordx2 v[4:5], v[4:5]
	s_andn2_b64 vcc, exec, s[18:19]
	v_mov_b64_e32 v[6:7], s[10:11]
	s_cbranch_vccnz .LBB132_4
; %bb.3:
	v_mov_b64_e32 v[6:7], s[8:9]
	flat_load_dwordx2 v[6:7], v[6:7] offset:8
.LBB132_4:
	s_waitcnt vmcnt(0) lgkmcnt(0)
	v_cmp_eq_f64_e32 vcc, 0, v[0:1]
	v_cmp_eq_f64_e64 s[0:1], 0, v[2:3]
	s_and_b64 s[8:9], vcc, s[0:1]
	s_mov_b64 s[0:1], -1
	s_and_saveexec_b64 s[6:7], s[8:9]
; %bb.5:
	v_cmp_neq_f64_e32 vcc, 1.0, v[4:5]
	v_cmp_neq_f64_e64 s[0:1], 0, v[6:7]
	s_or_b64 s[0:1], vcc, s[0:1]
	s_orn2_b64 s[0:1], s[0:1], exec
; %bb.6:
	s_or_b64 exec, exec, s[6:7]
	s_and_saveexec_b64 s[6:7], s[0:1]
	s_cbranch_execz .LBB132_25
; %bb.7:
	s_load_dwordx2 s[0:1], s[2:3], 0x0
	v_lshrrev_b32_e32 v8, 3, v10
	v_lshl_or_b32 v8, s4, 4, v8
	s_waitcnt lgkmcnt(0)
	v_cmp_gt_i32_e32 vcc, s0, v8
	s_and_b64 exec, exec, vcc
	s_cbranch_execz .LBB132_25
; %bb.8:
	s_load_dwordx8 s[4:11], s[2:3], 0x18
	v_ashrrev_i32_e32 v9, 31, v8
	s_cmp_lg_u32 s1, 0
	s_waitcnt lgkmcnt(0)
	v_lshl_add_u64 v[12:13], v[8:9], 2, s[4:5]
	global_load_dwordx2 v[12:13], v[12:13], off
	v_and_b32_e32 v9, 7, v10
	s_waitcnt vmcnt(0)
	v_subrev_u32_e32 v10, s16, v12
	v_subrev_u32_e32 v34, s16, v13
	v_add_u32_e32 v16, v10, v9
	v_cmp_lt_i32_e64 s[0:1], v16, v34
	s_cbranch_scc0 .LBB132_14
; %bb.9:
	v_mov_b64_e32 v[12:13], 0
	s_mov_b64 s[4:5], 0
	v_mov_b64_e32 v[22:23], v[12:13]
	v_mov_b64_e32 v[18:19], v[12:13]
	;; [unrolled: 1-line block ×5, first 2 shown]
	s_and_saveexec_b64 s[12:13], s[0:1]
	s_cbranch_execz .LBB132_13
; %bb.10:
	v_mad_u64_u32 v[24:25], s[14:15], v16, 18, 17
	v_mov_b64_e32 v[12:13], 0
	s_mov_b64 s[14:15], 0
	v_mov_b32_e32 v27, 0
	v_mov_b32_e32 v28, v16
	v_mov_b64_e32 v[22:23], v[12:13]
	v_mov_b64_e32 v[18:19], v[12:13]
	;; [unrolled: 1-line block ×5, first 2 shown]
.LBB132_11:                             ; =>This Inner Loop Header: Depth=1
	v_ashrrev_i32_e32 v29, 31, v28
	v_subrev_u32_e32 v26, 17, v24
	v_lshl_add_u64 v[32:33], v[28:29], 2, s[6:7]
	v_lshl_add_u64 v[44:45], v[26:27], 4, s[8:9]
	global_load_dword v17, v[32:33], off
	global_load_dwordx4 v[36:39], v[44:45], off offset:16
	global_load_dwordx4 v[40:43], v[44:45], off
	v_add_u32_e32 v26, -15, v24
	v_mov_b32_e32 v25, v27
	v_lshl_add_u64 v[32:33], v[26:27], 4, s[8:9]
	v_add_u32_e32 v26, -14, v24
	v_lshl_add_u64 v[46:47], v[24:25], 4, s[8:9]
	v_lshl_add_u64 v[56:57], v[26:27], 4, s[8:9]
	v_add_u32_e32 v26, -13, v24
	global_load_dwordx4 v[44:47], v[46:47], off
	s_nop 0
	global_load_dwordx4 v[48:51], v[32:33], off
	global_load_dwordx4 v[52:55], v[56:57], off
	v_lshl_add_u64 v[32:33], v[26:27], 4, s[8:9]
	v_add_u32_e32 v26, -12, v24
	v_lshl_add_u64 v[64:65], v[26:27], 4, s[8:9]
	v_add_u32_e32 v26, -11, v24
	v_mov_b32_e32 v31, v27
	global_load_dwordx4 v[56:59], v[32:33], off
	global_load_dwordx4 v[60:63], v[64:65], off
	v_lshl_add_u64 v[32:33], v[26:27], 4, s[8:9]
	global_load_dwordx4 v[64:67], v[32:33], off
	v_add_u32_e32 v28, 8, v28
	v_cmp_ge_i32_e32 vcc, v28, v34
	s_or_b64 s[14:15], vcc, s[14:15]
	s_waitcnt vmcnt(8)
	v_subrev_u32_e32 v17, s16, v17
	v_mul_lo_u32 v30, v17, 6
	v_lshl_add_u64 v[32:33], v[30:31], 4, s[10:11]
	global_load_dwordx4 v[68:71], v[32:33], off
	global_load_dwordx4 v[72:75], v[32:33], off offset:16
	v_add_u32_e32 v26, 2, v30
	v_lshl_add_u64 v[32:33], v[26:27], 4, s[10:11]
	global_load_dwordx4 v[76:79], v[32:33], off
	global_load_dwordx4 v[80:83], v[32:33], off offset:16
	v_add_u32_e32 v26, -10, v24
	v_lshl_add_u64 v[32:33], v[26:27], 4, s[8:9]
	v_add_u32_e32 v26, -9, v24
	global_load_dwordx4 v[84:87], v[32:33], off
	v_lshl_add_u64 v[32:33], v[26:27], 4, s[8:9]
	v_add_u32_e32 v26, -8, v24
	s_waitcnt vmcnt(4)
	v_fmac_f64_e32 v[22:23], v[40:41], v[68:69]
	v_fmac_f64_e32 v[12:13], v[42:43], v[68:69]
	v_fma_f64 v[88:89], -v[42:43], v[70:71], v[22:23]
	v_lshl_add_u64 v[22:23], v[26:27], 4, s[8:9]
	v_add_u32_e32 v26, -7, v24
	v_fmac_f64_e32 v[20:21], v[36:37], v[68:69]
	v_fmac_f64_e32 v[12:13], v[40:41], v[70:71]
	global_load_dwordx4 v[40:43], v[32:33], off
	v_fma_f64 v[90:91], -v[38:39], v[70:71], v[20:21]
	global_load_dwordx4 v[20:23], v[22:23], off
	v_lshl_add_u64 v[32:33], v[26:27], 4, s[8:9]
	v_add_u32_e32 v26, -6, v24
	v_fmac_f64_e32 v[14:15], v[38:39], v[68:69]
	v_fmac_f64_e32 v[18:19], v[48:49], v[68:69]
	;; [unrolled: 1-line block ×3, first 2 shown]
	v_lshl_add_u64 v[68:69], v[26:27], 4, s[8:9]
	v_add_u32_e32 v26, -5, v24
	v_fmac_f64_e32 v[14:15], v[36:37], v[70:71]
	v_fma_f64 v[18:19], -v[50:51], v[70:71], v[18:19]
	v_fmac_f64_e32 v[10:11], v[48:49], v[70:71]
	v_lshl_add_u64 v[70:71], v[26:27], 4, s[8:9]
	v_add_u32_e32 v26, 4, v30
	global_load_dwordx4 v[36:39], v[32:33], off
	s_nop 0
	global_load_dwordx4 v[30:33], v[68:69], off
	global_load_dwordx4 v[48:51], v[70:71], off
	s_waitcnt vmcnt(8)
	v_fmac_f64_e32 v[12:13], v[54:55], v[72:73]
	v_lshl_add_u64 v[68:69], v[26:27], 4, s[10:11]
	v_add_u32_e32 v26, -4, v24
	v_fmac_f64_e32 v[88:89], v[52:53], v[72:73]
	v_fmac_f64_e32 v[12:13], v[52:53], v[74:75]
	;; [unrolled: 1-line block ×6, first 2 shown]
	v_lshl_add_u64 v[72:73], v[26:27], 4, s[8:9]
	v_add_u32_e32 v26, -3, v24
	v_fma_f64 v[88:89], -v[54:55], v[74:75], v[88:89]
	v_fma_f64 v[90:91], -v[58:59], v[74:75], v[90:91]
	v_fmac_f64_e32 v[14:15], v[56:57], v[74:75]
	v_fma_f64 v[18:19], -v[62:63], v[74:75], v[18:19]
	v_fmac_f64_e32 v[10:11], v[60:61], v[74:75]
	v_lshl_add_u64 v[74:75], v[26:27], 4, s[8:9]
	v_add_u32_e32 v26, -2, v24
	s_waitcnt vmcnt(7)
	v_fmac_f64_e32 v[12:13], v[66:67], v[76:77]
	global_load_dwordx4 v[52:55], v[68:69], off offset:16
	global_load_dwordx4 v[56:59], v[68:69], off
	global_load_dwordx4 v[60:63], v[72:73], off
	s_nop 0
	global_load_dwordx4 v[68:71], v[74:75], off
	v_fmac_f64_e32 v[88:89], v[64:65], v[76:77]
	v_fmac_f64_e32 v[12:13], v[64:65], v[78:79]
	v_lshl_add_u64 v[64:65], v[26:27], 4, s[8:9]
	v_add_u32_e32 v26, -1, v24
	v_lshl_add_u64 v[72:73], v[26:27], 4, s[8:9]
	v_fma_f64 v[88:89], -v[66:67], v[78:79], v[88:89]
	global_load_dwordx4 v[64:67], v[64:65], off
	s_waitcnt vmcnt(10)
	v_fmac_f64_e32 v[90:91], v[84:85], v[76:77]
	global_load_dwordx4 v[72:75], v[72:73], off
	v_fmac_f64_e32 v[14:15], v[86:87], v[76:77]
	v_fma_f64 v[86:87], -v[86:87], v[78:79], v[90:91]
	v_fmac_f64_e32 v[14:15], v[84:85], v[78:79]
	v_add_u32_e32 v24, 0x90, v24
	s_waitcnt vmcnt(10)
	v_fmac_f64_e32 v[18:19], v[40:41], v[76:77]
	v_fmac_f64_e32 v[10:11], v[42:43], v[76:77]
	v_fma_f64 v[18:19], -v[42:43], v[78:79], v[18:19]
	v_fmac_f64_e32 v[10:11], v[40:41], v[78:79]
	s_waitcnt vmcnt(9)
	v_fmac_f64_e32 v[88:89], v[20:21], v[80:81]
	v_fmac_f64_e32 v[12:13], v[22:23], v[80:81]
	v_fma_f64 v[22:23], -v[22:23], v[82:83], v[88:89]
	v_fmac_f64_e32 v[12:13], v[20:21], v[82:83]
	s_waitcnt vmcnt(8)
	v_fmac_f64_e32 v[86:87], v[36:37], v[80:81]
	v_fmac_f64_e32 v[14:15], v[38:39], v[80:81]
	s_waitcnt vmcnt(7)
	v_fmac_f64_e32 v[18:19], v[30:31], v[80:81]
	v_fmac_f64_e32 v[10:11], v[32:33], v[80:81]
	v_fma_f64 v[20:21], -v[38:39], v[82:83], v[86:87]
	v_fmac_f64_e32 v[14:15], v[36:37], v[82:83]
	v_fma_f64 v[18:19], -v[32:33], v[82:83], v[18:19]
	v_fmac_f64_e32 v[10:11], v[30:31], v[82:83]
	s_waitcnt vmcnt(4)
	v_fmac_f64_e32 v[22:23], v[48:49], v[56:57]
	v_fmac_f64_e32 v[12:13], v[50:51], v[56:57]
	s_waitcnt vmcnt(3)
	v_fmac_f64_e32 v[20:21], v[60:61], v[56:57]
	;; [unrolled: 3-line block ×3, first 2 shown]
	v_fmac_f64_e32 v[10:11], v[70:71], v[56:57]
	v_fma_f64 v[22:23], -v[50:51], v[58:59], v[22:23]
	v_fmac_f64_e32 v[12:13], v[48:49], v[58:59]
	v_fma_f64 v[20:21], -v[62:63], v[58:59], v[20:21]
	;; [unrolled: 2-line block ×3, first 2 shown]
	v_fmac_f64_e32 v[10:11], v[68:69], v[58:59]
	s_waitcnt vmcnt(1)
	v_fmac_f64_e32 v[22:23], v[64:65], v[52:53]
	v_fmac_f64_e32 v[12:13], v[66:67], v[52:53]
	s_waitcnt vmcnt(0)
	v_fmac_f64_e32 v[20:21], v[72:73], v[52:53]
	v_fmac_f64_e32 v[14:15], v[74:75], v[52:53]
	;; [unrolled: 1-line block ×4, first 2 shown]
	v_fma_f64 v[22:23], -v[66:67], v[54:55], v[22:23]
	v_fmac_f64_e32 v[12:13], v[64:65], v[54:55]
	v_fma_f64 v[20:21], -v[74:75], v[54:55], v[20:21]
	v_fmac_f64_e32 v[14:15], v[72:73], v[54:55]
	;; [unrolled: 2-line block ×3, first 2 shown]
	s_andn2_b64 exec, exec, s[14:15]
	s_cbranch_execnz .LBB132_11
; %bb.12:
	s_or_b64 exec, exec, s[14:15]
.LBB132_13:
	s_or_b64 exec, exec, s[12:13]
	s_andn2_b64 vcc, exec, s[4:5]
	s_cbranch_vccz .LBB132_15
	s_branch .LBB132_20
.LBB132_14:
                                        ; implicit-def: $vgpr12_vgpr13
                                        ; implicit-def: $vgpr22_vgpr23
                                        ; implicit-def: $vgpr18_vgpr19
                                        ; implicit-def: $vgpr10_vgpr11
                                        ; implicit-def: $vgpr20_vgpr21
                                        ; implicit-def: $vgpr14_vgpr15
.LBB132_15:
	v_mov_b64_e32 v[12:13], 0
	v_mov_b64_e32 v[22:23], v[12:13]
	;; [unrolled: 1-line block ×6, first 2 shown]
	s_and_saveexec_b64 s[4:5], s[0:1]
	s_cbranch_execz .LBB132_19
; %bb.16:
	v_mad_u64_u32 v[24:25], s[0:1], v16, 18, 17
	v_mov_b64_e32 v[12:13], 0
	s_mov_b64 s[0:1], 0
	v_mov_b32_e32 v27, 0
	v_mov_b64_e32 v[22:23], v[12:13]
	v_mov_b64_e32 v[18:19], v[12:13]
	;; [unrolled: 1-line block ×5, first 2 shown]
.LBB132_17:                             ; =>This Inner Loop Header: Depth=1
	v_ashrrev_i32_e32 v17, 31, v16
	v_subrev_u32_e32 v26, 17, v24
	v_add_u32_e32 v32, -11, v24
	v_add_u32_e32 v30, -5, v24
	v_mov_b32_e32 v33, v27
	v_mov_b32_e32 v31, v27
	v_lshl_add_u64 v[48:49], v[16:17], 2, s[6:7]
	v_lshl_add_u64 v[50:51], v[26:27], 4, s[8:9]
	;; [unrolled: 1-line block ×4, first 2 shown]
	global_load_dword v17, v[48:49], off
	global_load_dwordx4 v[30:33], v[50:51], off offset:16
	global_load_dwordx4 v[36:39], v[50:51], off
	global_load_dwordx4 v[40:43], v[52:53], off
	;; [unrolled: 1-line block ×3, first 2 shown]
	v_add_u32_e32 v26, -10, v24
	v_mov_b32_e32 v25, v27
	v_lshl_add_u64 v[60:61], v[26:27], 4, s[8:9]
	v_add_u32_e32 v26, -4, v24
	v_mov_b32_e32 v29, v27
	v_lshl_add_u64 v[56:57], v[24:25], 4, s[8:9]
	v_lshl_add_u64 v[62:63], v[26:27], 4, s[8:9]
	v_add_u32_e32 v26, -15, v24
	global_load_dwordx4 v[48:51], v[56:57], off
	global_load_dwordx4 v[52:55], v[60:61], off
	s_nop 0
	global_load_dwordx4 v[56:59], v[62:63], off
	v_lshl_add_u64 v[60:61], v[26:27], 4, s[8:9]
	global_load_dwordx4 v[60:63], v[60:61], off
	v_add_u32_e32 v16, 8, v16
	v_cmp_ge_i32_e32 vcc, v16, v34
	s_or_b64 s[0:1], vcc, s[0:1]
	s_waitcnt vmcnt(8)
	v_subrev_u32_e32 v17, s16, v17
	v_mul_lo_u32 v28, v17, 6
	v_lshl_add_u64 v[72:73], v[28:29], 4, s[10:11]
	global_load_dwordx4 v[64:67], v[72:73], off
	global_load_dwordx4 v[68:71], v[72:73], off offset:16
	v_add_u32_e32 v26, 2, v28
	v_lshl_add_u64 v[76:77], v[26:27], 4, s[10:11]
	v_add_u32_e32 v26, -9, v24
	global_load_dwordx4 v[72:75], v[76:77], off
	s_waitcnt vmcnt(2)
	v_fmac_f64_e32 v[22:23], v[36:37], v[64:65]
	v_fma_f64 v[78:79], -v[38:39], v[66:67], v[22:23]
	v_lshl_add_u64 v[22:23], v[26:27], 4, s[8:9]
	v_add_u32_e32 v26, -3, v24
	v_fmac_f64_e32 v[14:15], v[42:43], v[64:65]
	v_fmac_f64_e32 v[12:13], v[38:39], v[64:65]
	;; [unrolled: 1-line block ×4, first 2 shown]
	v_lshl_add_u64 v[40:41], v[26:27], 4, s[8:9]
	v_fmac_f64_e32 v[12:13], v[36:37], v[66:67]
	global_load_dwordx4 v[36:39], v[76:77], off offset:16
	v_fma_f64 v[76:77], -v[42:43], v[66:67], v[20:21]
	global_load_dwordx4 v[20:23], v[22:23], off
	v_add_u32_e32 v26, -14, v24
	global_load_dwordx4 v[40:43], v[40:41], off
	v_fmac_f64_e32 v[10:11], v[46:47], v[64:65]
	v_fmac_f64_e32 v[18:19], v[44:45], v[64:65]
	;; [unrolled: 1-line block ×3, first 2 shown]
	v_lshl_add_u64 v[44:45], v[26:27], 4, s[8:9]
	v_add_u32_e32 v26, -8, v24
	v_lshl_add_u64 v[64:65], v[26:27], 4, s[8:9]
	v_add_u32_e32 v26, -2, v24
	s_waitcnt vmcnt(4)
	v_fmac_f64_e32 v[78:79], v[30:31], v[68:69]
	v_fma_f64 v[18:19], -v[46:47], v[66:67], v[18:19]
	v_fmac_f64_e32 v[12:13], v[32:33], v[68:69]
	v_fma_f64 v[32:33], -v[32:33], v[70:71], v[78:79]
	v_lshl_add_u64 v[78:79], v[26:27], 4, s[8:9]
	v_add_u32_e32 v26, -13, v24
	v_lshl_add_u64 v[80:81], v[26:27], 4, s[8:9]
	v_add_u32_e32 v26, 4, v28
	v_fmac_f64_e32 v[76:77], v[52:53], v[68:69]
	v_fmac_f64_e32 v[14:15], v[54:55], v[68:69]
	;; [unrolled: 1-line block ×3, first 2 shown]
	global_load_dwordx4 v[44:47], v[44:45], off
	v_fmac_f64_e32 v[12:13], v[30:31], v[70:71]
	global_load_dwordx4 v[28:31], v[64:65], off
	v_fma_f64 v[76:77], -v[54:55], v[70:71], v[76:77]
	v_fmac_f64_e32 v[14:15], v[52:53], v[70:71]
	global_load_dwordx4 v[52:55], v[78:79], off
	global_load_dwordx4 v[64:67], v[80:81], off
	v_fmac_f64_e32 v[10:11], v[58:59], v[68:69]
	v_fma_f64 v[78:79], -v[58:59], v[70:71], v[18:19]
	v_lshl_add_u64 v[18:19], v[26:27], 4, s[10:11]
	v_add_u32_e32 v26, -7, v24
	v_fmac_f64_e32 v[10:11], v[56:57], v[70:71]
	v_lshl_add_u64 v[80:81], v[26:27], 4, s[8:9]
	v_add_u32_e32 v26, -1, v24
	s_waitcnt vmcnt(7)
	v_fmac_f64_e32 v[32:33], v[60:61], v[72:73]
	v_fmac_f64_e32 v[12:13], v[62:63], v[72:73]
	v_lshl_add_u64 v[82:83], v[26:27], 4, s[8:9]
	v_add_u32_e32 v26, -12, v24
	global_load_dwordx4 v[56:59], v[18:19], off offset:16
	global_load_dwordx4 v[68:71], v[18:19], off
	v_fma_f64 v[32:33], -v[62:63], v[74:75], v[32:33]
	v_fmac_f64_e32 v[12:13], v[60:61], v[74:75]
	s_waitcnt vmcnt(7)
	v_fmac_f64_e32 v[14:15], v[22:23], v[72:73]
	v_fmac_f64_e32 v[76:77], v[20:21], v[72:73]
	s_waitcnt vmcnt(6)
	v_fmac_f64_e32 v[10:11], v[42:43], v[72:73]
	v_fmac_f64_e32 v[14:15], v[20:21], v[74:75]
	global_load_dwordx4 v[18:21], v[80:81], off
	global_load_dwordx4 v[60:63], v[82:83], off
	v_fmac_f64_e32 v[78:79], v[40:41], v[72:73]
	v_fmac_f64_e32 v[10:11], v[40:41], v[74:75]
	v_lshl_add_u64 v[40:41], v[26:27], 4, s[8:9]
	v_add_u32_e32 v26, -6, v24
	v_lshl_add_u64 v[72:73], v[26:27], 4, s[8:9]
	v_fma_f64 v[22:23], -v[22:23], v[74:75], v[76:77]
	v_fma_f64 v[76:77], -v[42:43], v[74:75], v[78:79]
	global_load_dwordx4 v[40:43], v[40:41], off
	v_add_u32_e32 v24, 0x90, v24
	global_load_dwordx4 v[72:75], v[72:73], off
	s_waitcnt vmcnt(9)
	v_fmac_f64_e32 v[32:33], v[44:45], v[36:37]
	v_fmac_f64_e32 v[12:13], v[46:47], v[36:37]
	s_waitcnt vmcnt(8)
	v_fmac_f64_e32 v[22:23], v[28:29], v[36:37]
	v_fmac_f64_e32 v[14:15], v[30:31], v[36:37]
	;; [unrolled: 3-line block ×3, first 2 shown]
	v_fma_f64 v[32:33], -v[46:47], v[38:39], v[32:33]
	v_fmac_f64_e32 v[12:13], v[44:45], v[38:39]
	v_fma_f64 v[22:23], -v[30:31], v[38:39], v[22:23]
	v_fmac_f64_e32 v[14:15], v[28:29], v[38:39]
	v_fma_f64 v[28:29], -v[54:55], v[38:39], v[76:77]
	v_fmac_f64_e32 v[10:11], v[52:53], v[38:39]
	s_waitcnt vmcnt(4)
	v_fmac_f64_e32 v[32:33], v[64:65], v[68:69]
	v_fmac_f64_e32 v[12:13], v[66:67], v[68:69]
	v_fma_f64 v[30:31], -v[66:67], v[70:71], v[32:33]
	v_fmac_f64_e32 v[12:13], v[64:65], v[70:71]
	s_waitcnt vmcnt(3)
	v_fmac_f64_e32 v[22:23], v[18:19], v[68:69]
	v_fmac_f64_e32 v[14:15], v[20:21], v[68:69]
	s_waitcnt vmcnt(2)
	v_fmac_f64_e32 v[28:29], v[60:61], v[68:69]
	v_fmac_f64_e32 v[10:11], v[62:63], v[68:69]
	v_fma_f64 v[20:21], -v[20:21], v[70:71], v[22:23]
	v_fmac_f64_e32 v[14:15], v[18:19], v[70:71]
	v_fma_f64 v[18:19], -v[62:63], v[70:71], v[28:29]
	v_fmac_f64_e32 v[10:11], v[60:61], v[70:71]
	v_fmac_f64_e32 v[18:19], v[48:49], v[56:57]
	s_waitcnt vmcnt(1)
	v_fmac_f64_e32 v[30:31], v[40:41], v[56:57]
	v_fmac_f64_e32 v[12:13], v[42:43], v[56:57]
	s_waitcnt vmcnt(0)
	v_fmac_f64_e32 v[20:21], v[72:73], v[56:57]
	v_fmac_f64_e32 v[14:15], v[74:75], v[56:57]
	;; [unrolled: 1-line block ×3, first 2 shown]
	v_fma_f64 v[22:23], -v[42:43], v[58:59], v[30:31]
	v_fmac_f64_e32 v[12:13], v[40:41], v[58:59]
	v_fma_f64 v[20:21], -v[74:75], v[58:59], v[20:21]
	v_fmac_f64_e32 v[14:15], v[72:73], v[58:59]
	;; [unrolled: 2-line block ×3, first 2 shown]
	s_andn2_b64 exec, exec, s[0:1]
	s_cbranch_execnz .LBB132_17
; %bb.18:
	s_or_b64 exec, exec, s[0:1]
.LBB132_19:
	s_or_b64 exec, exec, s[4:5]
.LBB132_20:
	v_mov_b32_dpp v26, v20 row_shr:1 row_mask:0xf bank_mask:0xf
	v_mov_b32_dpp v27, v21 row_shr:1 row_mask:0xf bank_mask:0xf
	v_add_f64 v[20:21], v[20:21], v[26:27]
	v_mov_b32_dpp v16, v22 row_shr:1 row_mask:0xf bank_mask:0xf
	v_mov_b32_dpp v17, v23 row_shr:1 row_mask:0xf bank_mask:0xf
	;; [unrolled: 1-line block ×4, first 2 shown]
	v_add_f64 v[26:27], v[20:21], v[26:27]
	v_mov_b32_dpp v20, v14 row_shr:1 row_mask:0xf bank_mask:0xf
	v_mov_b32_dpp v21, v15 row_shr:1 row_mask:0xf bank_mask:0xf
	v_add_f64 v[14:15], v[14:15], v[20:21]
	v_mov_b32_dpp v24, v12 row_shr:1 row_mask:0xf bank_mask:0xf
	v_mov_b32_dpp v25, v13 row_shr:1 row_mask:0xf bank_mask:0xf
	;; [unrolled: 1-line block ×4, first 2 shown]
	v_add_f64 v[14:15], v[14:15], v[20:21]
	v_mov_b32_dpp v20, v18 row_shr:1 row_mask:0xf bank_mask:0xf
	v_mov_b32_dpp v21, v19 row_shr:1 row_mask:0xf bank_mask:0xf
	v_add_f64 v[18:19], v[18:19], v[20:21]
	v_add_f64 v[16:17], v[22:23], v[16:17]
	;; [unrolled: 1-line block ×3, first 2 shown]
	v_mov_b32_dpp v20, v18 row_shr:2 row_mask:0xf bank_mask:0xf
	v_mov_b32_dpp v21, v19 row_shr:2 row_mask:0xf bank_mask:0xf
	v_add_f64 v[32:33], v[18:19], v[20:21]
	v_mov_b32_dpp v18, v10 row_shr:1 row_mask:0xf bank_mask:0xf
	v_mov_b32_dpp v19, v11 row_shr:1 row_mask:0xf bank_mask:0xf
	v_add_f64 v[10:11], v[10:11], v[18:19]
	v_mov_b32_dpp v22, v16 row_shr:2 row_mask:0xf bank_mask:0xf
	v_mov_b32_dpp v23, v17 row_shr:2 row_mask:0xf bank_mask:0xf
	;; [unrolled: 1-line block ×6, first 2 shown]
	v_add_f64 v[16:17], v[16:17], v[22:23]
	v_add_f64 v[12:13], v[12:13], v[24:25]
	;; [unrolled: 1-line block ×3, first 2 shown]
	v_mov_b32_dpp v22, v16 row_shr:4 row_mask:0xf bank_mask:0xe
	v_mov_b32_dpp v23, v17 row_shr:4 row_mask:0xf bank_mask:0xe
	;; [unrolled: 1-line block ×12, first 2 shown]
	v_cmp_eq_u32_e32 vcc, 7, v9
	s_and_b64 exec, exec, vcc
	s_cbranch_execz .LBB132_25
; %bb.21:
	s_load_dwordx2 s[2:3], s[2:3], 0x48
	v_cmp_eq_f64_e32 vcc, 0, v[4:5]
	v_cmp_eq_f64_e64 s[0:1], 0, v[6:7]
	v_add_f64 v[16:17], v[16:17], v[22:23]
	v_add_f64 v[20:21], v[12:13], v[24:25]
	;; [unrolled: 1-line block ×6, first 2 shown]
	s_and_b64 s[0:1], vcc, s[0:1]
	s_and_saveexec_b64 s[4:5], s[0:1]
	s_xor_b64 s[0:1], exec, s[4:5]
	s_cbranch_execz .LBB132_23
; %bb.22:
	v_lshl_add_u32 v8, v8, 1, v8
	v_mul_f64 v[4:5], v[20:21], -v[2:3]
	v_mul_f64 v[6:7], v[0:1], v[20:21]
	v_ashrrev_i32_e32 v9, 31, v8
	v_fmac_f64_e32 v[4:5], v[0:1], v[16:17]
	v_fmac_f64_e32 v[6:7], v[2:3], v[16:17]
	s_waitcnt lgkmcnt(0)
	v_lshl_add_u64 v[8:9], v[8:9], 4, s[2:3]
	global_store_dwordx4 v[8:9], v[4:7], off
                                        ; implicit-def: $vgpr16_vgpr17
                                        ; implicit-def: $vgpr20_vgpr21
	s_nop 1
	v_mul_f64 v[4:5], v[18:19], -v[2:3]
	v_mul_f64 v[6:7], v[0:1], v[18:19]
	v_fmac_f64_e32 v[4:5], v[0:1], v[12:13]
	v_fmac_f64_e32 v[6:7], v[2:3], v[12:13]
	global_store_dwordx4 v[8:9], v[4:7], off offset:16
                                        ; implicit-def: $vgpr12_vgpr13
                                        ; implicit-def: $vgpr18_vgpr19
	s_nop 1
	v_mul_f64 v[4:5], v[14:15], -v[2:3]
	v_mul_f64 v[6:7], v[0:1], v[14:15]
	v_fmac_f64_e32 v[4:5], v[0:1], v[10:11]
	v_fmac_f64_e32 v[6:7], v[2:3], v[10:11]
	global_store_dwordx4 v[8:9], v[4:7], off offset:32
                                        ; implicit-def: $vgpr0_vgpr1
                                        ; implicit-def: $vgpr2_vgpr3
                                        ; implicit-def: $vgpr4_vgpr5
                                        ; implicit-def: $vgpr6_vgpr7
                                        ; implicit-def: $vgpr8
                                        ; implicit-def: $vgpr10_vgpr11
                                        ; implicit-def: $vgpr14_vgpr15
.LBB132_23:
	s_andn2_saveexec_b64 s[0:1], s[0:1]
	s_cbranch_execz .LBB132_25
; %bb.24:
	v_lshl_add_u32 v8, v8, 1, v8
	v_ashrrev_i32_e32 v9, 31, v8
	s_waitcnt lgkmcnt(0)
	v_lshl_add_u64 v[38:39], v[8:9], 4, s[2:3]
	global_load_dwordx4 v[22:25], v[38:39], off
	global_load_dwordx4 v[26:29], v[38:39], off offset:16
	global_load_dwordx4 v[30:33], v[38:39], off offset:32
	v_mul_f64 v[34:35], v[20:21], -v[2:3]
	v_mul_f64 v[20:21], v[0:1], v[20:21]
	v_mul_f64 v[40:41], v[18:19], -v[2:3]
	v_mul_f64 v[36:37], v[0:1], v[18:19]
	;; [unrolled: 2-line block ×3, first 2 shown]
	v_fmac_f64_e32 v[34:35], v[0:1], v[16:17]
	v_fmac_f64_e32 v[20:21], v[2:3], v[16:17]
	;; [unrolled: 1-line block ×6, first 2 shown]
	s_waitcnt vmcnt(2)
	v_fmac_f64_e32 v[34:35], v[4:5], v[22:23]
	v_fmac_f64_e32 v[20:21], v[6:7], v[22:23]
	s_waitcnt vmcnt(1)
	v_fmac_f64_e32 v[40:41], v[4:5], v[26:27]
	v_fmac_f64_e32 v[36:37], v[6:7], v[26:27]
	;; [unrolled: 3-line block ×3, first 2 shown]
	v_fma_f64 v[18:19], -v[6:7], v[24:25], v[34:35]
	v_fmac_f64_e32 v[20:21], v[4:5], v[24:25]
	v_fma_f64 v[34:35], -v[6:7], v[28:29], v[40:41]
	v_fmac_f64_e32 v[36:37], v[4:5], v[28:29]
	v_fma_f64 v[6:7], -v[6:7], v[32:33], v[42:43]
	v_fmac_f64_e32 v[8:9], v[4:5], v[32:33]
	global_store_dwordx4 v[38:39], v[18:21], off
	global_store_dwordx4 v[38:39], v[34:37], off offset:16
	global_store_dwordx4 v[38:39], v[6:9], off offset:32
.LBB132_25:
	s_endpgm
	.section	.rodata,"a",@progbits
	.p2align	6, 0x0
	.amdhsa_kernel _ZN9rocsparseL19gebsrmvn_3xn_kernelILj128ELj6ELj8E21rocsparse_complex_numIdEEEvi20rocsparse_direction_NS_24const_host_device_scalarIT2_EEPKiS8_PKS5_SA_S6_PS5_21rocsparse_index_base_b
		.amdhsa_group_segment_fixed_size 2048
		.amdhsa_private_segment_fixed_size 0
		.amdhsa_kernarg_size 88
		.amdhsa_user_sgpr_count 4
		.amdhsa_user_sgpr_dispatch_ptr 1
		.amdhsa_user_sgpr_queue_ptr 0
		.amdhsa_user_sgpr_kernarg_segment_ptr 1
		.amdhsa_user_sgpr_dispatch_id 0
		.amdhsa_user_sgpr_kernarg_preload_length 0
		.amdhsa_user_sgpr_kernarg_preload_offset 0
		.amdhsa_user_sgpr_private_segment_size 0
		.amdhsa_uses_dynamic_stack 0
		.amdhsa_enable_private_segment 0
		.amdhsa_system_sgpr_workgroup_id_x 1
		.amdhsa_system_sgpr_workgroup_id_y 0
		.amdhsa_system_sgpr_workgroup_id_z 0
		.amdhsa_system_sgpr_workgroup_info 0
		.amdhsa_system_vgpr_workitem_id 2
		.amdhsa_next_free_vgpr 92
		.amdhsa_next_free_sgpr 20
		.amdhsa_accum_offset 92
		.amdhsa_reserve_vcc 1
		.amdhsa_float_round_mode_32 0
		.amdhsa_float_round_mode_16_64 0
		.amdhsa_float_denorm_mode_32 3
		.amdhsa_float_denorm_mode_16_64 3
		.amdhsa_dx10_clamp 1
		.amdhsa_ieee_mode 1
		.amdhsa_fp16_overflow 0
		.amdhsa_tg_split 0
		.amdhsa_exception_fp_ieee_invalid_op 0
		.amdhsa_exception_fp_denorm_src 0
		.amdhsa_exception_fp_ieee_div_zero 0
		.amdhsa_exception_fp_ieee_overflow 0
		.amdhsa_exception_fp_ieee_underflow 0
		.amdhsa_exception_fp_ieee_inexact 0
		.amdhsa_exception_int_div_zero 0
	.end_amdhsa_kernel
	.section	.text._ZN9rocsparseL19gebsrmvn_3xn_kernelILj128ELj6ELj8E21rocsparse_complex_numIdEEEvi20rocsparse_direction_NS_24const_host_device_scalarIT2_EEPKiS8_PKS5_SA_S6_PS5_21rocsparse_index_base_b,"axG",@progbits,_ZN9rocsparseL19gebsrmvn_3xn_kernelILj128ELj6ELj8E21rocsparse_complex_numIdEEEvi20rocsparse_direction_NS_24const_host_device_scalarIT2_EEPKiS8_PKS5_SA_S6_PS5_21rocsparse_index_base_b,comdat
.Lfunc_end132:
	.size	_ZN9rocsparseL19gebsrmvn_3xn_kernelILj128ELj6ELj8E21rocsparse_complex_numIdEEEvi20rocsparse_direction_NS_24const_host_device_scalarIT2_EEPKiS8_PKS5_SA_S6_PS5_21rocsparse_index_base_b, .Lfunc_end132-_ZN9rocsparseL19gebsrmvn_3xn_kernelILj128ELj6ELj8E21rocsparse_complex_numIdEEEvi20rocsparse_direction_NS_24const_host_device_scalarIT2_EEPKiS8_PKS5_SA_S6_PS5_21rocsparse_index_base_b
                                        ; -- End function
	.section	.AMDGPU.csdata,"",@progbits
; Kernel info:
; codeLenInByte = 3256
; NumSgprs: 26
; NumVgprs: 92
; NumAgprs: 0
; TotalNumVgprs: 92
; ScratchSize: 0
; MemoryBound: 0
; FloatMode: 240
; IeeeMode: 1
; LDSByteSize: 2048 bytes/workgroup (compile time only)
; SGPRBlocks: 3
; VGPRBlocks: 11
; NumSGPRsForWavesPerEU: 26
; NumVGPRsForWavesPerEU: 92
; AccumOffset: 92
; Occupancy: 5
; WaveLimiterHint : 1
; COMPUTE_PGM_RSRC2:SCRATCH_EN: 0
; COMPUTE_PGM_RSRC2:USER_SGPR: 4
; COMPUTE_PGM_RSRC2:TRAP_HANDLER: 0
; COMPUTE_PGM_RSRC2:TGID_X_EN: 1
; COMPUTE_PGM_RSRC2:TGID_Y_EN: 0
; COMPUTE_PGM_RSRC2:TGID_Z_EN: 0
; COMPUTE_PGM_RSRC2:TIDIG_COMP_CNT: 2
; COMPUTE_PGM_RSRC3_GFX90A:ACCUM_OFFSET: 22
; COMPUTE_PGM_RSRC3_GFX90A:TG_SPLIT: 0
	.section	.text._ZN9rocsparseL19gebsrmvn_3xn_kernelILj128ELj6ELj16E21rocsparse_complex_numIdEEEvi20rocsparse_direction_NS_24const_host_device_scalarIT2_EEPKiS8_PKS5_SA_S6_PS5_21rocsparse_index_base_b,"axG",@progbits,_ZN9rocsparseL19gebsrmvn_3xn_kernelILj128ELj6ELj16E21rocsparse_complex_numIdEEEvi20rocsparse_direction_NS_24const_host_device_scalarIT2_EEPKiS8_PKS5_SA_S6_PS5_21rocsparse_index_base_b,comdat
	.globl	_ZN9rocsparseL19gebsrmvn_3xn_kernelILj128ELj6ELj16E21rocsparse_complex_numIdEEEvi20rocsparse_direction_NS_24const_host_device_scalarIT2_EEPKiS8_PKS5_SA_S6_PS5_21rocsparse_index_base_b ; -- Begin function _ZN9rocsparseL19gebsrmvn_3xn_kernelILj128ELj6ELj16E21rocsparse_complex_numIdEEEvi20rocsparse_direction_NS_24const_host_device_scalarIT2_EEPKiS8_PKS5_SA_S6_PS5_21rocsparse_index_base_b
	.p2align	8
	.type	_ZN9rocsparseL19gebsrmvn_3xn_kernelILj128ELj6ELj16E21rocsparse_complex_numIdEEEvi20rocsparse_direction_NS_24const_host_device_scalarIT2_EEPKiS8_PKS5_SA_S6_PS5_21rocsparse_index_base_b,@function
_ZN9rocsparseL19gebsrmvn_3xn_kernelILj128ELj6ELj16E21rocsparse_complex_numIdEEEvi20rocsparse_direction_NS_24const_host_device_scalarIT2_EEPKiS8_PKS5_SA_S6_PS5_21rocsparse_index_base_b: ; @_ZN9rocsparseL19gebsrmvn_3xn_kernelILj128ELj6ELj16E21rocsparse_complex_numIdEEEvi20rocsparse_direction_NS_24const_host_device_scalarIT2_EEPKiS8_PKS5_SA_S6_PS5_21rocsparse_index_base_b
; %bb.0:
	s_load_dwordx2 s[16:17], s[2:3], 0x50
	s_load_dwordx4 s[12:15], s[2:3], 0x8
	s_load_dwordx4 s[8:11], s[2:3], 0x38
	s_load_dwordx2 s[18:19], s[0:1], 0x4
	s_mov_b64 s[6:7], src_shared_base
	s_waitcnt lgkmcnt(0)
	s_bitcmp1_b32 s17, 0
	s_cselect_b64 s[0:1], -1, 0
	s_and_b64 vcc, s[0:1], exec
	s_cselect_b32 s5, s7, s13
	s_lshr_b32 s6, s18, 16
	v_bfe_u32 v1, v0, 10, 10
	v_and_b32_e32 v10, 0x3ff, v0
	s_mul_i32 s6, s6, s19
	v_mul_u32_u24_e32 v1, s19, v1
	v_mad_u32_u24 v1, s6, v10, v1
	v_bfe_u32 v0, v0, 20, 10
	v_add_lshl_u32 v4, v1, v0, 3
	v_mov_b32_e32 v5, s12
	v_add_u32_e32 v6, 0x400, v4
	v_mov_b64_e32 v[0:1], s[12:13]
	v_mov_b64_e32 v[2:3], s[8:9]
	ds_write2st64_b64 v4, v[2:3], v[0:1] offset1:2
	v_cndmask_b32_e64 v0, v5, v6, s[0:1]
	v_mov_b32_e32 v1, s5
	flat_load_dwordx2 v[0:1], v[0:1]
	s_xor_b64 s[18:19], s[0:1], -1
	v_mov_b64_e32 v[2:3], s[14:15]
	s_cbranch_vccnz .LBB133_2
; %bb.1:
	v_mov_b64_e32 v[2:3], s[12:13]
	flat_load_dwordx2 v[2:3], v[2:3] offset:8
.LBB133_2:
	s_and_b64 s[12:13], s[0:1], exec
	s_cselect_b32 s5, s7, s9
	v_mov_b32_e32 v5, s8
	v_cndmask_b32_e64 v4, v5, v4, s[0:1]
	v_mov_b32_e32 v5, s5
	flat_load_dwordx2 v[4:5], v[4:5]
	s_andn2_b64 vcc, exec, s[18:19]
	v_mov_b64_e32 v[6:7], s[10:11]
	s_cbranch_vccnz .LBB133_4
; %bb.3:
	v_mov_b64_e32 v[6:7], s[8:9]
	flat_load_dwordx2 v[6:7], v[6:7] offset:8
.LBB133_4:
	s_waitcnt vmcnt(0) lgkmcnt(0)
	v_cmp_eq_f64_e32 vcc, 0, v[0:1]
	v_cmp_eq_f64_e64 s[0:1], 0, v[2:3]
	s_and_b64 s[8:9], vcc, s[0:1]
	s_mov_b64 s[0:1], -1
	s_and_saveexec_b64 s[6:7], s[8:9]
; %bb.5:
	v_cmp_neq_f64_e32 vcc, 1.0, v[4:5]
	v_cmp_neq_f64_e64 s[0:1], 0, v[6:7]
	s_or_b64 s[0:1], vcc, s[0:1]
	s_orn2_b64 s[0:1], s[0:1], exec
; %bb.6:
	s_or_b64 exec, exec, s[6:7]
	s_and_saveexec_b64 s[6:7], s[0:1]
	s_cbranch_execz .LBB133_25
; %bb.7:
	s_load_dwordx2 s[0:1], s[2:3], 0x0
	v_lshrrev_b32_e32 v8, 4, v10
	v_lshl_or_b32 v8, s4, 3, v8
	s_waitcnt lgkmcnt(0)
	v_cmp_gt_i32_e32 vcc, s0, v8
	s_and_b64 exec, exec, vcc
	s_cbranch_execz .LBB133_25
; %bb.8:
	s_load_dwordx8 s[4:11], s[2:3], 0x18
	v_ashrrev_i32_e32 v9, 31, v8
	s_cmp_lg_u32 s1, 0
	s_waitcnt lgkmcnt(0)
	v_lshl_add_u64 v[12:13], v[8:9], 2, s[4:5]
	global_load_dwordx2 v[12:13], v[12:13], off
	v_and_b32_e32 v9, 15, v10
	s_waitcnt vmcnt(0)
	v_subrev_u32_e32 v10, s16, v12
	v_subrev_u32_e32 v34, s16, v13
	v_add_u32_e32 v16, v10, v9
	v_cmp_lt_i32_e64 s[0:1], v16, v34
	s_cbranch_scc0 .LBB133_14
; %bb.9:
	v_mov_b64_e32 v[12:13], 0
	s_mov_b64 s[4:5], 0
	v_mov_b64_e32 v[22:23], v[12:13]
	v_mov_b64_e32 v[18:19], v[12:13]
	v_mov_b64_e32 v[10:11], v[12:13]
	v_mov_b64_e32 v[20:21], v[12:13]
	v_mov_b64_e32 v[14:15], v[12:13]
	s_and_saveexec_b64 s[12:13], s[0:1]
	s_cbranch_execz .LBB133_13
; %bb.10:
	v_mad_u64_u32 v[24:25], s[14:15], v16, 18, 17
	v_mov_b64_e32 v[12:13], 0
	s_mov_b64 s[14:15], 0
	v_mov_b32_e32 v27, 0
	v_mov_b32_e32 v28, v16
	v_mov_b64_e32 v[22:23], v[12:13]
	v_mov_b64_e32 v[18:19], v[12:13]
	;; [unrolled: 1-line block ×5, first 2 shown]
.LBB133_11:                             ; =>This Inner Loop Header: Depth=1
	v_ashrrev_i32_e32 v29, 31, v28
	v_subrev_u32_e32 v26, 17, v24
	v_lshl_add_u64 v[32:33], v[28:29], 2, s[6:7]
	v_lshl_add_u64 v[44:45], v[26:27], 4, s[8:9]
	global_load_dword v17, v[32:33], off
	global_load_dwordx4 v[36:39], v[44:45], off offset:16
	global_load_dwordx4 v[40:43], v[44:45], off
	v_add_u32_e32 v26, -15, v24
	v_mov_b32_e32 v25, v27
	v_lshl_add_u64 v[32:33], v[26:27], 4, s[8:9]
	v_add_u32_e32 v26, -14, v24
	v_lshl_add_u64 v[46:47], v[24:25], 4, s[8:9]
	v_lshl_add_u64 v[56:57], v[26:27], 4, s[8:9]
	v_add_u32_e32 v26, -13, v24
	global_load_dwordx4 v[44:47], v[46:47], off
	s_nop 0
	global_load_dwordx4 v[48:51], v[32:33], off
	global_load_dwordx4 v[52:55], v[56:57], off
	v_lshl_add_u64 v[32:33], v[26:27], 4, s[8:9]
	v_add_u32_e32 v26, -12, v24
	v_lshl_add_u64 v[64:65], v[26:27], 4, s[8:9]
	v_add_u32_e32 v26, -11, v24
	v_mov_b32_e32 v31, v27
	global_load_dwordx4 v[56:59], v[32:33], off
	global_load_dwordx4 v[60:63], v[64:65], off
	v_lshl_add_u64 v[32:33], v[26:27], 4, s[8:9]
	global_load_dwordx4 v[64:67], v[32:33], off
	v_add_u32_e32 v28, 16, v28
	v_cmp_ge_i32_e32 vcc, v28, v34
	s_or_b64 s[14:15], vcc, s[14:15]
	s_waitcnt vmcnt(8)
	v_subrev_u32_e32 v17, s16, v17
	v_mul_lo_u32 v30, v17, 6
	v_lshl_add_u64 v[32:33], v[30:31], 4, s[10:11]
	global_load_dwordx4 v[68:71], v[32:33], off
	global_load_dwordx4 v[72:75], v[32:33], off offset:16
	v_add_u32_e32 v26, 2, v30
	v_lshl_add_u64 v[32:33], v[26:27], 4, s[10:11]
	global_load_dwordx4 v[76:79], v[32:33], off
	global_load_dwordx4 v[80:83], v[32:33], off offset:16
	v_add_u32_e32 v26, -10, v24
	v_lshl_add_u64 v[32:33], v[26:27], 4, s[8:9]
	v_add_u32_e32 v26, -9, v24
	global_load_dwordx4 v[84:87], v[32:33], off
	v_lshl_add_u64 v[32:33], v[26:27], 4, s[8:9]
	v_add_u32_e32 v26, -8, v24
	s_waitcnt vmcnt(4)
	v_fmac_f64_e32 v[22:23], v[40:41], v[68:69]
	v_fmac_f64_e32 v[12:13], v[42:43], v[68:69]
	v_fma_f64 v[88:89], -v[42:43], v[70:71], v[22:23]
	v_lshl_add_u64 v[22:23], v[26:27], 4, s[8:9]
	v_add_u32_e32 v26, -7, v24
	v_fmac_f64_e32 v[20:21], v[36:37], v[68:69]
	v_fmac_f64_e32 v[12:13], v[40:41], v[70:71]
	global_load_dwordx4 v[40:43], v[32:33], off
	v_fma_f64 v[90:91], -v[38:39], v[70:71], v[20:21]
	global_load_dwordx4 v[20:23], v[22:23], off
	v_lshl_add_u64 v[32:33], v[26:27], 4, s[8:9]
	v_add_u32_e32 v26, -6, v24
	v_fmac_f64_e32 v[14:15], v[38:39], v[68:69]
	v_fmac_f64_e32 v[18:19], v[48:49], v[68:69]
	;; [unrolled: 1-line block ×3, first 2 shown]
	v_lshl_add_u64 v[68:69], v[26:27], 4, s[8:9]
	v_add_u32_e32 v26, -5, v24
	v_fmac_f64_e32 v[14:15], v[36:37], v[70:71]
	v_fma_f64 v[18:19], -v[50:51], v[70:71], v[18:19]
	v_fmac_f64_e32 v[10:11], v[48:49], v[70:71]
	v_lshl_add_u64 v[70:71], v[26:27], 4, s[8:9]
	v_add_u32_e32 v26, 4, v30
	global_load_dwordx4 v[36:39], v[32:33], off
	s_nop 0
	global_load_dwordx4 v[30:33], v[68:69], off
	global_load_dwordx4 v[48:51], v[70:71], off
	s_waitcnt vmcnt(8)
	v_fmac_f64_e32 v[12:13], v[54:55], v[72:73]
	v_lshl_add_u64 v[68:69], v[26:27], 4, s[10:11]
	v_add_u32_e32 v26, -4, v24
	v_fmac_f64_e32 v[88:89], v[52:53], v[72:73]
	v_fmac_f64_e32 v[12:13], v[52:53], v[74:75]
	;; [unrolled: 1-line block ×6, first 2 shown]
	v_lshl_add_u64 v[72:73], v[26:27], 4, s[8:9]
	v_add_u32_e32 v26, -3, v24
	v_fma_f64 v[88:89], -v[54:55], v[74:75], v[88:89]
	v_fma_f64 v[90:91], -v[58:59], v[74:75], v[90:91]
	v_fmac_f64_e32 v[14:15], v[56:57], v[74:75]
	v_fma_f64 v[18:19], -v[62:63], v[74:75], v[18:19]
	v_fmac_f64_e32 v[10:11], v[60:61], v[74:75]
	v_lshl_add_u64 v[74:75], v[26:27], 4, s[8:9]
	v_add_u32_e32 v26, -2, v24
	s_waitcnt vmcnt(7)
	v_fmac_f64_e32 v[12:13], v[66:67], v[76:77]
	global_load_dwordx4 v[52:55], v[68:69], off offset:16
	global_load_dwordx4 v[56:59], v[68:69], off
	global_load_dwordx4 v[60:63], v[72:73], off
	s_nop 0
	global_load_dwordx4 v[68:71], v[74:75], off
	v_fmac_f64_e32 v[88:89], v[64:65], v[76:77]
	v_fmac_f64_e32 v[12:13], v[64:65], v[78:79]
	v_lshl_add_u64 v[64:65], v[26:27], 4, s[8:9]
	v_add_u32_e32 v26, -1, v24
	v_lshl_add_u64 v[72:73], v[26:27], 4, s[8:9]
	v_fma_f64 v[88:89], -v[66:67], v[78:79], v[88:89]
	global_load_dwordx4 v[64:67], v[64:65], off
	s_waitcnt vmcnt(10)
	v_fmac_f64_e32 v[90:91], v[84:85], v[76:77]
	global_load_dwordx4 v[72:75], v[72:73], off
	v_fmac_f64_e32 v[14:15], v[86:87], v[76:77]
	v_fma_f64 v[86:87], -v[86:87], v[78:79], v[90:91]
	v_fmac_f64_e32 v[14:15], v[84:85], v[78:79]
	v_add_u32_e32 v24, 0x120, v24
	s_waitcnt vmcnt(10)
	v_fmac_f64_e32 v[18:19], v[40:41], v[76:77]
	v_fmac_f64_e32 v[10:11], v[42:43], v[76:77]
	v_fma_f64 v[18:19], -v[42:43], v[78:79], v[18:19]
	v_fmac_f64_e32 v[10:11], v[40:41], v[78:79]
	s_waitcnt vmcnt(9)
	v_fmac_f64_e32 v[88:89], v[20:21], v[80:81]
	v_fmac_f64_e32 v[12:13], v[22:23], v[80:81]
	v_fma_f64 v[22:23], -v[22:23], v[82:83], v[88:89]
	v_fmac_f64_e32 v[12:13], v[20:21], v[82:83]
	s_waitcnt vmcnt(8)
	v_fmac_f64_e32 v[86:87], v[36:37], v[80:81]
	v_fmac_f64_e32 v[14:15], v[38:39], v[80:81]
	s_waitcnt vmcnt(7)
	v_fmac_f64_e32 v[18:19], v[30:31], v[80:81]
	v_fmac_f64_e32 v[10:11], v[32:33], v[80:81]
	v_fma_f64 v[20:21], -v[38:39], v[82:83], v[86:87]
	v_fmac_f64_e32 v[14:15], v[36:37], v[82:83]
	v_fma_f64 v[18:19], -v[32:33], v[82:83], v[18:19]
	v_fmac_f64_e32 v[10:11], v[30:31], v[82:83]
	s_waitcnt vmcnt(4)
	v_fmac_f64_e32 v[22:23], v[48:49], v[56:57]
	v_fmac_f64_e32 v[12:13], v[50:51], v[56:57]
	s_waitcnt vmcnt(3)
	v_fmac_f64_e32 v[20:21], v[60:61], v[56:57]
	;; [unrolled: 3-line block ×3, first 2 shown]
	v_fmac_f64_e32 v[10:11], v[70:71], v[56:57]
	v_fma_f64 v[22:23], -v[50:51], v[58:59], v[22:23]
	v_fmac_f64_e32 v[12:13], v[48:49], v[58:59]
	v_fma_f64 v[20:21], -v[62:63], v[58:59], v[20:21]
	;; [unrolled: 2-line block ×3, first 2 shown]
	v_fmac_f64_e32 v[10:11], v[68:69], v[58:59]
	s_waitcnt vmcnt(1)
	v_fmac_f64_e32 v[22:23], v[64:65], v[52:53]
	v_fmac_f64_e32 v[12:13], v[66:67], v[52:53]
	s_waitcnt vmcnt(0)
	v_fmac_f64_e32 v[20:21], v[72:73], v[52:53]
	v_fmac_f64_e32 v[14:15], v[74:75], v[52:53]
	;; [unrolled: 1-line block ×4, first 2 shown]
	v_fma_f64 v[22:23], -v[66:67], v[54:55], v[22:23]
	v_fmac_f64_e32 v[12:13], v[64:65], v[54:55]
	v_fma_f64 v[20:21], -v[74:75], v[54:55], v[20:21]
	v_fmac_f64_e32 v[14:15], v[72:73], v[54:55]
	;; [unrolled: 2-line block ×3, first 2 shown]
	s_andn2_b64 exec, exec, s[14:15]
	s_cbranch_execnz .LBB133_11
; %bb.12:
	s_or_b64 exec, exec, s[14:15]
.LBB133_13:
	s_or_b64 exec, exec, s[12:13]
	s_andn2_b64 vcc, exec, s[4:5]
	s_cbranch_vccz .LBB133_15
	s_branch .LBB133_20
.LBB133_14:
                                        ; implicit-def: $vgpr12_vgpr13
                                        ; implicit-def: $vgpr22_vgpr23
                                        ; implicit-def: $vgpr18_vgpr19
                                        ; implicit-def: $vgpr10_vgpr11
                                        ; implicit-def: $vgpr20_vgpr21
                                        ; implicit-def: $vgpr14_vgpr15
.LBB133_15:
	v_mov_b64_e32 v[12:13], 0
	v_mov_b64_e32 v[22:23], v[12:13]
	;; [unrolled: 1-line block ×6, first 2 shown]
	s_and_saveexec_b64 s[4:5], s[0:1]
	s_cbranch_execz .LBB133_19
; %bb.16:
	v_mad_u64_u32 v[24:25], s[0:1], v16, 18, 17
	v_mov_b64_e32 v[12:13], 0
	s_mov_b64 s[0:1], 0
	v_mov_b32_e32 v27, 0
	v_mov_b64_e32 v[22:23], v[12:13]
	v_mov_b64_e32 v[18:19], v[12:13]
	;; [unrolled: 1-line block ×5, first 2 shown]
.LBB133_17:                             ; =>This Inner Loop Header: Depth=1
	v_ashrrev_i32_e32 v17, 31, v16
	v_subrev_u32_e32 v26, 17, v24
	v_add_u32_e32 v32, -11, v24
	v_add_u32_e32 v30, -5, v24
	v_mov_b32_e32 v33, v27
	v_mov_b32_e32 v31, v27
	v_lshl_add_u64 v[48:49], v[16:17], 2, s[6:7]
	v_lshl_add_u64 v[50:51], v[26:27], 4, s[8:9]
	;; [unrolled: 1-line block ×4, first 2 shown]
	global_load_dword v17, v[48:49], off
	global_load_dwordx4 v[30:33], v[50:51], off offset:16
	global_load_dwordx4 v[36:39], v[50:51], off
	global_load_dwordx4 v[40:43], v[52:53], off
	;; [unrolled: 1-line block ×3, first 2 shown]
	v_add_u32_e32 v26, -10, v24
	v_mov_b32_e32 v25, v27
	v_lshl_add_u64 v[60:61], v[26:27], 4, s[8:9]
	v_add_u32_e32 v26, -4, v24
	v_mov_b32_e32 v29, v27
	v_lshl_add_u64 v[56:57], v[24:25], 4, s[8:9]
	v_lshl_add_u64 v[62:63], v[26:27], 4, s[8:9]
	v_add_u32_e32 v26, -15, v24
	global_load_dwordx4 v[48:51], v[56:57], off
	global_load_dwordx4 v[52:55], v[60:61], off
	s_nop 0
	global_load_dwordx4 v[56:59], v[62:63], off
	v_lshl_add_u64 v[60:61], v[26:27], 4, s[8:9]
	global_load_dwordx4 v[60:63], v[60:61], off
	v_add_u32_e32 v16, 16, v16
	v_cmp_ge_i32_e32 vcc, v16, v34
	s_or_b64 s[0:1], vcc, s[0:1]
	s_waitcnt vmcnt(8)
	v_subrev_u32_e32 v17, s16, v17
	v_mul_lo_u32 v28, v17, 6
	v_lshl_add_u64 v[72:73], v[28:29], 4, s[10:11]
	global_load_dwordx4 v[64:67], v[72:73], off
	global_load_dwordx4 v[68:71], v[72:73], off offset:16
	v_add_u32_e32 v26, 2, v28
	v_lshl_add_u64 v[76:77], v[26:27], 4, s[10:11]
	v_add_u32_e32 v26, -9, v24
	global_load_dwordx4 v[72:75], v[76:77], off
	s_waitcnt vmcnt(2)
	v_fmac_f64_e32 v[22:23], v[36:37], v[64:65]
	v_fma_f64 v[78:79], -v[38:39], v[66:67], v[22:23]
	v_lshl_add_u64 v[22:23], v[26:27], 4, s[8:9]
	v_add_u32_e32 v26, -3, v24
	v_fmac_f64_e32 v[14:15], v[42:43], v[64:65]
	v_fmac_f64_e32 v[12:13], v[38:39], v[64:65]
	;; [unrolled: 1-line block ×4, first 2 shown]
	v_lshl_add_u64 v[40:41], v[26:27], 4, s[8:9]
	v_fmac_f64_e32 v[12:13], v[36:37], v[66:67]
	global_load_dwordx4 v[36:39], v[76:77], off offset:16
	v_fma_f64 v[76:77], -v[42:43], v[66:67], v[20:21]
	global_load_dwordx4 v[20:23], v[22:23], off
	v_add_u32_e32 v26, -14, v24
	global_load_dwordx4 v[40:43], v[40:41], off
	v_fmac_f64_e32 v[10:11], v[46:47], v[64:65]
	v_fmac_f64_e32 v[18:19], v[44:45], v[64:65]
	;; [unrolled: 1-line block ×3, first 2 shown]
	v_lshl_add_u64 v[44:45], v[26:27], 4, s[8:9]
	v_add_u32_e32 v26, -8, v24
	v_lshl_add_u64 v[64:65], v[26:27], 4, s[8:9]
	v_add_u32_e32 v26, -2, v24
	s_waitcnt vmcnt(4)
	v_fmac_f64_e32 v[78:79], v[30:31], v[68:69]
	v_fma_f64 v[18:19], -v[46:47], v[66:67], v[18:19]
	v_fmac_f64_e32 v[12:13], v[32:33], v[68:69]
	v_fma_f64 v[32:33], -v[32:33], v[70:71], v[78:79]
	v_lshl_add_u64 v[78:79], v[26:27], 4, s[8:9]
	v_add_u32_e32 v26, -13, v24
	v_lshl_add_u64 v[80:81], v[26:27], 4, s[8:9]
	v_add_u32_e32 v26, 4, v28
	v_fmac_f64_e32 v[76:77], v[52:53], v[68:69]
	v_fmac_f64_e32 v[14:15], v[54:55], v[68:69]
	;; [unrolled: 1-line block ×3, first 2 shown]
	global_load_dwordx4 v[44:47], v[44:45], off
	v_fmac_f64_e32 v[12:13], v[30:31], v[70:71]
	global_load_dwordx4 v[28:31], v[64:65], off
	v_fma_f64 v[76:77], -v[54:55], v[70:71], v[76:77]
	v_fmac_f64_e32 v[14:15], v[52:53], v[70:71]
	global_load_dwordx4 v[52:55], v[78:79], off
	global_load_dwordx4 v[64:67], v[80:81], off
	v_fmac_f64_e32 v[10:11], v[58:59], v[68:69]
	v_fma_f64 v[78:79], -v[58:59], v[70:71], v[18:19]
	v_lshl_add_u64 v[18:19], v[26:27], 4, s[10:11]
	v_add_u32_e32 v26, -7, v24
	v_fmac_f64_e32 v[10:11], v[56:57], v[70:71]
	v_lshl_add_u64 v[80:81], v[26:27], 4, s[8:9]
	v_add_u32_e32 v26, -1, v24
	s_waitcnt vmcnt(7)
	v_fmac_f64_e32 v[32:33], v[60:61], v[72:73]
	v_fmac_f64_e32 v[12:13], v[62:63], v[72:73]
	v_lshl_add_u64 v[82:83], v[26:27], 4, s[8:9]
	v_add_u32_e32 v26, -12, v24
	global_load_dwordx4 v[56:59], v[18:19], off offset:16
	global_load_dwordx4 v[68:71], v[18:19], off
	v_fma_f64 v[32:33], -v[62:63], v[74:75], v[32:33]
	v_fmac_f64_e32 v[12:13], v[60:61], v[74:75]
	s_waitcnt vmcnt(7)
	v_fmac_f64_e32 v[14:15], v[22:23], v[72:73]
	v_fmac_f64_e32 v[76:77], v[20:21], v[72:73]
	s_waitcnt vmcnt(6)
	v_fmac_f64_e32 v[10:11], v[42:43], v[72:73]
	v_fmac_f64_e32 v[14:15], v[20:21], v[74:75]
	global_load_dwordx4 v[18:21], v[80:81], off
	global_load_dwordx4 v[60:63], v[82:83], off
	v_fmac_f64_e32 v[78:79], v[40:41], v[72:73]
	v_fmac_f64_e32 v[10:11], v[40:41], v[74:75]
	v_lshl_add_u64 v[40:41], v[26:27], 4, s[8:9]
	v_add_u32_e32 v26, -6, v24
	v_lshl_add_u64 v[72:73], v[26:27], 4, s[8:9]
	v_fma_f64 v[22:23], -v[22:23], v[74:75], v[76:77]
	v_fma_f64 v[76:77], -v[42:43], v[74:75], v[78:79]
	global_load_dwordx4 v[40:43], v[40:41], off
	v_add_u32_e32 v24, 0x120, v24
	global_load_dwordx4 v[72:75], v[72:73], off
	s_waitcnt vmcnt(9)
	v_fmac_f64_e32 v[32:33], v[44:45], v[36:37]
	v_fmac_f64_e32 v[12:13], v[46:47], v[36:37]
	s_waitcnt vmcnt(8)
	v_fmac_f64_e32 v[22:23], v[28:29], v[36:37]
	v_fmac_f64_e32 v[14:15], v[30:31], v[36:37]
	;; [unrolled: 3-line block ×3, first 2 shown]
	v_fma_f64 v[32:33], -v[46:47], v[38:39], v[32:33]
	v_fmac_f64_e32 v[12:13], v[44:45], v[38:39]
	v_fma_f64 v[22:23], -v[30:31], v[38:39], v[22:23]
	v_fmac_f64_e32 v[14:15], v[28:29], v[38:39]
	;; [unrolled: 2-line block ×3, first 2 shown]
	s_waitcnt vmcnt(4)
	v_fmac_f64_e32 v[32:33], v[64:65], v[68:69]
	v_fmac_f64_e32 v[12:13], v[66:67], v[68:69]
	v_fma_f64 v[30:31], -v[66:67], v[70:71], v[32:33]
	v_fmac_f64_e32 v[12:13], v[64:65], v[70:71]
	s_waitcnt vmcnt(3)
	v_fmac_f64_e32 v[22:23], v[18:19], v[68:69]
	v_fmac_f64_e32 v[14:15], v[20:21], v[68:69]
	s_waitcnt vmcnt(2)
	v_fmac_f64_e32 v[28:29], v[60:61], v[68:69]
	v_fmac_f64_e32 v[10:11], v[62:63], v[68:69]
	v_fma_f64 v[20:21], -v[20:21], v[70:71], v[22:23]
	v_fmac_f64_e32 v[14:15], v[18:19], v[70:71]
	v_fma_f64 v[18:19], -v[62:63], v[70:71], v[28:29]
	v_fmac_f64_e32 v[10:11], v[60:61], v[70:71]
	v_fmac_f64_e32 v[18:19], v[48:49], v[56:57]
	s_waitcnt vmcnt(1)
	v_fmac_f64_e32 v[30:31], v[40:41], v[56:57]
	v_fmac_f64_e32 v[12:13], v[42:43], v[56:57]
	s_waitcnt vmcnt(0)
	v_fmac_f64_e32 v[20:21], v[72:73], v[56:57]
	v_fmac_f64_e32 v[14:15], v[74:75], v[56:57]
	;; [unrolled: 1-line block ×3, first 2 shown]
	v_fma_f64 v[22:23], -v[42:43], v[58:59], v[30:31]
	v_fmac_f64_e32 v[12:13], v[40:41], v[58:59]
	v_fma_f64 v[20:21], -v[74:75], v[58:59], v[20:21]
	v_fmac_f64_e32 v[14:15], v[72:73], v[58:59]
	;; [unrolled: 2-line block ×3, first 2 shown]
	s_andn2_b64 exec, exec, s[0:1]
	s_cbranch_execnz .LBB133_17
; %bb.18:
	s_or_b64 exec, exec, s[0:1]
.LBB133_19:
	s_or_b64 exec, exec, s[4:5]
.LBB133_20:
	v_mov_b32_dpp v26, v20 row_shr:1 row_mask:0xf bank_mask:0xf
	v_mov_b32_dpp v27, v21 row_shr:1 row_mask:0xf bank_mask:0xf
	v_add_f64 v[20:21], v[20:21], v[26:27]
	v_mov_b32_dpp v16, v22 row_shr:1 row_mask:0xf bank_mask:0xf
	v_mov_b32_dpp v17, v23 row_shr:1 row_mask:0xf bank_mask:0xf
	v_mov_b32_dpp v26, v20 row_shr:2 row_mask:0xf bank_mask:0xf
	v_mov_b32_dpp v27, v21 row_shr:2 row_mask:0xf bank_mask:0xf
	v_add_f64 v[20:21], v[20:21], v[26:27]
	v_mov_b32_dpp v24, v12 row_shr:1 row_mask:0xf bank_mask:0xf
	v_mov_b32_dpp v25, v13 row_shr:1 row_mask:0xf bank_mask:0xf
	;; [unrolled: 5-line block ×3, first 2 shown]
	v_add_f64 v[14:15], v[14:15], v[20:21]
	v_add_f64 v[16:17], v[22:23], v[16:17]
	v_add_f64 v[12:13], v[12:13], v[24:25]
	v_mov_b32_dpp v20, v14 row_shr:2 row_mask:0xf bank_mask:0xf
	v_mov_b32_dpp v21, v15 row_shr:2 row_mask:0xf bank_mask:0xf
	v_add_f64 v[14:15], v[14:15], v[20:21]
	v_mov_b32_dpp v22, v16 row_shr:2 row_mask:0xf bank_mask:0xf
	v_mov_b32_dpp v23, v17 row_shr:2 row_mask:0xf bank_mask:0xf
	v_mov_b32_dpp v20, v14 row_shr:4 row_mask:0xf bank_mask:0xe
	v_mov_b32_dpp v21, v15 row_shr:4 row_mask:0xf bank_mask:0xe
	v_add_f64 v[14:15], v[14:15], v[20:21]
	v_mov_b32_dpp v20, v18 row_shr:1 row_mask:0xf bank_mask:0xf
	v_mov_b32_dpp v21, v19 row_shr:1 row_mask:0xf bank_mask:0xf
	v_add_f64 v[18:19], v[18:19], v[20:21]
	v_mov_b32_dpp v24, v12 row_shr:2 row_mask:0xf bank_mask:0xf
	v_mov_b32_dpp v25, v13 row_shr:2 row_mask:0xf bank_mask:0xf
	;; [unrolled: 1-line block ×4, first 2 shown]
	v_add_f64 v[18:19], v[18:19], v[20:21]
	v_add_f64 v[16:17], v[16:17], v[22:23]
	;; [unrolled: 1-line block ×3, first 2 shown]
	v_mov_b32_dpp v20, v18 row_shr:4 row_mask:0xf bank_mask:0xe
	v_mov_b32_dpp v21, v19 row_shr:4 row_mask:0xf bank_mask:0xe
	v_add_f64 v[32:33], v[18:19], v[20:21]
	v_mov_b32_dpp v18, v10 row_shr:1 row_mask:0xf bank_mask:0xf
	v_mov_b32_dpp v19, v11 row_shr:1 row_mask:0xf bank_mask:0xf
	v_add_f64 v[10:11], v[10:11], v[18:19]
	v_mov_b32_dpp v22, v16 row_shr:4 row_mask:0xf bank_mask:0xe
	v_mov_b32_dpp v23, v17 row_shr:4 row_mask:0xf bank_mask:0xe
	;; [unrolled: 1-line block ×4, first 2 shown]
	v_add_f64 v[10:11], v[10:11], v[18:19]
	v_mov_b32_dpp v24, v12 row_shr:4 row_mask:0xf bank_mask:0xe
	v_mov_b32_dpp v25, v13 row_shr:4 row_mask:0xf bank_mask:0xe
	v_mov_b32_dpp v18, v10 row_shr:4 row_mask:0xf bank_mask:0xe
	v_mov_b32_dpp v19, v11 row_shr:4 row_mask:0xf bank_mask:0xe
	v_add_f64 v[16:17], v[16:17], v[22:23]
	v_add_f64 v[12:13], v[12:13], v[24:25]
	v_add_f64 v[36:37], v[10:11], v[18:19]
	v_mov_b32_dpp v22, v16 row_shr:8 row_mask:0xf bank_mask:0xc
	v_mov_b32_dpp v23, v17 row_shr:8 row_mask:0xf bank_mask:0xc
	;; [unrolled: 1-line block ×12, first 2 shown]
	v_cmp_eq_u32_e32 vcc, 15, v9
	s_and_b64 exec, exec, vcc
	s_cbranch_execz .LBB133_25
; %bb.21:
	s_load_dwordx2 s[2:3], s[2:3], 0x48
	v_cmp_eq_f64_e32 vcc, 0, v[4:5]
	v_cmp_eq_f64_e64 s[0:1], 0, v[6:7]
	v_add_f64 v[16:17], v[16:17], v[22:23]
	v_add_f64 v[20:21], v[12:13], v[24:25]
	;; [unrolled: 1-line block ×6, first 2 shown]
	s_and_b64 s[0:1], vcc, s[0:1]
	s_and_saveexec_b64 s[4:5], s[0:1]
	s_xor_b64 s[0:1], exec, s[4:5]
	s_cbranch_execz .LBB133_23
; %bb.22:
	v_lshl_add_u32 v8, v8, 1, v8
	v_mul_f64 v[4:5], v[20:21], -v[2:3]
	v_mul_f64 v[6:7], v[0:1], v[20:21]
	v_ashrrev_i32_e32 v9, 31, v8
	v_fmac_f64_e32 v[4:5], v[0:1], v[16:17]
	v_fmac_f64_e32 v[6:7], v[2:3], v[16:17]
	s_waitcnt lgkmcnt(0)
	v_lshl_add_u64 v[8:9], v[8:9], 4, s[2:3]
	global_store_dwordx4 v[8:9], v[4:7], off
                                        ; implicit-def: $vgpr16_vgpr17
                                        ; implicit-def: $vgpr20_vgpr21
	s_nop 1
	v_mul_f64 v[4:5], v[18:19], -v[2:3]
	v_mul_f64 v[6:7], v[0:1], v[18:19]
	v_fmac_f64_e32 v[4:5], v[0:1], v[12:13]
	v_fmac_f64_e32 v[6:7], v[2:3], v[12:13]
	global_store_dwordx4 v[8:9], v[4:7], off offset:16
                                        ; implicit-def: $vgpr12_vgpr13
                                        ; implicit-def: $vgpr18_vgpr19
	s_nop 1
	v_mul_f64 v[4:5], v[14:15], -v[2:3]
	v_mul_f64 v[6:7], v[0:1], v[14:15]
	v_fmac_f64_e32 v[4:5], v[0:1], v[10:11]
	v_fmac_f64_e32 v[6:7], v[2:3], v[10:11]
	global_store_dwordx4 v[8:9], v[4:7], off offset:32
                                        ; implicit-def: $vgpr0_vgpr1
                                        ; implicit-def: $vgpr2_vgpr3
                                        ; implicit-def: $vgpr4_vgpr5
                                        ; implicit-def: $vgpr6_vgpr7
                                        ; implicit-def: $vgpr8
                                        ; implicit-def: $vgpr10_vgpr11
                                        ; implicit-def: $vgpr14_vgpr15
.LBB133_23:
	s_andn2_saveexec_b64 s[0:1], s[0:1]
	s_cbranch_execz .LBB133_25
; %bb.24:
	v_lshl_add_u32 v8, v8, 1, v8
	v_ashrrev_i32_e32 v9, 31, v8
	s_waitcnt lgkmcnt(0)
	v_lshl_add_u64 v[38:39], v[8:9], 4, s[2:3]
	global_load_dwordx4 v[22:25], v[38:39], off
	global_load_dwordx4 v[26:29], v[38:39], off offset:16
	global_load_dwordx4 v[30:33], v[38:39], off offset:32
	v_mul_f64 v[34:35], v[20:21], -v[2:3]
	v_mul_f64 v[20:21], v[0:1], v[20:21]
	v_mul_f64 v[40:41], v[18:19], -v[2:3]
	v_mul_f64 v[36:37], v[0:1], v[18:19]
	;; [unrolled: 2-line block ×3, first 2 shown]
	v_fmac_f64_e32 v[34:35], v[0:1], v[16:17]
	v_fmac_f64_e32 v[20:21], v[2:3], v[16:17]
	;; [unrolled: 1-line block ×6, first 2 shown]
	s_waitcnt vmcnt(2)
	v_fmac_f64_e32 v[34:35], v[4:5], v[22:23]
	v_fmac_f64_e32 v[20:21], v[6:7], v[22:23]
	s_waitcnt vmcnt(1)
	v_fmac_f64_e32 v[40:41], v[4:5], v[26:27]
	v_fmac_f64_e32 v[36:37], v[6:7], v[26:27]
	;; [unrolled: 3-line block ×3, first 2 shown]
	v_fma_f64 v[18:19], -v[6:7], v[24:25], v[34:35]
	v_fmac_f64_e32 v[20:21], v[4:5], v[24:25]
	v_fma_f64 v[34:35], -v[6:7], v[28:29], v[40:41]
	v_fmac_f64_e32 v[36:37], v[4:5], v[28:29]
	v_fma_f64 v[6:7], -v[6:7], v[32:33], v[42:43]
	v_fmac_f64_e32 v[8:9], v[4:5], v[32:33]
	global_store_dwordx4 v[38:39], v[18:21], off
	global_store_dwordx4 v[38:39], v[34:37], off offset:16
	global_store_dwordx4 v[38:39], v[6:9], off offset:32
.LBB133_25:
	s_endpgm
	.section	.rodata,"a",@progbits
	.p2align	6, 0x0
	.amdhsa_kernel _ZN9rocsparseL19gebsrmvn_3xn_kernelILj128ELj6ELj16E21rocsparse_complex_numIdEEEvi20rocsparse_direction_NS_24const_host_device_scalarIT2_EEPKiS8_PKS5_SA_S6_PS5_21rocsparse_index_base_b
		.amdhsa_group_segment_fixed_size 2048
		.amdhsa_private_segment_fixed_size 0
		.amdhsa_kernarg_size 88
		.amdhsa_user_sgpr_count 4
		.amdhsa_user_sgpr_dispatch_ptr 1
		.amdhsa_user_sgpr_queue_ptr 0
		.amdhsa_user_sgpr_kernarg_segment_ptr 1
		.amdhsa_user_sgpr_dispatch_id 0
		.amdhsa_user_sgpr_kernarg_preload_length 0
		.amdhsa_user_sgpr_kernarg_preload_offset 0
		.amdhsa_user_sgpr_private_segment_size 0
		.amdhsa_uses_dynamic_stack 0
		.amdhsa_enable_private_segment 0
		.amdhsa_system_sgpr_workgroup_id_x 1
		.amdhsa_system_sgpr_workgroup_id_y 0
		.amdhsa_system_sgpr_workgroup_id_z 0
		.amdhsa_system_sgpr_workgroup_info 0
		.amdhsa_system_vgpr_workitem_id 2
		.amdhsa_next_free_vgpr 92
		.amdhsa_next_free_sgpr 20
		.amdhsa_accum_offset 92
		.amdhsa_reserve_vcc 1
		.amdhsa_float_round_mode_32 0
		.amdhsa_float_round_mode_16_64 0
		.amdhsa_float_denorm_mode_32 3
		.amdhsa_float_denorm_mode_16_64 3
		.amdhsa_dx10_clamp 1
		.amdhsa_ieee_mode 1
		.amdhsa_fp16_overflow 0
		.amdhsa_tg_split 0
		.amdhsa_exception_fp_ieee_invalid_op 0
		.amdhsa_exception_fp_denorm_src 0
		.amdhsa_exception_fp_ieee_div_zero 0
		.amdhsa_exception_fp_ieee_overflow 0
		.amdhsa_exception_fp_ieee_underflow 0
		.amdhsa_exception_fp_ieee_inexact 0
		.amdhsa_exception_int_div_zero 0
	.end_amdhsa_kernel
	.section	.text._ZN9rocsparseL19gebsrmvn_3xn_kernelILj128ELj6ELj16E21rocsparse_complex_numIdEEEvi20rocsparse_direction_NS_24const_host_device_scalarIT2_EEPKiS8_PKS5_SA_S6_PS5_21rocsparse_index_base_b,"axG",@progbits,_ZN9rocsparseL19gebsrmvn_3xn_kernelILj128ELj6ELj16E21rocsparse_complex_numIdEEEvi20rocsparse_direction_NS_24const_host_device_scalarIT2_EEPKiS8_PKS5_SA_S6_PS5_21rocsparse_index_base_b,comdat
.Lfunc_end133:
	.size	_ZN9rocsparseL19gebsrmvn_3xn_kernelILj128ELj6ELj16E21rocsparse_complex_numIdEEEvi20rocsparse_direction_NS_24const_host_device_scalarIT2_EEPKiS8_PKS5_SA_S6_PS5_21rocsparse_index_base_b, .Lfunc_end133-_ZN9rocsparseL19gebsrmvn_3xn_kernelILj128ELj6ELj16E21rocsparse_complex_numIdEEEvi20rocsparse_direction_NS_24const_host_device_scalarIT2_EEPKiS8_PKS5_SA_S6_PS5_21rocsparse_index_base_b
                                        ; -- End function
	.section	.AMDGPU.csdata,"",@progbits
; Kernel info:
; codeLenInByte = 3400
; NumSgprs: 26
; NumVgprs: 92
; NumAgprs: 0
; TotalNumVgprs: 92
; ScratchSize: 0
; MemoryBound: 0
; FloatMode: 240
; IeeeMode: 1
; LDSByteSize: 2048 bytes/workgroup (compile time only)
; SGPRBlocks: 3
; VGPRBlocks: 11
; NumSGPRsForWavesPerEU: 26
; NumVGPRsForWavesPerEU: 92
; AccumOffset: 92
; Occupancy: 5
; WaveLimiterHint : 1
; COMPUTE_PGM_RSRC2:SCRATCH_EN: 0
; COMPUTE_PGM_RSRC2:USER_SGPR: 4
; COMPUTE_PGM_RSRC2:TRAP_HANDLER: 0
; COMPUTE_PGM_RSRC2:TGID_X_EN: 1
; COMPUTE_PGM_RSRC2:TGID_Y_EN: 0
; COMPUTE_PGM_RSRC2:TGID_Z_EN: 0
; COMPUTE_PGM_RSRC2:TIDIG_COMP_CNT: 2
; COMPUTE_PGM_RSRC3_GFX90A:ACCUM_OFFSET: 22
; COMPUTE_PGM_RSRC3_GFX90A:TG_SPLIT: 0
	.section	.text._ZN9rocsparseL19gebsrmvn_3xn_kernelILj128ELj6ELj32E21rocsparse_complex_numIdEEEvi20rocsparse_direction_NS_24const_host_device_scalarIT2_EEPKiS8_PKS5_SA_S6_PS5_21rocsparse_index_base_b,"axG",@progbits,_ZN9rocsparseL19gebsrmvn_3xn_kernelILj128ELj6ELj32E21rocsparse_complex_numIdEEEvi20rocsparse_direction_NS_24const_host_device_scalarIT2_EEPKiS8_PKS5_SA_S6_PS5_21rocsparse_index_base_b,comdat
	.globl	_ZN9rocsparseL19gebsrmvn_3xn_kernelILj128ELj6ELj32E21rocsparse_complex_numIdEEEvi20rocsparse_direction_NS_24const_host_device_scalarIT2_EEPKiS8_PKS5_SA_S6_PS5_21rocsparse_index_base_b ; -- Begin function _ZN9rocsparseL19gebsrmvn_3xn_kernelILj128ELj6ELj32E21rocsparse_complex_numIdEEEvi20rocsparse_direction_NS_24const_host_device_scalarIT2_EEPKiS8_PKS5_SA_S6_PS5_21rocsparse_index_base_b
	.p2align	8
	.type	_ZN9rocsparseL19gebsrmvn_3xn_kernelILj128ELj6ELj32E21rocsparse_complex_numIdEEEvi20rocsparse_direction_NS_24const_host_device_scalarIT2_EEPKiS8_PKS5_SA_S6_PS5_21rocsparse_index_base_b,@function
_ZN9rocsparseL19gebsrmvn_3xn_kernelILj128ELj6ELj32E21rocsparse_complex_numIdEEEvi20rocsparse_direction_NS_24const_host_device_scalarIT2_EEPKiS8_PKS5_SA_S6_PS5_21rocsparse_index_base_b: ; @_ZN9rocsparseL19gebsrmvn_3xn_kernelILj128ELj6ELj32E21rocsparse_complex_numIdEEEvi20rocsparse_direction_NS_24const_host_device_scalarIT2_EEPKiS8_PKS5_SA_S6_PS5_21rocsparse_index_base_b
; %bb.0:
	s_load_dwordx2 s[16:17], s[2:3], 0x50
	s_load_dwordx4 s[12:15], s[2:3], 0x8
	s_load_dwordx4 s[8:11], s[2:3], 0x38
	s_load_dwordx2 s[18:19], s[0:1], 0x4
	s_mov_b64 s[6:7], src_shared_base
	s_waitcnt lgkmcnt(0)
	s_bitcmp1_b32 s17, 0
	s_cselect_b64 s[0:1], -1, 0
	s_and_b64 vcc, s[0:1], exec
	s_cselect_b32 s5, s7, s13
	s_lshr_b32 s6, s18, 16
	v_bfe_u32 v1, v0, 10, 10
	v_and_b32_e32 v10, 0x3ff, v0
	s_mul_i32 s6, s6, s19
	v_mul_u32_u24_e32 v1, s19, v1
	v_mad_u32_u24 v1, s6, v10, v1
	v_bfe_u32 v0, v0, 20, 10
	v_add_lshl_u32 v4, v1, v0, 3
	v_mov_b32_e32 v5, s12
	v_add_u32_e32 v6, 0x400, v4
	v_mov_b64_e32 v[0:1], s[12:13]
	v_mov_b64_e32 v[2:3], s[8:9]
	ds_write2st64_b64 v4, v[2:3], v[0:1] offset1:2
	v_cndmask_b32_e64 v0, v5, v6, s[0:1]
	v_mov_b32_e32 v1, s5
	flat_load_dwordx2 v[0:1], v[0:1]
	s_xor_b64 s[18:19], s[0:1], -1
	v_mov_b64_e32 v[2:3], s[14:15]
	s_cbranch_vccnz .LBB134_2
; %bb.1:
	v_mov_b64_e32 v[2:3], s[12:13]
	flat_load_dwordx2 v[2:3], v[2:3] offset:8
.LBB134_2:
	s_and_b64 s[12:13], s[0:1], exec
	s_cselect_b32 s5, s7, s9
	v_mov_b32_e32 v5, s8
	v_cndmask_b32_e64 v4, v5, v4, s[0:1]
	v_mov_b32_e32 v5, s5
	flat_load_dwordx2 v[4:5], v[4:5]
	s_andn2_b64 vcc, exec, s[18:19]
	v_mov_b64_e32 v[6:7], s[10:11]
	s_cbranch_vccnz .LBB134_4
; %bb.3:
	v_mov_b64_e32 v[6:7], s[8:9]
	flat_load_dwordx2 v[6:7], v[6:7] offset:8
.LBB134_4:
	s_waitcnt vmcnt(0) lgkmcnt(0)
	v_cmp_eq_f64_e32 vcc, 0, v[0:1]
	v_cmp_eq_f64_e64 s[0:1], 0, v[2:3]
	s_and_b64 s[8:9], vcc, s[0:1]
	s_mov_b64 s[0:1], -1
	s_and_saveexec_b64 s[6:7], s[8:9]
; %bb.5:
	v_cmp_neq_f64_e32 vcc, 1.0, v[4:5]
	v_cmp_neq_f64_e64 s[0:1], 0, v[6:7]
	s_or_b64 s[0:1], vcc, s[0:1]
	s_orn2_b64 s[0:1], s[0:1], exec
; %bb.6:
	s_or_b64 exec, exec, s[6:7]
	s_and_saveexec_b64 s[6:7], s[0:1]
	s_cbranch_execz .LBB134_25
; %bb.7:
	s_load_dwordx2 s[0:1], s[2:3], 0x0
	v_lshrrev_b32_e32 v8, 5, v10
	v_lshl_or_b32 v8, s4, 2, v8
	s_waitcnt lgkmcnt(0)
	v_cmp_gt_i32_e32 vcc, s0, v8
	s_and_b64 exec, exec, vcc
	s_cbranch_execz .LBB134_25
; %bb.8:
	s_load_dwordx8 s[4:11], s[2:3], 0x18
	v_ashrrev_i32_e32 v9, 31, v8
	s_cmp_lg_u32 s1, 0
	s_waitcnt lgkmcnt(0)
	v_lshl_add_u64 v[12:13], v[8:9], 2, s[4:5]
	global_load_dwordx2 v[12:13], v[12:13], off
	v_and_b32_e32 v9, 31, v10
	s_waitcnt vmcnt(0)
	v_subrev_u32_e32 v10, s16, v12
	v_subrev_u32_e32 v34, s16, v13
	v_add_u32_e32 v16, v10, v9
	v_cmp_lt_i32_e64 s[0:1], v16, v34
	s_cbranch_scc0 .LBB134_14
; %bb.9:
	v_mov_b64_e32 v[14:15], 0
	s_mov_b64 s[4:5], 0
	v_mov_b64_e32 v[22:23], v[14:15]
	v_mov_b64_e32 v[18:19], v[14:15]
	;; [unrolled: 1-line block ×5, first 2 shown]
	s_and_saveexec_b64 s[12:13], s[0:1]
	s_cbranch_execz .LBB134_13
; %bb.10:
	v_mad_u64_u32 v[24:25], s[14:15], v16, 18, 17
	v_mov_b64_e32 v[14:15], 0
	s_mov_b64 s[14:15], 0
	v_mov_b32_e32 v27, 0
	v_mov_b32_e32 v28, v16
	v_mov_b64_e32 v[22:23], v[14:15]
	v_mov_b64_e32 v[18:19], v[14:15]
	;; [unrolled: 1-line block ×5, first 2 shown]
.LBB134_11:                             ; =>This Inner Loop Header: Depth=1
	v_ashrrev_i32_e32 v29, 31, v28
	v_subrev_u32_e32 v26, 17, v24
	v_lshl_add_u64 v[32:33], v[28:29], 2, s[6:7]
	v_lshl_add_u64 v[44:45], v[26:27], 4, s[8:9]
	global_load_dword v17, v[32:33], off
	global_load_dwordx4 v[36:39], v[44:45], off offset:16
	global_load_dwordx4 v[40:43], v[44:45], off
	v_add_u32_e32 v26, -15, v24
	v_mov_b32_e32 v25, v27
	v_lshl_add_u64 v[32:33], v[26:27], 4, s[8:9]
	v_add_u32_e32 v26, -14, v24
	v_lshl_add_u64 v[46:47], v[24:25], 4, s[8:9]
	v_lshl_add_u64 v[56:57], v[26:27], 4, s[8:9]
	v_add_u32_e32 v26, -13, v24
	global_load_dwordx4 v[44:47], v[46:47], off
	s_nop 0
	global_load_dwordx4 v[48:51], v[32:33], off
	global_load_dwordx4 v[52:55], v[56:57], off
	v_lshl_add_u64 v[32:33], v[26:27], 4, s[8:9]
	v_add_u32_e32 v26, -12, v24
	v_lshl_add_u64 v[64:65], v[26:27], 4, s[8:9]
	v_add_u32_e32 v26, -11, v24
	v_mov_b32_e32 v31, v27
	global_load_dwordx4 v[56:59], v[32:33], off
	global_load_dwordx4 v[60:63], v[64:65], off
	v_lshl_add_u64 v[32:33], v[26:27], 4, s[8:9]
	global_load_dwordx4 v[64:67], v[32:33], off
	v_add_u32_e32 v28, 32, v28
	v_cmp_ge_i32_e32 vcc, v28, v34
	s_or_b64 s[14:15], vcc, s[14:15]
	s_waitcnt vmcnt(8)
	v_subrev_u32_e32 v17, s16, v17
	v_mul_lo_u32 v30, v17, 6
	v_lshl_add_u64 v[32:33], v[30:31], 4, s[10:11]
	global_load_dwordx4 v[68:71], v[32:33], off
	global_load_dwordx4 v[72:75], v[32:33], off offset:16
	v_add_u32_e32 v26, 2, v30
	v_lshl_add_u64 v[32:33], v[26:27], 4, s[10:11]
	global_load_dwordx4 v[76:79], v[32:33], off
	global_load_dwordx4 v[80:83], v[32:33], off offset:16
	v_add_u32_e32 v26, -10, v24
	v_lshl_add_u64 v[32:33], v[26:27], 4, s[8:9]
	v_add_u32_e32 v26, -9, v24
	global_load_dwordx4 v[84:87], v[32:33], off
	v_lshl_add_u64 v[32:33], v[26:27], 4, s[8:9]
	v_add_u32_e32 v26, -8, v24
	s_waitcnt vmcnt(4)
	v_fmac_f64_e32 v[22:23], v[40:41], v[68:69]
	v_fmac_f64_e32 v[14:15], v[42:43], v[68:69]
	v_fma_f64 v[88:89], -v[42:43], v[70:71], v[22:23]
	v_lshl_add_u64 v[22:23], v[26:27], 4, s[8:9]
	v_add_u32_e32 v26, -7, v24
	v_fmac_f64_e32 v[20:21], v[36:37], v[68:69]
	v_fmac_f64_e32 v[14:15], v[40:41], v[70:71]
	global_load_dwordx4 v[40:43], v[32:33], off
	v_fma_f64 v[90:91], -v[38:39], v[70:71], v[20:21]
	global_load_dwordx4 v[20:23], v[22:23], off
	v_lshl_add_u64 v[32:33], v[26:27], 4, s[8:9]
	v_add_u32_e32 v26, -6, v24
	v_fmac_f64_e32 v[12:13], v[38:39], v[68:69]
	v_fmac_f64_e32 v[18:19], v[48:49], v[68:69]
	;; [unrolled: 1-line block ×3, first 2 shown]
	v_lshl_add_u64 v[68:69], v[26:27], 4, s[8:9]
	v_add_u32_e32 v26, -5, v24
	v_fmac_f64_e32 v[12:13], v[36:37], v[70:71]
	v_fma_f64 v[18:19], -v[50:51], v[70:71], v[18:19]
	v_fmac_f64_e32 v[10:11], v[48:49], v[70:71]
	v_lshl_add_u64 v[70:71], v[26:27], 4, s[8:9]
	v_add_u32_e32 v26, 4, v30
	global_load_dwordx4 v[36:39], v[32:33], off
	s_nop 0
	global_load_dwordx4 v[30:33], v[68:69], off
	global_load_dwordx4 v[48:51], v[70:71], off
	s_waitcnt vmcnt(8)
	v_fmac_f64_e32 v[14:15], v[54:55], v[72:73]
	v_lshl_add_u64 v[68:69], v[26:27], 4, s[10:11]
	v_add_u32_e32 v26, -4, v24
	v_fmac_f64_e32 v[88:89], v[52:53], v[72:73]
	v_fmac_f64_e32 v[14:15], v[52:53], v[74:75]
	;; [unrolled: 1-line block ×6, first 2 shown]
	v_lshl_add_u64 v[72:73], v[26:27], 4, s[8:9]
	v_add_u32_e32 v26, -3, v24
	v_fma_f64 v[88:89], -v[54:55], v[74:75], v[88:89]
	v_fma_f64 v[90:91], -v[58:59], v[74:75], v[90:91]
	v_fmac_f64_e32 v[12:13], v[56:57], v[74:75]
	v_fma_f64 v[18:19], -v[62:63], v[74:75], v[18:19]
	v_fmac_f64_e32 v[10:11], v[60:61], v[74:75]
	v_lshl_add_u64 v[74:75], v[26:27], 4, s[8:9]
	v_add_u32_e32 v26, -2, v24
	s_waitcnt vmcnt(7)
	v_fmac_f64_e32 v[14:15], v[66:67], v[76:77]
	global_load_dwordx4 v[52:55], v[68:69], off offset:16
	global_load_dwordx4 v[56:59], v[68:69], off
	global_load_dwordx4 v[60:63], v[72:73], off
	s_nop 0
	global_load_dwordx4 v[68:71], v[74:75], off
	v_fmac_f64_e32 v[88:89], v[64:65], v[76:77]
	v_fmac_f64_e32 v[14:15], v[64:65], v[78:79]
	v_lshl_add_u64 v[64:65], v[26:27], 4, s[8:9]
	v_add_u32_e32 v26, -1, v24
	v_lshl_add_u64 v[72:73], v[26:27], 4, s[8:9]
	v_fma_f64 v[88:89], -v[66:67], v[78:79], v[88:89]
	global_load_dwordx4 v[64:67], v[64:65], off
	s_waitcnt vmcnt(10)
	v_fmac_f64_e32 v[90:91], v[84:85], v[76:77]
	global_load_dwordx4 v[72:75], v[72:73], off
	v_fmac_f64_e32 v[12:13], v[86:87], v[76:77]
	v_fma_f64 v[86:87], -v[86:87], v[78:79], v[90:91]
	v_fmac_f64_e32 v[12:13], v[84:85], v[78:79]
	v_add_u32_e32 v24, 0x240, v24
	s_waitcnt vmcnt(10)
	v_fmac_f64_e32 v[18:19], v[40:41], v[76:77]
	v_fmac_f64_e32 v[10:11], v[42:43], v[76:77]
	v_fma_f64 v[18:19], -v[42:43], v[78:79], v[18:19]
	v_fmac_f64_e32 v[10:11], v[40:41], v[78:79]
	s_waitcnt vmcnt(9)
	v_fmac_f64_e32 v[88:89], v[20:21], v[80:81]
	v_fmac_f64_e32 v[14:15], v[22:23], v[80:81]
	v_fma_f64 v[22:23], -v[22:23], v[82:83], v[88:89]
	v_fmac_f64_e32 v[14:15], v[20:21], v[82:83]
	s_waitcnt vmcnt(8)
	v_fmac_f64_e32 v[86:87], v[36:37], v[80:81]
	v_fmac_f64_e32 v[12:13], v[38:39], v[80:81]
	s_waitcnt vmcnt(7)
	v_fmac_f64_e32 v[18:19], v[30:31], v[80:81]
	v_fmac_f64_e32 v[10:11], v[32:33], v[80:81]
	v_fma_f64 v[20:21], -v[38:39], v[82:83], v[86:87]
	v_fmac_f64_e32 v[12:13], v[36:37], v[82:83]
	v_fma_f64 v[18:19], -v[32:33], v[82:83], v[18:19]
	v_fmac_f64_e32 v[10:11], v[30:31], v[82:83]
	s_waitcnt vmcnt(4)
	v_fmac_f64_e32 v[22:23], v[48:49], v[56:57]
	v_fmac_f64_e32 v[14:15], v[50:51], v[56:57]
	s_waitcnt vmcnt(3)
	v_fmac_f64_e32 v[20:21], v[60:61], v[56:57]
	;; [unrolled: 3-line block ×3, first 2 shown]
	v_fmac_f64_e32 v[10:11], v[70:71], v[56:57]
	v_fma_f64 v[22:23], -v[50:51], v[58:59], v[22:23]
	v_fmac_f64_e32 v[14:15], v[48:49], v[58:59]
	v_fma_f64 v[20:21], -v[62:63], v[58:59], v[20:21]
	;; [unrolled: 2-line block ×3, first 2 shown]
	v_fmac_f64_e32 v[10:11], v[68:69], v[58:59]
	s_waitcnt vmcnt(1)
	v_fmac_f64_e32 v[22:23], v[64:65], v[52:53]
	v_fmac_f64_e32 v[14:15], v[66:67], v[52:53]
	s_waitcnt vmcnt(0)
	v_fmac_f64_e32 v[20:21], v[72:73], v[52:53]
	v_fmac_f64_e32 v[12:13], v[74:75], v[52:53]
	;; [unrolled: 1-line block ×4, first 2 shown]
	v_fma_f64 v[22:23], -v[66:67], v[54:55], v[22:23]
	v_fmac_f64_e32 v[14:15], v[64:65], v[54:55]
	v_fma_f64 v[20:21], -v[74:75], v[54:55], v[20:21]
	v_fmac_f64_e32 v[12:13], v[72:73], v[54:55]
	;; [unrolled: 2-line block ×3, first 2 shown]
	s_andn2_b64 exec, exec, s[14:15]
	s_cbranch_execnz .LBB134_11
; %bb.12:
	s_or_b64 exec, exec, s[14:15]
.LBB134_13:
	s_or_b64 exec, exec, s[12:13]
	s_andn2_b64 vcc, exec, s[4:5]
	s_cbranch_vccz .LBB134_15
	s_branch .LBB134_20
.LBB134_14:
                                        ; implicit-def: $vgpr14_vgpr15
                                        ; implicit-def: $vgpr22_vgpr23
                                        ; implicit-def: $vgpr18_vgpr19
                                        ; implicit-def: $vgpr10_vgpr11
                                        ; implicit-def: $vgpr20_vgpr21
                                        ; implicit-def: $vgpr12_vgpr13
.LBB134_15:
	v_mov_b64_e32 v[14:15], 0
	v_mov_b64_e32 v[22:23], v[14:15]
	;; [unrolled: 1-line block ×6, first 2 shown]
	s_and_saveexec_b64 s[4:5], s[0:1]
	s_cbranch_execz .LBB134_19
; %bb.16:
	v_mad_u64_u32 v[24:25], s[0:1], v16, 18, 17
	v_mov_b64_e32 v[14:15], 0
	s_mov_b64 s[0:1], 0
	v_mov_b32_e32 v27, 0
	v_mov_b64_e32 v[22:23], v[14:15]
	v_mov_b64_e32 v[18:19], v[14:15]
	;; [unrolled: 1-line block ×5, first 2 shown]
.LBB134_17:                             ; =>This Inner Loop Header: Depth=1
	v_ashrrev_i32_e32 v17, 31, v16
	v_subrev_u32_e32 v26, 17, v24
	v_add_u32_e32 v32, -11, v24
	v_add_u32_e32 v30, -5, v24
	v_mov_b32_e32 v33, v27
	v_mov_b32_e32 v31, v27
	v_lshl_add_u64 v[48:49], v[16:17], 2, s[6:7]
	v_lshl_add_u64 v[50:51], v[26:27], 4, s[8:9]
	;; [unrolled: 1-line block ×4, first 2 shown]
	global_load_dword v17, v[48:49], off
	global_load_dwordx4 v[30:33], v[50:51], off offset:16
	global_load_dwordx4 v[36:39], v[50:51], off
	global_load_dwordx4 v[40:43], v[52:53], off
	;; [unrolled: 1-line block ×3, first 2 shown]
	v_add_u32_e32 v26, -10, v24
	v_mov_b32_e32 v25, v27
	v_lshl_add_u64 v[60:61], v[26:27], 4, s[8:9]
	v_add_u32_e32 v26, -4, v24
	v_mov_b32_e32 v29, v27
	v_lshl_add_u64 v[56:57], v[24:25], 4, s[8:9]
	v_lshl_add_u64 v[62:63], v[26:27], 4, s[8:9]
	v_add_u32_e32 v26, -15, v24
	global_load_dwordx4 v[48:51], v[56:57], off
	global_load_dwordx4 v[52:55], v[60:61], off
	s_nop 0
	global_load_dwordx4 v[56:59], v[62:63], off
	v_lshl_add_u64 v[60:61], v[26:27], 4, s[8:9]
	global_load_dwordx4 v[60:63], v[60:61], off
	v_add_u32_e32 v16, 32, v16
	v_cmp_ge_i32_e32 vcc, v16, v34
	s_or_b64 s[0:1], vcc, s[0:1]
	s_waitcnt vmcnt(8)
	v_subrev_u32_e32 v17, s16, v17
	v_mul_lo_u32 v28, v17, 6
	v_lshl_add_u64 v[72:73], v[28:29], 4, s[10:11]
	global_load_dwordx4 v[64:67], v[72:73], off
	global_load_dwordx4 v[68:71], v[72:73], off offset:16
	v_add_u32_e32 v26, 2, v28
	v_lshl_add_u64 v[76:77], v[26:27], 4, s[10:11]
	v_add_u32_e32 v26, -9, v24
	global_load_dwordx4 v[72:75], v[76:77], off
	s_waitcnt vmcnt(2)
	v_fmac_f64_e32 v[22:23], v[36:37], v[64:65]
	v_fma_f64 v[78:79], -v[38:39], v[66:67], v[22:23]
	v_lshl_add_u64 v[22:23], v[26:27], 4, s[8:9]
	v_add_u32_e32 v26, -3, v24
	v_fmac_f64_e32 v[12:13], v[42:43], v[64:65]
	v_fmac_f64_e32 v[14:15], v[38:39], v[64:65]
	;; [unrolled: 1-line block ×4, first 2 shown]
	v_lshl_add_u64 v[40:41], v[26:27], 4, s[8:9]
	v_fmac_f64_e32 v[14:15], v[36:37], v[66:67]
	global_load_dwordx4 v[36:39], v[76:77], off offset:16
	v_fma_f64 v[76:77], -v[42:43], v[66:67], v[20:21]
	global_load_dwordx4 v[20:23], v[22:23], off
	v_add_u32_e32 v26, -14, v24
	global_load_dwordx4 v[40:43], v[40:41], off
	v_fmac_f64_e32 v[10:11], v[46:47], v[64:65]
	v_fmac_f64_e32 v[18:19], v[44:45], v[64:65]
	;; [unrolled: 1-line block ×3, first 2 shown]
	v_lshl_add_u64 v[44:45], v[26:27], 4, s[8:9]
	v_add_u32_e32 v26, -8, v24
	v_lshl_add_u64 v[64:65], v[26:27], 4, s[8:9]
	v_add_u32_e32 v26, -2, v24
	s_waitcnt vmcnt(4)
	v_fmac_f64_e32 v[78:79], v[30:31], v[68:69]
	v_fma_f64 v[18:19], -v[46:47], v[66:67], v[18:19]
	v_fmac_f64_e32 v[14:15], v[32:33], v[68:69]
	v_fma_f64 v[32:33], -v[32:33], v[70:71], v[78:79]
	v_lshl_add_u64 v[78:79], v[26:27], 4, s[8:9]
	v_add_u32_e32 v26, -13, v24
	v_lshl_add_u64 v[80:81], v[26:27], 4, s[8:9]
	v_add_u32_e32 v26, 4, v28
	v_fmac_f64_e32 v[76:77], v[52:53], v[68:69]
	v_fmac_f64_e32 v[12:13], v[54:55], v[68:69]
	;; [unrolled: 1-line block ×3, first 2 shown]
	global_load_dwordx4 v[44:47], v[44:45], off
	v_fmac_f64_e32 v[14:15], v[30:31], v[70:71]
	global_load_dwordx4 v[28:31], v[64:65], off
	v_fma_f64 v[76:77], -v[54:55], v[70:71], v[76:77]
	v_fmac_f64_e32 v[12:13], v[52:53], v[70:71]
	global_load_dwordx4 v[52:55], v[78:79], off
	global_load_dwordx4 v[64:67], v[80:81], off
	v_fmac_f64_e32 v[10:11], v[58:59], v[68:69]
	v_fma_f64 v[78:79], -v[58:59], v[70:71], v[18:19]
	v_lshl_add_u64 v[18:19], v[26:27], 4, s[10:11]
	v_add_u32_e32 v26, -7, v24
	v_fmac_f64_e32 v[10:11], v[56:57], v[70:71]
	v_lshl_add_u64 v[80:81], v[26:27], 4, s[8:9]
	v_add_u32_e32 v26, -1, v24
	s_waitcnt vmcnt(7)
	v_fmac_f64_e32 v[32:33], v[60:61], v[72:73]
	v_fmac_f64_e32 v[14:15], v[62:63], v[72:73]
	v_lshl_add_u64 v[82:83], v[26:27], 4, s[8:9]
	v_add_u32_e32 v26, -12, v24
	global_load_dwordx4 v[56:59], v[18:19], off offset:16
	global_load_dwordx4 v[68:71], v[18:19], off
	v_fma_f64 v[32:33], -v[62:63], v[74:75], v[32:33]
	v_fmac_f64_e32 v[14:15], v[60:61], v[74:75]
	s_waitcnt vmcnt(7)
	v_fmac_f64_e32 v[12:13], v[22:23], v[72:73]
	v_fmac_f64_e32 v[76:77], v[20:21], v[72:73]
	s_waitcnt vmcnt(6)
	v_fmac_f64_e32 v[10:11], v[42:43], v[72:73]
	v_fmac_f64_e32 v[12:13], v[20:21], v[74:75]
	global_load_dwordx4 v[18:21], v[80:81], off
	global_load_dwordx4 v[60:63], v[82:83], off
	v_fmac_f64_e32 v[78:79], v[40:41], v[72:73]
	v_fmac_f64_e32 v[10:11], v[40:41], v[74:75]
	v_lshl_add_u64 v[40:41], v[26:27], 4, s[8:9]
	v_add_u32_e32 v26, -6, v24
	v_lshl_add_u64 v[72:73], v[26:27], 4, s[8:9]
	v_fma_f64 v[22:23], -v[22:23], v[74:75], v[76:77]
	v_fma_f64 v[76:77], -v[42:43], v[74:75], v[78:79]
	global_load_dwordx4 v[40:43], v[40:41], off
	v_add_u32_e32 v24, 0x240, v24
	global_load_dwordx4 v[72:75], v[72:73], off
	s_waitcnt vmcnt(9)
	v_fmac_f64_e32 v[32:33], v[44:45], v[36:37]
	v_fmac_f64_e32 v[14:15], v[46:47], v[36:37]
	s_waitcnt vmcnt(8)
	v_fmac_f64_e32 v[22:23], v[28:29], v[36:37]
	v_fmac_f64_e32 v[12:13], v[30:31], v[36:37]
	;; [unrolled: 3-line block ×3, first 2 shown]
	v_fma_f64 v[32:33], -v[46:47], v[38:39], v[32:33]
	v_fmac_f64_e32 v[14:15], v[44:45], v[38:39]
	v_fma_f64 v[22:23], -v[30:31], v[38:39], v[22:23]
	v_fmac_f64_e32 v[12:13], v[28:29], v[38:39]
	;; [unrolled: 2-line block ×3, first 2 shown]
	s_waitcnt vmcnt(4)
	v_fmac_f64_e32 v[32:33], v[64:65], v[68:69]
	v_fmac_f64_e32 v[14:15], v[66:67], v[68:69]
	v_fma_f64 v[30:31], -v[66:67], v[70:71], v[32:33]
	v_fmac_f64_e32 v[14:15], v[64:65], v[70:71]
	s_waitcnt vmcnt(3)
	v_fmac_f64_e32 v[22:23], v[18:19], v[68:69]
	v_fmac_f64_e32 v[12:13], v[20:21], v[68:69]
	s_waitcnt vmcnt(2)
	v_fmac_f64_e32 v[28:29], v[60:61], v[68:69]
	v_fmac_f64_e32 v[10:11], v[62:63], v[68:69]
	v_fma_f64 v[20:21], -v[20:21], v[70:71], v[22:23]
	v_fmac_f64_e32 v[12:13], v[18:19], v[70:71]
	v_fma_f64 v[18:19], -v[62:63], v[70:71], v[28:29]
	v_fmac_f64_e32 v[10:11], v[60:61], v[70:71]
	v_fmac_f64_e32 v[18:19], v[48:49], v[56:57]
	s_waitcnt vmcnt(1)
	v_fmac_f64_e32 v[30:31], v[40:41], v[56:57]
	v_fmac_f64_e32 v[14:15], v[42:43], v[56:57]
	s_waitcnt vmcnt(0)
	v_fmac_f64_e32 v[20:21], v[72:73], v[56:57]
	v_fmac_f64_e32 v[12:13], v[74:75], v[56:57]
	;; [unrolled: 1-line block ×3, first 2 shown]
	v_fma_f64 v[22:23], -v[42:43], v[58:59], v[30:31]
	v_fmac_f64_e32 v[14:15], v[40:41], v[58:59]
	v_fma_f64 v[20:21], -v[74:75], v[58:59], v[20:21]
	v_fmac_f64_e32 v[12:13], v[72:73], v[58:59]
	;; [unrolled: 2-line block ×3, first 2 shown]
	s_andn2_b64 exec, exec, s[0:1]
	s_cbranch_execnz .LBB134_17
; %bb.18:
	s_or_b64 exec, exec, s[0:1]
.LBB134_19:
	s_or_b64 exec, exec, s[4:5]
.LBB134_20:
	v_mov_b32_dpp v26, v20 row_shr:1 row_mask:0xf bank_mask:0xf
	v_mov_b32_dpp v27, v21 row_shr:1 row_mask:0xf bank_mask:0xf
	v_add_f64 v[20:21], v[20:21], v[26:27]
	v_mov_b32_dpp v16, v22 row_shr:1 row_mask:0xf bank_mask:0xf
	v_mov_b32_dpp v17, v23 row_shr:1 row_mask:0xf bank_mask:0xf
	v_mov_b32_dpp v26, v20 row_shr:2 row_mask:0xf bank_mask:0xf
	v_mov_b32_dpp v27, v21 row_shr:2 row_mask:0xf bank_mask:0xf
	v_add_f64 v[20:21], v[20:21], v[26:27]
	v_mov_b32_dpp v24, v14 row_shr:1 row_mask:0xf bank_mask:0xf
	v_mov_b32_dpp v25, v15 row_shr:1 row_mask:0xf bank_mask:0xf
	v_mov_b32_dpp v26, v20 row_shr:4 row_mask:0xf bank_mask:0xe
	v_mov_b32_dpp v27, v21 row_shr:4 row_mask:0xf bank_mask:0xe
	v_add_f64 v[20:21], v[20:21], v[26:27]
	v_add_f64 v[16:17], v[22:23], v[16:17]
	v_add_f64 v[14:15], v[14:15], v[24:25]
	v_mov_b32_dpp v26, v20 row_shr:8 row_mask:0xf bank_mask:0xc
	v_mov_b32_dpp v27, v21 row_shr:8 row_mask:0xf bank_mask:0xc
	v_add_f64 v[26:27], v[20:21], v[26:27]
	v_mov_b32_dpp v20, v12 row_shr:1 row_mask:0xf bank_mask:0xf
	v_mov_b32_dpp v21, v13 row_shr:1 row_mask:0xf bank_mask:0xf
	v_add_f64 v[12:13], v[12:13], v[20:21]
	v_mov_b32_dpp v22, v16 row_shr:2 row_mask:0xf bank_mask:0xf
	v_mov_b32_dpp v23, v17 row_shr:2 row_mask:0xf bank_mask:0xf
	v_mov_b32_dpp v20, v12 row_shr:2 row_mask:0xf bank_mask:0xf
	v_mov_b32_dpp v21, v13 row_shr:2 row_mask:0xf bank_mask:0xf
	v_add_f64 v[12:13], v[12:13], v[20:21]
	v_mov_b32_dpp v24, v14 row_shr:2 row_mask:0xf bank_mask:0xf
	v_mov_b32_dpp v25, v15 row_shr:2 row_mask:0xf bank_mask:0xf
	v_mov_b32_dpp v20, v12 row_shr:4 row_mask:0xf bank_mask:0xe
	v_mov_b32_dpp v21, v13 row_shr:4 row_mask:0xf bank_mask:0xe
	v_add_f64 v[12:13], v[12:13], v[20:21]
	v_add_f64 v[16:17], v[16:17], v[22:23]
	v_add_f64 v[14:15], v[14:15], v[24:25]
	v_mov_b32_dpp v20, v12 row_shr:8 row_mask:0xf bank_mask:0xc
	v_mov_b32_dpp v21, v13 row_shr:8 row_mask:0xf bank_mask:0xc
	v_add_f64 v[30:31], v[12:13], v[20:21]
	;; [unrolled: 18-line block ×4, first 2 shown]
	v_mov_b32_dpp v22, v16 row_bcast:15 row_mask:0xa bank_mask:0xf
	v_mov_b32_dpp v23, v17 row_bcast:15 row_mask:0xa bank_mask:0xf
	v_mov_b32_dpp v24, v14 row_bcast:15 row_mask:0xa bank_mask:0xf
	v_mov_b32_dpp v25, v15 row_bcast:15 row_mask:0xa bank_mask:0xf
	v_mov_b32_dpp v28, v26 row_bcast:15 row_mask:0xa bank_mask:0xf
	v_mov_b32_dpp v29, v27 row_bcast:15 row_mask:0xa bank_mask:0xf
	v_mov_b32_dpp v32, v30 row_bcast:15 row_mask:0xa bank_mask:0xf
	v_mov_b32_dpp v33, v31 row_bcast:15 row_mask:0xa bank_mask:0xf
	v_mov_b32_dpp v36, v34 row_bcast:15 row_mask:0xa bank_mask:0xf
	v_mov_b32_dpp v37, v35 row_bcast:15 row_mask:0xa bank_mask:0xf
	v_mov_b32_dpp v40, v38 row_bcast:15 row_mask:0xa bank_mask:0xf
	v_mov_b32_dpp v41, v39 row_bcast:15 row_mask:0xa bank_mask:0xf
	v_cmp_eq_u32_e32 vcc, 31, v9
	s_and_b64 exec, exec, vcc
	s_cbranch_execz .LBB134_25
; %bb.21:
	s_load_dwordx2 s[2:3], s[2:3], 0x48
	v_cmp_eq_f64_e32 vcc, 0, v[4:5]
	v_cmp_eq_f64_e64 s[0:1], 0, v[6:7]
	v_add_f64 v[16:17], v[16:17], v[22:23]
	v_add_f64 v[20:21], v[14:15], v[24:25]
	v_add_f64 v[12:13], v[26:27], v[28:29]
	v_add_f64 v[18:19], v[30:31], v[32:33]
	v_add_f64 v[10:11], v[34:35], v[36:37]
	v_add_f64 v[14:15], v[38:39], v[40:41]
	s_and_b64 s[0:1], vcc, s[0:1]
	s_and_saveexec_b64 s[4:5], s[0:1]
	s_xor_b64 s[0:1], exec, s[4:5]
	s_cbranch_execz .LBB134_23
; %bb.22:
	v_lshl_add_u32 v8, v8, 1, v8
	v_mul_f64 v[4:5], v[20:21], -v[2:3]
	v_mul_f64 v[6:7], v[0:1], v[20:21]
	v_ashrrev_i32_e32 v9, 31, v8
	v_fmac_f64_e32 v[4:5], v[0:1], v[16:17]
	v_fmac_f64_e32 v[6:7], v[2:3], v[16:17]
	s_waitcnt lgkmcnt(0)
	v_lshl_add_u64 v[8:9], v[8:9], 4, s[2:3]
	global_store_dwordx4 v[8:9], v[4:7], off
                                        ; implicit-def: $vgpr16_vgpr17
                                        ; implicit-def: $vgpr20_vgpr21
	s_nop 1
	v_mul_f64 v[4:5], v[18:19], -v[2:3]
	v_mul_f64 v[6:7], v[0:1], v[18:19]
	v_fmac_f64_e32 v[4:5], v[0:1], v[12:13]
	v_fmac_f64_e32 v[6:7], v[2:3], v[12:13]
	global_store_dwordx4 v[8:9], v[4:7], off offset:16
                                        ; implicit-def: $vgpr12_vgpr13
                                        ; implicit-def: $vgpr18_vgpr19
	s_nop 1
	v_mul_f64 v[4:5], v[14:15], -v[2:3]
	v_mul_f64 v[6:7], v[0:1], v[14:15]
	v_fmac_f64_e32 v[4:5], v[0:1], v[10:11]
	v_fmac_f64_e32 v[6:7], v[2:3], v[10:11]
	global_store_dwordx4 v[8:9], v[4:7], off offset:32
                                        ; implicit-def: $vgpr0_vgpr1
                                        ; implicit-def: $vgpr2_vgpr3
                                        ; implicit-def: $vgpr4_vgpr5
                                        ; implicit-def: $vgpr6_vgpr7
                                        ; implicit-def: $vgpr8
                                        ; implicit-def: $vgpr10_vgpr11
                                        ; implicit-def: $vgpr14_vgpr15
.LBB134_23:
	s_andn2_saveexec_b64 s[0:1], s[0:1]
	s_cbranch_execz .LBB134_25
; %bb.24:
	v_lshl_add_u32 v8, v8, 1, v8
	v_ashrrev_i32_e32 v9, 31, v8
	s_waitcnt lgkmcnt(0)
	v_lshl_add_u64 v[38:39], v[8:9], 4, s[2:3]
	global_load_dwordx4 v[22:25], v[38:39], off
	global_load_dwordx4 v[26:29], v[38:39], off offset:16
	global_load_dwordx4 v[30:33], v[38:39], off offset:32
	v_mul_f64 v[34:35], v[20:21], -v[2:3]
	v_mul_f64 v[20:21], v[0:1], v[20:21]
	v_mul_f64 v[40:41], v[18:19], -v[2:3]
	v_mul_f64 v[36:37], v[0:1], v[18:19]
	;; [unrolled: 2-line block ×3, first 2 shown]
	v_fmac_f64_e32 v[34:35], v[0:1], v[16:17]
	v_fmac_f64_e32 v[20:21], v[2:3], v[16:17]
	;; [unrolled: 1-line block ×6, first 2 shown]
	s_waitcnt vmcnt(2)
	v_fmac_f64_e32 v[34:35], v[4:5], v[22:23]
	v_fmac_f64_e32 v[20:21], v[6:7], v[22:23]
	s_waitcnt vmcnt(1)
	v_fmac_f64_e32 v[40:41], v[4:5], v[26:27]
	v_fmac_f64_e32 v[36:37], v[6:7], v[26:27]
	;; [unrolled: 3-line block ×3, first 2 shown]
	v_fma_f64 v[18:19], -v[6:7], v[24:25], v[34:35]
	v_fmac_f64_e32 v[20:21], v[4:5], v[24:25]
	v_fma_f64 v[34:35], -v[6:7], v[28:29], v[40:41]
	v_fmac_f64_e32 v[36:37], v[4:5], v[28:29]
	;; [unrolled: 2-line block ×3, first 2 shown]
	global_store_dwordx4 v[38:39], v[18:21], off
	global_store_dwordx4 v[38:39], v[34:37], off offset:16
	global_store_dwordx4 v[38:39], v[6:9], off offset:32
.LBB134_25:
	s_endpgm
	.section	.rodata,"a",@progbits
	.p2align	6, 0x0
	.amdhsa_kernel _ZN9rocsparseL19gebsrmvn_3xn_kernelILj128ELj6ELj32E21rocsparse_complex_numIdEEEvi20rocsparse_direction_NS_24const_host_device_scalarIT2_EEPKiS8_PKS5_SA_S6_PS5_21rocsparse_index_base_b
		.amdhsa_group_segment_fixed_size 2048
		.amdhsa_private_segment_fixed_size 0
		.amdhsa_kernarg_size 88
		.amdhsa_user_sgpr_count 4
		.amdhsa_user_sgpr_dispatch_ptr 1
		.amdhsa_user_sgpr_queue_ptr 0
		.amdhsa_user_sgpr_kernarg_segment_ptr 1
		.amdhsa_user_sgpr_dispatch_id 0
		.amdhsa_user_sgpr_kernarg_preload_length 0
		.amdhsa_user_sgpr_kernarg_preload_offset 0
		.amdhsa_user_sgpr_private_segment_size 0
		.amdhsa_uses_dynamic_stack 0
		.amdhsa_enable_private_segment 0
		.amdhsa_system_sgpr_workgroup_id_x 1
		.amdhsa_system_sgpr_workgroup_id_y 0
		.amdhsa_system_sgpr_workgroup_id_z 0
		.amdhsa_system_sgpr_workgroup_info 0
		.amdhsa_system_vgpr_workitem_id 2
		.amdhsa_next_free_vgpr 92
		.amdhsa_next_free_sgpr 20
		.amdhsa_accum_offset 92
		.amdhsa_reserve_vcc 1
		.amdhsa_float_round_mode_32 0
		.amdhsa_float_round_mode_16_64 0
		.amdhsa_float_denorm_mode_32 3
		.amdhsa_float_denorm_mode_16_64 3
		.amdhsa_dx10_clamp 1
		.amdhsa_ieee_mode 1
		.amdhsa_fp16_overflow 0
		.amdhsa_tg_split 0
		.amdhsa_exception_fp_ieee_invalid_op 0
		.amdhsa_exception_fp_denorm_src 0
		.amdhsa_exception_fp_ieee_div_zero 0
		.amdhsa_exception_fp_ieee_overflow 0
		.amdhsa_exception_fp_ieee_underflow 0
		.amdhsa_exception_fp_ieee_inexact 0
		.amdhsa_exception_int_div_zero 0
	.end_amdhsa_kernel
	.section	.text._ZN9rocsparseL19gebsrmvn_3xn_kernelILj128ELj6ELj32E21rocsparse_complex_numIdEEEvi20rocsparse_direction_NS_24const_host_device_scalarIT2_EEPKiS8_PKS5_SA_S6_PS5_21rocsparse_index_base_b,"axG",@progbits,_ZN9rocsparseL19gebsrmvn_3xn_kernelILj128ELj6ELj32E21rocsparse_complex_numIdEEEvi20rocsparse_direction_NS_24const_host_device_scalarIT2_EEPKiS8_PKS5_SA_S6_PS5_21rocsparse_index_base_b,comdat
.Lfunc_end134:
	.size	_ZN9rocsparseL19gebsrmvn_3xn_kernelILj128ELj6ELj32E21rocsparse_complex_numIdEEEvi20rocsparse_direction_NS_24const_host_device_scalarIT2_EEPKiS8_PKS5_SA_S6_PS5_21rocsparse_index_base_b, .Lfunc_end134-_ZN9rocsparseL19gebsrmvn_3xn_kernelILj128ELj6ELj32E21rocsparse_complex_numIdEEEvi20rocsparse_direction_NS_24const_host_device_scalarIT2_EEPKiS8_PKS5_SA_S6_PS5_21rocsparse_index_base_b
                                        ; -- End function
	.section	.AMDGPU.csdata,"",@progbits
; Kernel info:
; codeLenInByte = 3544
; NumSgprs: 26
; NumVgprs: 92
; NumAgprs: 0
; TotalNumVgprs: 92
; ScratchSize: 0
; MemoryBound: 0
; FloatMode: 240
; IeeeMode: 1
; LDSByteSize: 2048 bytes/workgroup (compile time only)
; SGPRBlocks: 3
; VGPRBlocks: 11
; NumSGPRsForWavesPerEU: 26
; NumVGPRsForWavesPerEU: 92
; AccumOffset: 92
; Occupancy: 5
; WaveLimiterHint : 1
; COMPUTE_PGM_RSRC2:SCRATCH_EN: 0
; COMPUTE_PGM_RSRC2:USER_SGPR: 4
; COMPUTE_PGM_RSRC2:TRAP_HANDLER: 0
; COMPUTE_PGM_RSRC2:TGID_X_EN: 1
; COMPUTE_PGM_RSRC2:TGID_Y_EN: 0
; COMPUTE_PGM_RSRC2:TGID_Z_EN: 0
; COMPUTE_PGM_RSRC2:TIDIG_COMP_CNT: 2
; COMPUTE_PGM_RSRC3_GFX90A:ACCUM_OFFSET: 22
; COMPUTE_PGM_RSRC3_GFX90A:TG_SPLIT: 0
	.section	.text._ZN9rocsparseL19gebsrmvn_3xn_kernelILj128ELj6ELj64E21rocsparse_complex_numIdEEEvi20rocsparse_direction_NS_24const_host_device_scalarIT2_EEPKiS8_PKS5_SA_S6_PS5_21rocsparse_index_base_b,"axG",@progbits,_ZN9rocsparseL19gebsrmvn_3xn_kernelILj128ELj6ELj64E21rocsparse_complex_numIdEEEvi20rocsparse_direction_NS_24const_host_device_scalarIT2_EEPKiS8_PKS5_SA_S6_PS5_21rocsparse_index_base_b,comdat
	.globl	_ZN9rocsparseL19gebsrmvn_3xn_kernelILj128ELj6ELj64E21rocsparse_complex_numIdEEEvi20rocsparse_direction_NS_24const_host_device_scalarIT2_EEPKiS8_PKS5_SA_S6_PS5_21rocsparse_index_base_b ; -- Begin function _ZN9rocsparseL19gebsrmvn_3xn_kernelILj128ELj6ELj64E21rocsparse_complex_numIdEEEvi20rocsparse_direction_NS_24const_host_device_scalarIT2_EEPKiS8_PKS5_SA_S6_PS5_21rocsparse_index_base_b
	.p2align	8
	.type	_ZN9rocsparseL19gebsrmvn_3xn_kernelILj128ELj6ELj64E21rocsparse_complex_numIdEEEvi20rocsparse_direction_NS_24const_host_device_scalarIT2_EEPKiS8_PKS5_SA_S6_PS5_21rocsparse_index_base_b,@function
_ZN9rocsparseL19gebsrmvn_3xn_kernelILj128ELj6ELj64E21rocsparse_complex_numIdEEEvi20rocsparse_direction_NS_24const_host_device_scalarIT2_EEPKiS8_PKS5_SA_S6_PS5_21rocsparse_index_base_b: ; @_ZN9rocsparseL19gebsrmvn_3xn_kernelILj128ELj6ELj64E21rocsparse_complex_numIdEEEvi20rocsparse_direction_NS_24const_host_device_scalarIT2_EEPKiS8_PKS5_SA_S6_PS5_21rocsparse_index_base_b
; %bb.0:
	s_load_dwordx2 s[16:17], s[2:3], 0x50
	s_load_dwordx4 s[12:15], s[2:3], 0x8
	s_load_dwordx4 s[8:11], s[2:3], 0x38
	s_load_dwordx2 s[18:19], s[0:1], 0x4
	s_mov_b64 s[6:7], src_shared_base
	s_waitcnt lgkmcnt(0)
	s_bitcmp1_b32 s17, 0
	s_cselect_b64 s[0:1], -1, 0
	s_and_b64 vcc, s[0:1], exec
	s_cselect_b32 s5, s7, s13
	s_lshr_b32 s6, s18, 16
	v_bfe_u32 v1, v0, 10, 10
	v_and_b32_e32 v10, 0x3ff, v0
	s_mul_i32 s6, s6, s19
	v_mul_u32_u24_e32 v1, s19, v1
	v_mad_u32_u24 v1, s6, v10, v1
	v_bfe_u32 v0, v0, 20, 10
	v_add_lshl_u32 v4, v1, v0, 3
	v_mov_b32_e32 v5, s12
	v_add_u32_e32 v6, 0x400, v4
	v_mov_b64_e32 v[0:1], s[12:13]
	v_mov_b64_e32 v[2:3], s[8:9]
	ds_write2st64_b64 v4, v[2:3], v[0:1] offset1:2
	v_cndmask_b32_e64 v0, v5, v6, s[0:1]
	v_mov_b32_e32 v1, s5
	flat_load_dwordx2 v[0:1], v[0:1]
	s_xor_b64 s[18:19], s[0:1], -1
	v_mov_b64_e32 v[2:3], s[14:15]
	s_cbranch_vccnz .LBB135_2
; %bb.1:
	v_mov_b64_e32 v[2:3], s[12:13]
	flat_load_dwordx2 v[2:3], v[2:3] offset:8
.LBB135_2:
	s_and_b64 s[12:13], s[0:1], exec
	s_cselect_b32 s5, s7, s9
	v_mov_b32_e32 v5, s8
	v_cndmask_b32_e64 v4, v5, v4, s[0:1]
	v_mov_b32_e32 v5, s5
	flat_load_dwordx2 v[4:5], v[4:5]
	s_andn2_b64 vcc, exec, s[18:19]
	v_mov_b64_e32 v[6:7], s[10:11]
	s_cbranch_vccnz .LBB135_4
; %bb.3:
	v_mov_b64_e32 v[6:7], s[8:9]
	flat_load_dwordx2 v[6:7], v[6:7] offset:8
.LBB135_4:
	s_waitcnt vmcnt(0) lgkmcnt(0)
	v_cmp_eq_f64_e32 vcc, 0, v[0:1]
	v_cmp_eq_f64_e64 s[0:1], 0, v[2:3]
	s_and_b64 s[8:9], vcc, s[0:1]
	s_mov_b64 s[0:1], -1
	s_and_saveexec_b64 s[6:7], s[8:9]
; %bb.5:
	v_cmp_neq_f64_e32 vcc, 1.0, v[4:5]
	v_cmp_neq_f64_e64 s[0:1], 0, v[6:7]
	s_or_b64 s[0:1], vcc, s[0:1]
	s_orn2_b64 s[0:1], s[0:1], exec
; %bb.6:
	s_or_b64 exec, exec, s[6:7]
	s_and_saveexec_b64 s[6:7], s[0:1]
	s_cbranch_execz .LBB135_25
; %bb.7:
	s_load_dwordx2 s[0:1], s[2:3], 0x0
	v_lshrrev_b32_e32 v8, 6, v10
	v_lshl_or_b32 v8, s4, 1, v8
	s_waitcnt lgkmcnt(0)
	v_cmp_gt_i32_e32 vcc, s0, v8
	s_and_b64 exec, exec, vcc
	s_cbranch_execz .LBB135_25
; %bb.8:
	s_load_dwordx8 s[4:11], s[2:3], 0x18
	v_ashrrev_i32_e32 v9, 31, v8
	s_cmp_lg_u32 s1, 0
	s_waitcnt lgkmcnt(0)
	v_lshl_add_u64 v[12:13], v[8:9], 2, s[4:5]
	global_load_dwordx2 v[12:13], v[12:13], off
	v_and_b32_e32 v9, 63, v10
	s_waitcnt vmcnt(0)
	v_subrev_u32_e32 v10, s16, v12
	v_subrev_u32_e32 v34, s16, v13
	v_add_u32_e32 v16, v10, v9
	v_cmp_lt_i32_e64 s[0:1], v16, v34
	s_cbranch_scc0 .LBB135_14
; %bb.9:
	v_mov_b64_e32 v[14:15], 0
	s_mov_b64 s[4:5], 0
	v_mov_b64_e32 v[22:23], v[14:15]
	v_mov_b64_e32 v[18:19], v[14:15]
	;; [unrolled: 1-line block ×5, first 2 shown]
	s_and_saveexec_b64 s[12:13], s[0:1]
	s_cbranch_execz .LBB135_13
; %bb.10:
	v_mad_u64_u32 v[24:25], s[14:15], v16, 18, 17
	v_mov_b64_e32 v[14:15], 0
	s_mov_b64 s[14:15], 0
	v_mov_b32_e32 v27, 0
	v_mov_b32_e32 v28, v16
	v_mov_b64_e32 v[22:23], v[14:15]
	v_mov_b64_e32 v[18:19], v[14:15]
	;; [unrolled: 1-line block ×5, first 2 shown]
.LBB135_11:                             ; =>This Inner Loop Header: Depth=1
	v_ashrrev_i32_e32 v29, 31, v28
	v_subrev_u32_e32 v26, 17, v24
	v_lshl_add_u64 v[32:33], v[28:29], 2, s[6:7]
	v_lshl_add_u64 v[44:45], v[26:27], 4, s[8:9]
	global_load_dword v17, v[32:33], off
	global_load_dwordx4 v[36:39], v[44:45], off offset:16
	global_load_dwordx4 v[40:43], v[44:45], off
	v_add_u32_e32 v26, -15, v24
	v_mov_b32_e32 v25, v27
	v_lshl_add_u64 v[32:33], v[26:27], 4, s[8:9]
	v_add_u32_e32 v26, -14, v24
	v_lshl_add_u64 v[46:47], v[24:25], 4, s[8:9]
	v_lshl_add_u64 v[56:57], v[26:27], 4, s[8:9]
	v_add_u32_e32 v26, -13, v24
	global_load_dwordx4 v[44:47], v[46:47], off
	s_nop 0
	global_load_dwordx4 v[48:51], v[32:33], off
	global_load_dwordx4 v[52:55], v[56:57], off
	v_lshl_add_u64 v[32:33], v[26:27], 4, s[8:9]
	v_add_u32_e32 v26, -12, v24
	v_lshl_add_u64 v[64:65], v[26:27], 4, s[8:9]
	v_add_u32_e32 v26, -11, v24
	v_mov_b32_e32 v31, v27
	global_load_dwordx4 v[56:59], v[32:33], off
	global_load_dwordx4 v[60:63], v[64:65], off
	v_lshl_add_u64 v[32:33], v[26:27], 4, s[8:9]
	global_load_dwordx4 v[64:67], v[32:33], off
	v_add_u32_e32 v28, 64, v28
	v_cmp_ge_i32_e32 vcc, v28, v34
	s_or_b64 s[14:15], vcc, s[14:15]
	s_waitcnt vmcnt(8)
	v_subrev_u32_e32 v17, s16, v17
	v_mul_lo_u32 v30, v17, 6
	v_lshl_add_u64 v[32:33], v[30:31], 4, s[10:11]
	global_load_dwordx4 v[68:71], v[32:33], off
	global_load_dwordx4 v[72:75], v[32:33], off offset:16
	v_add_u32_e32 v26, 2, v30
	v_lshl_add_u64 v[32:33], v[26:27], 4, s[10:11]
	global_load_dwordx4 v[76:79], v[32:33], off
	global_load_dwordx4 v[80:83], v[32:33], off offset:16
	v_add_u32_e32 v26, -10, v24
	v_lshl_add_u64 v[32:33], v[26:27], 4, s[8:9]
	v_add_u32_e32 v26, -9, v24
	global_load_dwordx4 v[84:87], v[32:33], off
	v_lshl_add_u64 v[32:33], v[26:27], 4, s[8:9]
	v_add_u32_e32 v26, -8, v24
	s_waitcnt vmcnt(4)
	v_fmac_f64_e32 v[22:23], v[40:41], v[68:69]
	v_fmac_f64_e32 v[14:15], v[42:43], v[68:69]
	v_fma_f64 v[88:89], -v[42:43], v[70:71], v[22:23]
	v_lshl_add_u64 v[22:23], v[26:27], 4, s[8:9]
	v_add_u32_e32 v26, -7, v24
	v_fmac_f64_e32 v[20:21], v[36:37], v[68:69]
	v_fmac_f64_e32 v[14:15], v[40:41], v[70:71]
	global_load_dwordx4 v[40:43], v[32:33], off
	v_fma_f64 v[90:91], -v[38:39], v[70:71], v[20:21]
	global_load_dwordx4 v[20:23], v[22:23], off
	v_lshl_add_u64 v[32:33], v[26:27], 4, s[8:9]
	v_add_u32_e32 v26, -6, v24
	v_fmac_f64_e32 v[12:13], v[38:39], v[68:69]
	v_fmac_f64_e32 v[18:19], v[48:49], v[68:69]
	;; [unrolled: 1-line block ×3, first 2 shown]
	v_lshl_add_u64 v[68:69], v[26:27], 4, s[8:9]
	v_add_u32_e32 v26, -5, v24
	v_fmac_f64_e32 v[12:13], v[36:37], v[70:71]
	v_fma_f64 v[18:19], -v[50:51], v[70:71], v[18:19]
	v_fmac_f64_e32 v[10:11], v[48:49], v[70:71]
	v_lshl_add_u64 v[70:71], v[26:27], 4, s[8:9]
	v_add_u32_e32 v26, 4, v30
	global_load_dwordx4 v[36:39], v[32:33], off
	s_nop 0
	global_load_dwordx4 v[30:33], v[68:69], off
	global_load_dwordx4 v[48:51], v[70:71], off
	s_waitcnt vmcnt(8)
	v_fmac_f64_e32 v[14:15], v[54:55], v[72:73]
	v_lshl_add_u64 v[68:69], v[26:27], 4, s[10:11]
	v_add_u32_e32 v26, -4, v24
	v_fmac_f64_e32 v[88:89], v[52:53], v[72:73]
	v_fmac_f64_e32 v[14:15], v[52:53], v[74:75]
	;; [unrolled: 1-line block ×6, first 2 shown]
	v_lshl_add_u64 v[72:73], v[26:27], 4, s[8:9]
	v_add_u32_e32 v26, -3, v24
	v_fma_f64 v[88:89], -v[54:55], v[74:75], v[88:89]
	v_fma_f64 v[90:91], -v[58:59], v[74:75], v[90:91]
	v_fmac_f64_e32 v[12:13], v[56:57], v[74:75]
	v_fma_f64 v[18:19], -v[62:63], v[74:75], v[18:19]
	v_fmac_f64_e32 v[10:11], v[60:61], v[74:75]
	v_lshl_add_u64 v[74:75], v[26:27], 4, s[8:9]
	v_add_u32_e32 v26, -2, v24
	s_waitcnt vmcnt(7)
	v_fmac_f64_e32 v[14:15], v[66:67], v[76:77]
	global_load_dwordx4 v[52:55], v[68:69], off offset:16
	global_load_dwordx4 v[56:59], v[68:69], off
	global_load_dwordx4 v[60:63], v[72:73], off
	s_nop 0
	global_load_dwordx4 v[68:71], v[74:75], off
	v_fmac_f64_e32 v[88:89], v[64:65], v[76:77]
	v_fmac_f64_e32 v[14:15], v[64:65], v[78:79]
	v_lshl_add_u64 v[64:65], v[26:27], 4, s[8:9]
	v_add_u32_e32 v26, -1, v24
	v_lshl_add_u64 v[72:73], v[26:27], 4, s[8:9]
	v_fma_f64 v[88:89], -v[66:67], v[78:79], v[88:89]
	global_load_dwordx4 v[64:67], v[64:65], off
	s_waitcnt vmcnt(10)
	v_fmac_f64_e32 v[90:91], v[84:85], v[76:77]
	global_load_dwordx4 v[72:75], v[72:73], off
	v_fmac_f64_e32 v[12:13], v[86:87], v[76:77]
	v_fma_f64 v[86:87], -v[86:87], v[78:79], v[90:91]
	v_fmac_f64_e32 v[12:13], v[84:85], v[78:79]
	v_add_u32_e32 v24, 0x480, v24
	s_waitcnt vmcnt(10)
	v_fmac_f64_e32 v[18:19], v[40:41], v[76:77]
	v_fmac_f64_e32 v[10:11], v[42:43], v[76:77]
	v_fma_f64 v[18:19], -v[42:43], v[78:79], v[18:19]
	v_fmac_f64_e32 v[10:11], v[40:41], v[78:79]
	s_waitcnt vmcnt(9)
	v_fmac_f64_e32 v[88:89], v[20:21], v[80:81]
	v_fmac_f64_e32 v[14:15], v[22:23], v[80:81]
	v_fma_f64 v[22:23], -v[22:23], v[82:83], v[88:89]
	v_fmac_f64_e32 v[14:15], v[20:21], v[82:83]
	s_waitcnt vmcnt(8)
	v_fmac_f64_e32 v[86:87], v[36:37], v[80:81]
	v_fmac_f64_e32 v[12:13], v[38:39], v[80:81]
	s_waitcnt vmcnt(7)
	v_fmac_f64_e32 v[18:19], v[30:31], v[80:81]
	v_fmac_f64_e32 v[10:11], v[32:33], v[80:81]
	v_fma_f64 v[20:21], -v[38:39], v[82:83], v[86:87]
	v_fmac_f64_e32 v[12:13], v[36:37], v[82:83]
	v_fma_f64 v[18:19], -v[32:33], v[82:83], v[18:19]
	v_fmac_f64_e32 v[10:11], v[30:31], v[82:83]
	s_waitcnt vmcnt(4)
	v_fmac_f64_e32 v[22:23], v[48:49], v[56:57]
	v_fmac_f64_e32 v[14:15], v[50:51], v[56:57]
	s_waitcnt vmcnt(3)
	v_fmac_f64_e32 v[20:21], v[60:61], v[56:57]
	;; [unrolled: 3-line block ×3, first 2 shown]
	v_fmac_f64_e32 v[10:11], v[70:71], v[56:57]
	v_fma_f64 v[22:23], -v[50:51], v[58:59], v[22:23]
	v_fmac_f64_e32 v[14:15], v[48:49], v[58:59]
	v_fma_f64 v[20:21], -v[62:63], v[58:59], v[20:21]
	;; [unrolled: 2-line block ×3, first 2 shown]
	v_fmac_f64_e32 v[10:11], v[68:69], v[58:59]
	s_waitcnt vmcnt(1)
	v_fmac_f64_e32 v[22:23], v[64:65], v[52:53]
	v_fmac_f64_e32 v[14:15], v[66:67], v[52:53]
	s_waitcnt vmcnt(0)
	v_fmac_f64_e32 v[20:21], v[72:73], v[52:53]
	v_fmac_f64_e32 v[12:13], v[74:75], v[52:53]
	;; [unrolled: 1-line block ×4, first 2 shown]
	v_fma_f64 v[22:23], -v[66:67], v[54:55], v[22:23]
	v_fmac_f64_e32 v[14:15], v[64:65], v[54:55]
	v_fma_f64 v[20:21], -v[74:75], v[54:55], v[20:21]
	v_fmac_f64_e32 v[12:13], v[72:73], v[54:55]
	;; [unrolled: 2-line block ×3, first 2 shown]
	s_andn2_b64 exec, exec, s[14:15]
	s_cbranch_execnz .LBB135_11
; %bb.12:
	s_or_b64 exec, exec, s[14:15]
.LBB135_13:
	s_or_b64 exec, exec, s[12:13]
	s_andn2_b64 vcc, exec, s[4:5]
	s_cbranch_vccz .LBB135_15
	s_branch .LBB135_20
.LBB135_14:
                                        ; implicit-def: $vgpr14_vgpr15
                                        ; implicit-def: $vgpr22_vgpr23
                                        ; implicit-def: $vgpr18_vgpr19
                                        ; implicit-def: $vgpr10_vgpr11
                                        ; implicit-def: $vgpr20_vgpr21
                                        ; implicit-def: $vgpr12_vgpr13
.LBB135_15:
	v_mov_b64_e32 v[14:15], 0
	v_mov_b64_e32 v[22:23], v[14:15]
	;; [unrolled: 1-line block ×6, first 2 shown]
	s_and_saveexec_b64 s[4:5], s[0:1]
	s_cbranch_execz .LBB135_19
; %bb.16:
	v_mad_u64_u32 v[24:25], s[0:1], v16, 18, 17
	v_mov_b64_e32 v[14:15], 0
	s_mov_b64 s[0:1], 0
	v_mov_b32_e32 v27, 0
	v_mov_b64_e32 v[22:23], v[14:15]
	v_mov_b64_e32 v[18:19], v[14:15]
	;; [unrolled: 1-line block ×5, first 2 shown]
.LBB135_17:                             ; =>This Inner Loop Header: Depth=1
	v_ashrrev_i32_e32 v17, 31, v16
	v_subrev_u32_e32 v26, 17, v24
	v_add_u32_e32 v32, -11, v24
	v_add_u32_e32 v30, -5, v24
	v_mov_b32_e32 v33, v27
	v_mov_b32_e32 v31, v27
	v_lshl_add_u64 v[48:49], v[16:17], 2, s[6:7]
	v_lshl_add_u64 v[50:51], v[26:27], 4, s[8:9]
	;; [unrolled: 1-line block ×4, first 2 shown]
	global_load_dword v17, v[48:49], off
	global_load_dwordx4 v[30:33], v[50:51], off offset:16
	global_load_dwordx4 v[36:39], v[50:51], off
	global_load_dwordx4 v[40:43], v[52:53], off
	;; [unrolled: 1-line block ×3, first 2 shown]
	v_add_u32_e32 v26, -10, v24
	v_mov_b32_e32 v25, v27
	v_lshl_add_u64 v[60:61], v[26:27], 4, s[8:9]
	v_add_u32_e32 v26, -4, v24
	v_mov_b32_e32 v29, v27
	v_lshl_add_u64 v[56:57], v[24:25], 4, s[8:9]
	v_lshl_add_u64 v[62:63], v[26:27], 4, s[8:9]
	v_add_u32_e32 v26, -15, v24
	global_load_dwordx4 v[48:51], v[56:57], off
	global_load_dwordx4 v[52:55], v[60:61], off
	s_nop 0
	global_load_dwordx4 v[56:59], v[62:63], off
	v_lshl_add_u64 v[60:61], v[26:27], 4, s[8:9]
	global_load_dwordx4 v[60:63], v[60:61], off
	v_add_u32_e32 v16, 64, v16
	v_cmp_ge_i32_e32 vcc, v16, v34
	s_or_b64 s[0:1], vcc, s[0:1]
	s_waitcnt vmcnt(8)
	v_subrev_u32_e32 v17, s16, v17
	v_mul_lo_u32 v28, v17, 6
	v_lshl_add_u64 v[72:73], v[28:29], 4, s[10:11]
	global_load_dwordx4 v[64:67], v[72:73], off
	global_load_dwordx4 v[68:71], v[72:73], off offset:16
	v_add_u32_e32 v26, 2, v28
	v_lshl_add_u64 v[76:77], v[26:27], 4, s[10:11]
	v_add_u32_e32 v26, -9, v24
	global_load_dwordx4 v[72:75], v[76:77], off
	s_waitcnt vmcnt(2)
	v_fmac_f64_e32 v[22:23], v[36:37], v[64:65]
	v_fma_f64 v[78:79], -v[38:39], v[66:67], v[22:23]
	v_lshl_add_u64 v[22:23], v[26:27], 4, s[8:9]
	v_add_u32_e32 v26, -3, v24
	v_fmac_f64_e32 v[12:13], v[42:43], v[64:65]
	v_fmac_f64_e32 v[14:15], v[38:39], v[64:65]
	;; [unrolled: 1-line block ×4, first 2 shown]
	v_lshl_add_u64 v[40:41], v[26:27], 4, s[8:9]
	v_fmac_f64_e32 v[14:15], v[36:37], v[66:67]
	global_load_dwordx4 v[36:39], v[76:77], off offset:16
	v_fma_f64 v[76:77], -v[42:43], v[66:67], v[20:21]
	global_load_dwordx4 v[20:23], v[22:23], off
	v_add_u32_e32 v26, -14, v24
	global_load_dwordx4 v[40:43], v[40:41], off
	v_fmac_f64_e32 v[10:11], v[46:47], v[64:65]
	v_fmac_f64_e32 v[18:19], v[44:45], v[64:65]
	;; [unrolled: 1-line block ×3, first 2 shown]
	v_lshl_add_u64 v[44:45], v[26:27], 4, s[8:9]
	v_add_u32_e32 v26, -8, v24
	v_lshl_add_u64 v[64:65], v[26:27], 4, s[8:9]
	v_add_u32_e32 v26, -2, v24
	s_waitcnt vmcnt(4)
	v_fmac_f64_e32 v[78:79], v[30:31], v[68:69]
	v_fma_f64 v[18:19], -v[46:47], v[66:67], v[18:19]
	v_fmac_f64_e32 v[14:15], v[32:33], v[68:69]
	v_fma_f64 v[32:33], -v[32:33], v[70:71], v[78:79]
	v_lshl_add_u64 v[78:79], v[26:27], 4, s[8:9]
	v_add_u32_e32 v26, -13, v24
	v_lshl_add_u64 v[80:81], v[26:27], 4, s[8:9]
	v_add_u32_e32 v26, 4, v28
	v_fmac_f64_e32 v[76:77], v[52:53], v[68:69]
	v_fmac_f64_e32 v[12:13], v[54:55], v[68:69]
	;; [unrolled: 1-line block ×3, first 2 shown]
	global_load_dwordx4 v[44:47], v[44:45], off
	v_fmac_f64_e32 v[14:15], v[30:31], v[70:71]
	global_load_dwordx4 v[28:31], v[64:65], off
	v_fma_f64 v[76:77], -v[54:55], v[70:71], v[76:77]
	v_fmac_f64_e32 v[12:13], v[52:53], v[70:71]
	global_load_dwordx4 v[52:55], v[78:79], off
	global_load_dwordx4 v[64:67], v[80:81], off
	v_fmac_f64_e32 v[10:11], v[58:59], v[68:69]
	v_fma_f64 v[78:79], -v[58:59], v[70:71], v[18:19]
	v_lshl_add_u64 v[18:19], v[26:27], 4, s[10:11]
	v_add_u32_e32 v26, -7, v24
	v_fmac_f64_e32 v[10:11], v[56:57], v[70:71]
	v_lshl_add_u64 v[80:81], v[26:27], 4, s[8:9]
	v_add_u32_e32 v26, -1, v24
	s_waitcnt vmcnt(7)
	v_fmac_f64_e32 v[32:33], v[60:61], v[72:73]
	v_fmac_f64_e32 v[14:15], v[62:63], v[72:73]
	v_lshl_add_u64 v[82:83], v[26:27], 4, s[8:9]
	v_add_u32_e32 v26, -12, v24
	global_load_dwordx4 v[56:59], v[18:19], off offset:16
	global_load_dwordx4 v[68:71], v[18:19], off
	v_fma_f64 v[32:33], -v[62:63], v[74:75], v[32:33]
	v_fmac_f64_e32 v[14:15], v[60:61], v[74:75]
	s_waitcnt vmcnt(7)
	v_fmac_f64_e32 v[12:13], v[22:23], v[72:73]
	v_fmac_f64_e32 v[76:77], v[20:21], v[72:73]
	s_waitcnt vmcnt(6)
	v_fmac_f64_e32 v[10:11], v[42:43], v[72:73]
	v_fmac_f64_e32 v[12:13], v[20:21], v[74:75]
	global_load_dwordx4 v[18:21], v[80:81], off
	global_load_dwordx4 v[60:63], v[82:83], off
	v_fmac_f64_e32 v[78:79], v[40:41], v[72:73]
	v_fmac_f64_e32 v[10:11], v[40:41], v[74:75]
	v_lshl_add_u64 v[40:41], v[26:27], 4, s[8:9]
	v_add_u32_e32 v26, -6, v24
	v_lshl_add_u64 v[72:73], v[26:27], 4, s[8:9]
	v_fma_f64 v[22:23], -v[22:23], v[74:75], v[76:77]
	v_fma_f64 v[76:77], -v[42:43], v[74:75], v[78:79]
	global_load_dwordx4 v[40:43], v[40:41], off
	v_add_u32_e32 v24, 0x480, v24
	global_load_dwordx4 v[72:75], v[72:73], off
	s_waitcnt vmcnt(9)
	v_fmac_f64_e32 v[32:33], v[44:45], v[36:37]
	v_fmac_f64_e32 v[14:15], v[46:47], v[36:37]
	s_waitcnt vmcnt(8)
	v_fmac_f64_e32 v[22:23], v[28:29], v[36:37]
	v_fmac_f64_e32 v[12:13], v[30:31], v[36:37]
	;; [unrolled: 3-line block ×3, first 2 shown]
	v_fma_f64 v[32:33], -v[46:47], v[38:39], v[32:33]
	v_fmac_f64_e32 v[14:15], v[44:45], v[38:39]
	v_fma_f64 v[22:23], -v[30:31], v[38:39], v[22:23]
	v_fmac_f64_e32 v[12:13], v[28:29], v[38:39]
	;; [unrolled: 2-line block ×3, first 2 shown]
	s_waitcnt vmcnt(4)
	v_fmac_f64_e32 v[32:33], v[64:65], v[68:69]
	v_fmac_f64_e32 v[14:15], v[66:67], v[68:69]
	v_fma_f64 v[30:31], -v[66:67], v[70:71], v[32:33]
	v_fmac_f64_e32 v[14:15], v[64:65], v[70:71]
	s_waitcnt vmcnt(3)
	v_fmac_f64_e32 v[22:23], v[18:19], v[68:69]
	v_fmac_f64_e32 v[12:13], v[20:21], v[68:69]
	s_waitcnt vmcnt(2)
	v_fmac_f64_e32 v[28:29], v[60:61], v[68:69]
	v_fmac_f64_e32 v[10:11], v[62:63], v[68:69]
	v_fma_f64 v[20:21], -v[20:21], v[70:71], v[22:23]
	v_fmac_f64_e32 v[12:13], v[18:19], v[70:71]
	v_fma_f64 v[18:19], -v[62:63], v[70:71], v[28:29]
	v_fmac_f64_e32 v[10:11], v[60:61], v[70:71]
	v_fmac_f64_e32 v[18:19], v[48:49], v[56:57]
	s_waitcnt vmcnt(1)
	v_fmac_f64_e32 v[30:31], v[40:41], v[56:57]
	v_fmac_f64_e32 v[14:15], v[42:43], v[56:57]
	s_waitcnt vmcnt(0)
	v_fmac_f64_e32 v[20:21], v[72:73], v[56:57]
	v_fmac_f64_e32 v[12:13], v[74:75], v[56:57]
	;; [unrolled: 1-line block ×3, first 2 shown]
	v_fma_f64 v[22:23], -v[42:43], v[58:59], v[30:31]
	v_fmac_f64_e32 v[14:15], v[40:41], v[58:59]
	v_fma_f64 v[20:21], -v[74:75], v[58:59], v[20:21]
	v_fmac_f64_e32 v[12:13], v[72:73], v[58:59]
	;; [unrolled: 2-line block ×3, first 2 shown]
	s_andn2_b64 exec, exec, s[0:1]
	s_cbranch_execnz .LBB135_17
; %bb.18:
	s_or_b64 exec, exec, s[0:1]
.LBB135_19:
	s_or_b64 exec, exec, s[4:5]
.LBB135_20:
	v_mov_b32_dpp v28, v12 row_shr:1 row_mask:0xf bank_mask:0xf
	v_mov_b32_dpp v29, v13 row_shr:1 row_mask:0xf bank_mask:0xf
	v_add_f64 v[12:13], v[12:13], v[28:29]
	v_mov_b32_dpp v16, v22 row_shr:1 row_mask:0xf bank_mask:0xf
	v_mov_b32_dpp v17, v23 row_shr:1 row_mask:0xf bank_mask:0xf
	v_mov_b32_dpp v28, v12 row_shr:2 row_mask:0xf bank_mask:0xf
	v_mov_b32_dpp v29, v13 row_shr:2 row_mask:0xf bank_mask:0xf
	v_add_f64 v[12:13], v[12:13], v[28:29]
	v_mov_b32_dpp v24, v14 row_shr:1 row_mask:0xf bank_mask:0xf
	v_mov_b32_dpp v25, v15 row_shr:1 row_mask:0xf bank_mask:0xf
	;; [unrolled: 5-line block ×3, first 2 shown]
	v_mov_b32_dpp v28, v12 row_shr:8 row_mask:0xf bank_mask:0xc
	v_mov_b32_dpp v29, v13 row_shr:8 row_mask:0xf bank_mask:0xc
	v_add_f64 v[12:13], v[12:13], v[28:29]
	v_add_f64 v[16:17], v[22:23], v[16:17]
	;; [unrolled: 1-line block ×3, first 2 shown]
	v_mov_b32_dpp v28, v12 row_bcast:15 row_mask:0xa bank_mask:0xf
	v_mov_b32_dpp v29, v13 row_bcast:15 row_mask:0xa bank_mask:0xf
	v_add_f64 v[28:29], v[12:13], v[28:29]
	v_mov_b32_dpp v12, v18 row_shr:1 row_mask:0xf bank_mask:0xf
	v_mov_b32_dpp v13, v19 row_shr:1 row_mask:0xf bank_mask:0xf
	v_add_f64 v[12:13], v[18:19], v[12:13]
	v_add_f64 v[20:21], v[20:21], v[26:27]
	v_mov_b32_dpp v22, v16 row_shr:2 row_mask:0xf bank_mask:0xf
	v_mov_b32_dpp v18, v12 row_shr:2 row_mask:0xf bank_mask:0xf
	v_mov_b32_dpp v19, v13 row_shr:2 row_mask:0xf bank_mask:0xf
	v_add_f64 v[12:13], v[12:13], v[18:19]
	v_mov_b32_dpp v23, v17 row_shr:2 row_mask:0xf bank_mask:0xf
	v_mov_b32_dpp v24, v14 row_shr:2 row_mask:0xf bank_mask:0xf
	v_mov_b32_dpp v18, v12 row_shr:4 row_mask:0xf bank_mask:0xe
	v_mov_b32_dpp v19, v13 row_shr:4 row_mask:0xf bank_mask:0xe
	v_add_f64 v[12:13], v[12:13], v[18:19]
	v_mov_b32_dpp v25, v15 row_shr:2 row_mask:0xf bank_mask:0xf
	;; [unrolled: 5-line block ×3, first 2 shown]
	v_add_f64 v[16:17], v[16:17], v[22:23]
	v_mov_b32_dpp v18, v12 row_bcast:15 row_mask:0xa bank_mask:0xf
	v_mov_b32_dpp v19, v13 row_bcast:15 row_mask:0xa bank_mask:0xf
	v_add_f64 v[32:33], v[12:13], v[18:19]
	v_mov_b32_dpp v12, v10 row_shr:1 row_mask:0xf bank_mask:0xf
	v_mov_b32_dpp v13, v11 row_shr:1 row_mask:0xf bank_mask:0xf
	v_add_f64 v[10:11], v[10:11], v[12:13]
	v_add_f64 v[14:15], v[14:15], v[24:25]
	;; [unrolled: 1-line block ×3, first 2 shown]
	v_mov_b32_dpp v12, v10 row_shr:2 row_mask:0xf bank_mask:0xf
	v_mov_b32_dpp v13, v11 row_shr:2 row_mask:0xf bank_mask:0xf
	v_add_f64 v[10:11], v[10:11], v[12:13]
	v_mov_b32_dpp v22, v16 row_shr:4 row_mask:0xf bank_mask:0xe
	v_mov_b32_dpp v23, v17 row_shr:4 row_mask:0xf bank_mask:0xe
	;; [unrolled: 1-line block ×8, first 2 shown]
	v_add_f64 v[16:17], v[16:17], v[22:23]
	v_add_f64 v[14:15], v[14:15], v[24:25]
	;; [unrolled: 1-line block ×4, first 2 shown]
	v_mov_b32_dpp v22, v16 row_shr:8 row_mask:0xf bank_mask:0xc
	v_mov_b32_dpp v23, v17 row_shr:8 row_mask:0xf bank_mask:0xc
	;; [unrolled: 1-line block ×8, first 2 shown]
	v_add_f64 v[16:17], v[16:17], v[22:23]
	v_add_f64 v[14:15], v[14:15], v[24:25]
	;; [unrolled: 1-line block ×4, first 2 shown]
	v_mov_b32_dpp v22, v16 row_bcast:15 row_mask:0xa bank_mask:0xf
	v_mov_b32_dpp v23, v17 row_bcast:15 row_mask:0xa bank_mask:0xf
	;; [unrolled: 1-line block ×8, first 2 shown]
	v_add_f64 v[16:17], v[16:17], v[22:23]
	v_add_f64 v[14:15], v[14:15], v[24:25]
	;; [unrolled: 1-line block ×4, first 2 shown]
	v_mov_b32_dpp v22, v16 row_bcast:31 row_mask:0xc bank_mask:0xf
	v_mov_b32_dpp v23, v17 row_bcast:31 row_mask:0xc bank_mask:0xf
	;; [unrolled: 1-line block ×12, first 2 shown]
	v_cmp_eq_u32_e32 vcc, 63, v9
	s_and_b64 exec, exec, vcc
	s_cbranch_execz .LBB135_25
; %bb.21:
	s_load_dwordx2 s[2:3], s[2:3], 0x48
	v_cmp_eq_f64_e32 vcc, 0, v[4:5]
	v_cmp_eq_f64_e64 s[0:1], 0, v[6:7]
	v_add_f64 v[16:17], v[16:17], v[22:23]
	v_add_f64 v[22:23], v[14:15], v[24:25]
	;; [unrolled: 1-line block ×6, first 2 shown]
	s_and_b64 s[0:1], vcc, s[0:1]
	s_and_saveexec_b64 s[4:5], s[0:1]
	s_xor_b64 s[0:1], exec, s[4:5]
	s_cbranch_execz .LBB135_23
; %bb.22:
	v_lshl_add_u32 v8, v8, 1, v8
	v_mul_f64 v[4:5], v[22:23], -v[2:3]
	v_mul_f64 v[6:7], v[0:1], v[22:23]
	v_ashrrev_i32_e32 v9, 31, v8
	v_fmac_f64_e32 v[4:5], v[0:1], v[16:17]
	v_fmac_f64_e32 v[6:7], v[2:3], v[16:17]
	s_waitcnt lgkmcnt(0)
	v_lshl_add_u64 v[8:9], v[8:9], 4, s[2:3]
	global_store_dwordx4 v[8:9], v[4:7], off
                                        ; implicit-def: $vgpr16_vgpr17
                                        ; implicit-def: $vgpr22_vgpr23
	s_nop 1
	v_mul_f64 v[4:5], v[18:19], -v[2:3]
	v_mul_f64 v[6:7], v[0:1], v[18:19]
	v_fmac_f64_e32 v[4:5], v[0:1], v[12:13]
	v_fmac_f64_e32 v[6:7], v[2:3], v[12:13]
	global_store_dwordx4 v[8:9], v[4:7], off offset:16
                                        ; implicit-def: $vgpr12_vgpr13
                                        ; implicit-def: $vgpr18_vgpr19
	s_nop 1
	v_mul_f64 v[4:5], v[14:15], -v[2:3]
	v_mul_f64 v[6:7], v[0:1], v[14:15]
	v_fmac_f64_e32 v[4:5], v[0:1], v[10:11]
	v_fmac_f64_e32 v[6:7], v[2:3], v[10:11]
	global_store_dwordx4 v[8:9], v[4:7], off offset:32
                                        ; implicit-def: $vgpr0_vgpr1
                                        ; implicit-def: $vgpr2_vgpr3
                                        ; implicit-def: $vgpr4_vgpr5
                                        ; implicit-def: $vgpr6_vgpr7
                                        ; implicit-def: $vgpr8
                                        ; implicit-def: $vgpr10_vgpr11
                                        ; implicit-def: $vgpr14_vgpr15
.LBB135_23:
	s_andn2_saveexec_b64 s[0:1], s[0:1]
	s_cbranch_execz .LBB135_25
; %bb.24:
	v_lshl_add_u32 v8, v8, 1, v8
	v_ashrrev_i32_e32 v9, 31, v8
	s_waitcnt lgkmcnt(0)
	v_lshl_add_u64 v[40:41], v[8:9], 4, s[2:3]
	global_load_dwordx4 v[24:27], v[40:41], off
	global_load_dwordx4 v[28:31], v[40:41], off offset:16
	global_load_dwordx4 v[32:35], v[40:41], off offset:32
	v_mul_f64 v[36:37], v[22:23], -v[2:3]
	v_mul_f64 v[20:21], v[0:1], v[22:23]
	v_mul_f64 v[22:23], v[18:19], -v[2:3]
	v_mul_f64 v[38:39], v[0:1], v[18:19]
	;; [unrolled: 2-line block ×3, first 2 shown]
	v_fmac_f64_e32 v[36:37], v[0:1], v[16:17]
	v_fmac_f64_e32 v[20:21], v[2:3], v[16:17]
	;; [unrolled: 1-line block ×6, first 2 shown]
	s_waitcnt vmcnt(2)
	v_fmac_f64_e32 v[36:37], v[4:5], v[24:25]
	v_fmac_f64_e32 v[20:21], v[6:7], v[24:25]
	s_waitcnt vmcnt(1)
	v_fmac_f64_e32 v[22:23], v[4:5], v[28:29]
	v_fmac_f64_e32 v[38:39], v[6:7], v[28:29]
	;; [unrolled: 3-line block ×3, first 2 shown]
	v_fma_f64 v[18:19], -v[6:7], v[26:27], v[36:37]
	v_fmac_f64_e32 v[20:21], v[4:5], v[26:27]
	v_fma_f64 v[36:37], -v[6:7], v[30:31], v[22:23]
	v_fmac_f64_e32 v[38:39], v[4:5], v[30:31]
	;; [unrolled: 2-line block ×3, first 2 shown]
	global_store_dwordx4 v[40:41], v[18:21], off
	global_store_dwordx4 v[40:41], v[36:39], off offset:16
	global_store_dwordx4 v[40:41], v[6:9], off offset:32
.LBB135_25:
	s_endpgm
	.section	.rodata,"a",@progbits
	.p2align	6, 0x0
	.amdhsa_kernel _ZN9rocsparseL19gebsrmvn_3xn_kernelILj128ELj6ELj64E21rocsparse_complex_numIdEEEvi20rocsparse_direction_NS_24const_host_device_scalarIT2_EEPKiS8_PKS5_SA_S6_PS5_21rocsparse_index_base_b
		.amdhsa_group_segment_fixed_size 2048
		.amdhsa_private_segment_fixed_size 0
		.amdhsa_kernarg_size 88
		.amdhsa_user_sgpr_count 4
		.amdhsa_user_sgpr_dispatch_ptr 1
		.amdhsa_user_sgpr_queue_ptr 0
		.amdhsa_user_sgpr_kernarg_segment_ptr 1
		.amdhsa_user_sgpr_dispatch_id 0
		.amdhsa_user_sgpr_kernarg_preload_length 0
		.amdhsa_user_sgpr_kernarg_preload_offset 0
		.amdhsa_user_sgpr_private_segment_size 0
		.amdhsa_uses_dynamic_stack 0
		.amdhsa_enable_private_segment 0
		.amdhsa_system_sgpr_workgroup_id_x 1
		.amdhsa_system_sgpr_workgroup_id_y 0
		.amdhsa_system_sgpr_workgroup_id_z 0
		.amdhsa_system_sgpr_workgroup_info 0
		.amdhsa_system_vgpr_workitem_id 2
		.amdhsa_next_free_vgpr 92
		.amdhsa_next_free_sgpr 20
		.amdhsa_accum_offset 92
		.amdhsa_reserve_vcc 1
		.amdhsa_float_round_mode_32 0
		.amdhsa_float_round_mode_16_64 0
		.amdhsa_float_denorm_mode_32 3
		.amdhsa_float_denorm_mode_16_64 3
		.amdhsa_dx10_clamp 1
		.amdhsa_ieee_mode 1
		.amdhsa_fp16_overflow 0
		.amdhsa_tg_split 0
		.amdhsa_exception_fp_ieee_invalid_op 0
		.amdhsa_exception_fp_denorm_src 0
		.amdhsa_exception_fp_ieee_div_zero 0
		.amdhsa_exception_fp_ieee_overflow 0
		.amdhsa_exception_fp_ieee_underflow 0
		.amdhsa_exception_fp_ieee_inexact 0
		.amdhsa_exception_int_div_zero 0
	.end_amdhsa_kernel
	.section	.text._ZN9rocsparseL19gebsrmvn_3xn_kernelILj128ELj6ELj64E21rocsparse_complex_numIdEEEvi20rocsparse_direction_NS_24const_host_device_scalarIT2_EEPKiS8_PKS5_SA_S6_PS5_21rocsparse_index_base_b,"axG",@progbits,_ZN9rocsparseL19gebsrmvn_3xn_kernelILj128ELj6ELj64E21rocsparse_complex_numIdEEEvi20rocsparse_direction_NS_24const_host_device_scalarIT2_EEPKiS8_PKS5_SA_S6_PS5_21rocsparse_index_base_b,comdat
.Lfunc_end135:
	.size	_ZN9rocsparseL19gebsrmvn_3xn_kernelILj128ELj6ELj64E21rocsparse_complex_numIdEEEvi20rocsparse_direction_NS_24const_host_device_scalarIT2_EEPKiS8_PKS5_SA_S6_PS5_21rocsparse_index_base_b, .Lfunc_end135-_ZN9rocsparseL19gebsrmvn_3xn_kernelILj128ELj6ELj64E21rocsparse_complex_numIdEEEvi20rocsparse_direction_NS_24const_host_device_scalarIT2_EEPKiS8_PKS5_SA_S6_PS5_21rocsparse_index_base_b
                                        ; -- End function
	.section	.AMDGPU.csdata,"",@progbits
; Kernel info:
; codeLenInByte = 3688
; NumSgprs: 26
; NumVgprs: 92
; NumAgprs: 0
; TotalNumVgprs: 92
; ScratchSize: 0
; MemoryBound: 0
; FloatMode: 240
; IeeeMode: 1
; LDSByteSize: 2048 bytes/workgroup (compile time only)
; SGPRBlocks: 3
; VGPRBlocks: 11
; NumSGPRsForWavesPerEU: 26
; NumVGPRsForWavesPerEU: 92
; AccumOffset: 92
; Occupancy: 5
; WaveLimiterHint : 1
; COMPUTE_PGM_RSRC2:SCRATCH_EN: 0
; COMPUTE_PGM_RSRC2:USER_SGPR: 4
; COMPUTE_PGM_RSRC2:TRAP_HANDLER: 0
; COMPUTE_PGM_RSRC2:TGID_X_EN: 1
; COMPUTE_PGM_RSRC2:TGID_Y_EN: 0
; COMPUTE_PGM_RSRC2:TGID_Z_EN: 0
; COMPUTE_PGM_RSRC2:TIDIG_COMP_CNT: 2
; COMPUTE_PGM_RSRC3_GFX90A:ACCUM_OFFSET: 22
; COMPUTE_PGM_RSRC3_GFX90A:TG_SPLIT: 0
	.section	.text._ZN9rocsparseL19gebsrmvn_3xn_kernelILj128ELj7ELj4E21rocsparse_complex_numIdEEEvi20rocsparse_direction_NS_24const_host_device_scalarIT2_EEPKiS8_PKS5_SA_S6_PS5_21rocsparse_index_base_b,"axG",@progbits,_ZN9rocsparseL19gebsrmvn_3xn_kernelILj128ELj7ELj4E21rocsparse_complex_numIdEEEvi20rocsparse_direction_NS_24const_host_device_scalarIT2_EEPKiS8_PKS5_SA_S6_PS5_21rocsparse_index_base_b,comdat
	.globl	_ZN9rocsparseL19gebsrmvn_3xn_kernelILj128ELj7ELj4E21rocsparse_complex_numIdEEEvi20rocsparse_direction_NS_24const_host_device_scalarIT2_EEPKiS8_PKS5_SA_S6_PS5_21rocsparse_index_base_b ; -- Begin function _ZN9rocsparseL19gebsrmvn_3xn_kernelILj128ELj7ELj4E21rocsparse_complex_numIdEEEvi20rocsparse_direction_NS_24const_host_device_scalarIT2_EEPKiS8_PKS5_SA_S6_PS5_21rocsparse_index_base_b
	.p2align	8
	.type	_ZN9rocsparseL19gebsrmvn_3xn_kernelILj128ELj7ELj4E21rocsparse_complex_numIdEEEvi20rocsparse_direction_NS_24const_host_device_scalarIT2_EEPKiS8_PKS5_SA_S6_PS5_21rocsparse_index_base_b,@function
_ZN9rocsparseL19gebsrmvn_3xn_kernelILj128ELj7ELj4E21rocsparse_complex_numIdEEEvi20rocsparse_direction_NS_24const_host_device_scalarIT2_EEPKiS8_PKS5_SA_S6_PS5_21rocsparse_index_base_b: ; @_ZN9rocsparseL19gebsrmvn_3xn_kernelILj128ELj7ELj4E21rocsparse_complex_numIdEEEvi20rocsparse_direction_NS_24const_host_device_scalarIT2_EEPKiS8_PKS5_SA_S6_PS5_21rocsparse_index_base_b
; %bb.0:
	s_load_dwordx2 s[16:17], s[2:3], 0x50
	s_load_dwordx4 s[12:15], s[2:3], 0x8
	s_load_dwordx4 s[8:11], s[2:3], 0x38
	s_load_dwordx2 s[18:19], s[0:1], 0x4
	s_mov_b64 s[6:7], src_shared_base
	s_waitcnt lgkmcnt(0)
	s_bitcmp1_b32 s17, 0
	s_cselect_b64 s[0:1], -1, 0
	s_and_b64 vcc, s[0:1], exec
	s_cselect_b32 s5, s7, s13
	s_lshr_b32 s6, s18, 16
	v_bfe_u32 v1, v0, 10, 10
	v_and_b32_e32 v10, 0x3ff, v0
	s_mul_i32 s6, s6, s19
	v_mul_u32_u24_e32 v1, s19, v1
	v_mad_u32_u24 v1, s6, v10, v1
	v_bfe_u32 v0, v0, 20, 10
	v_add_lshl_u32 v4, v1, v0, 3
	v_mov_b32_e32 v5, s12
	v_add_u32_e32 v6, 0x400, v4
	v_mov_b64_e32 v[0:1], s[12:13]
	v_mov_b64_e32 v[2:3], s[8:9]
	ds_write2st64_b64 v4, v[2:3], v[0:1] offset1:2
	v_cndmask_b32_e64 v0, v5, v6, s[0:1]
	v_mov_b32_e32 v1, s5
	flat_load_dwordx2 v[0:1], v[0:1]
	s_xor_b64 s[18:19], s[0:1], -1
	v_mov_b64_e32 v[2:3], s[14:15]
	s_cbranch_vccnz .LBB136_2
; %bb.1:
	v_mov_b64_e32 v[2:3], s[12:13]
	flat_load_dwordx2 v[2:3], v[2:3] offset:8
.LBB136_2:
	s_and_b64 s[12:13], s[0:1], exec
	s_cselect_b32 s5, s7, s9
	v_mov_b32_e32 v5, s8
	v_cndmask_b32_e64 v4, v5, v4, s[0:1]
	v_mov_b32_e32 v5, s5
	flat_load_dwordx2 v[4:5], v[4:5]
	s_andn2_b64 vcc, exec, s[18:19]
	v_mov_b64_e32 v[6:7], s[10:11]
	s_cbranch_vccnz .LBB136_4
; %bb.3:
	v_mov_b64_e32 v[6:7], s[8:9]
	flat_load_dwordx2 v[6:7], v[6:7] offset:8
.LBB136_4:
	s_waitcnt vmcnt(0) lgkmcnt(0)
	v_cmp_eq_f64_e32 vcc, 0, v[0:1]
	v_cmp_eq_f64_e64 s[0:1], 0, v[2:3]
	s_and_b64 s[8:9], vcc, s[0:1]
	s_mov_b64 s[0:1], -1
	s_and_saveexec_b64 s[6:7], s[8:9]
; %bb.5:
	v_cmp_neq_f64_e32 vcc, 1.0, v[4:5]
	v_cmp_neq_f64_e64 s[0:1], 0, v[6:7]
	s_or_b64 s[0:1], vcc, s[0:1]
	s_orn2_b64 s[0:1], s[0:1], exec
; %bb.6:
	s_or_b64 exec, exec, s[6:7]
	s_and_saveexec_b64 s[6:7], s[0:1]
	s_cbranch_execz .LBB136_25
; %bb.7:
	s_load_dwordx2 s[0:1], s[2:3], 0x0
	v_lshrrev_b32_e32 v8, 2, v10
	v_lshl_or_b32 v8, s4, 5, v8
	s_waitcnt lgkmcnt(0)
	v_cmp_gt_i32_e32 vcc, s0, v8
	s_and_b64 exec, exec, vcc
	s_cbranch_execz .LBB136_25
; %bb.8:
	s_load_dwordx8 s[4:11], s[2:3], 0x18
	v_ashrrev_i32_e32 v9, 31, v8
	s_cmp_lg_u32 s1, 0
	s_waitcnt lgkmcnt(0)
	v_lshl_add_u64 v[12:13], v[8:9], 2, s[4:5]
	global_load_dwordx2 v[12:13], v[12:13], off
	v_and_b32_e32 v9, 3, v10
	s_waitcnt vmcnt(0)
	v_subrev_u32_e32 v10, s16, v12
	v_subrev_u32_e32 v34, s16, v13
	v_add_u32_e32 v16, v10, v9
	v_cmp_lt_i32_e64 s[0:1], v16, v34
	s_cbranch_scc0 .LBB136_14
; %bb.9:
	v_mov_b64_e32 v[12:13], 0
	s_mov_b64 s[4:5], 0
	v_mov_b64_e32 v[22:23], v[12:13]
	v_mov_b64_e32 v[18:19], v[12:13]
	;; [unrolled: 1-line block ×5, first 2 shown]
	s_and_saveexec_b64 s[12:13], s[0:1]
	s_cbranch_execz .LBB136_13
; %bb.10:
	v_mad_u64_u32 v[24:25], s[14:15], v16, 21, 20
	v_mov_b64_e32 v[12:13], 0
	s_mov_b64 s[14:15], 0
	v_mov_b32_e32 v27, 0
	v_mov_b32_e32 v28, v16
	v_mov_b64_e32 v[22:23], v[12:13]
	v_mov_b64_e32 v[18:19], v[12:13]
	;; [unrolled: 1-line block ×5, first 2 shown]
.LBB136_11:                             ; =>This Inner Loop Header: Depth=1
	v_ashrrev_i32_e32 v29, 31, v28
	v_subrev_u32_e32 v26, 20, v24
	v_lshl_add_u64 v[32:33], v[28:29], 2, s[6:7]
	v_lshl_add_u64 v[40:41], v[26:27], 4, s[8:9]
	global_load_dword v17, v[32:33], off
	global_load_dwordx4 v[36:39], v[40:41], off
	v_subrev_u32_e32 v26, 19, v24
	v_mov_b32_e32 v25, v27
	v_lshl_add_u64 v[32:33], v[26:27], 4, s[8:9]
	v_subrev_u32_e32 v26, 18, v24
	v_lshl_add_u64 v[42:43], v[24:25], 4, s[8:9]
	v_lshl_add_u64 v[52:53], v[26:27], 4, s[8:9]
	v_subrev_u32_e32 v26, 17, v24
	v_mov_b32_e32 v31, v27
	global_load_dwordx4 v[40:43], v[42:43], off
	s_nop 0
	global_load_dwordx4 v[44:47], v[32:33], off
	global_load_dwordx4 v[48:51], v[52:53], off
	v_lshl_add_u64 v[32:33], v[26:27], 4, s[8:9]
	global_load_dwordx4 v[52:55], v[32:33], off
	v_add_u32_e32 v28, 4, v28
	v_cmp_ge_i32_e32 vcc, v28, v34
	s_or_b64 s[14:15], vcc, s[14:15]
	s_waitcnt vmcnt(5)
	v_subrev_u32_e32 v17, s16, v17
	v_mul_lo_u32 v30, v17, 7
	v_lshl_add_u64 v[32:33], v[30:31], 4, s[10:11]
	global_load_dwordx4 v[56:59], v[32:33], off
	v_add_u32_e32 v26, 1, v30
	v_lshl_add_u64 v[32:33], v[26:27], 4, s[10:11]
	v_add_u32_e32 v26, -16, v24
	global_load_dwordx4 v[60:63], v[32:33], off
	v_lshl_add_u64 v[32:33], v[26:27], 4, s[8:9]
	v_add_u32_e32 v26, -15, v24
	global_load_dwordx4 v[64:67], v[32:33], off
	;; [unrolled: 3-line block ×3, first 2 shown]
	v_lshl_add_u64 v[32:33], v[26:27], 4, s[8:9]
	v_add_u32_e32 v26, 2, v30
	global_load_dwordx4 v[72:75], v[32:33], off
	v_lshl_add_u64 v[32:33], v[26:27], 4, s[10:11]
	v_add_u32_e32 v26, -13, v24
	global_load_dwordx4 v[76:79], v[32:33], off
	v_lshl_add_u64 v[32:33], v[26:27], 4, s[8:9]
	v_add_u32_e32 v26, -12, v24
	;; [unrolled: 3-line block ×3, first 2 shown]
	global_load_dwordx4 v[84:87], v[32:33], off
	v_lshl_add_u64 v[32:33], v[26:27], 4, s[8:9]
	v_add_u32_e32 v26, 3, v30
	s_waitcnt vmcnt(7)
	v_fmac_f64_e32 v[22:23], v[36:37], v[56:57]
	v_fma_f64 v[88:89], -v[38:39], v[58:59], v[22:23]
	v_lshl_add_u64 v[22:23], v[26:27], 4, s[10:11]
	v_add_u32_e32 v26, -10, v24
	v_fmac_f64_e32 v[14:15], v[46:47], v[56:57]
	v_fmac_f64_e32 v[20:21], v[44:45], v[56:57]
	;; [unrolled: 1-line block ×3, first 2 shown]
	v_lshl_add_u64 v[44:45], v[26:27], 4, s[8:9]
	v_add_u32_e32 v26, -9, v24
	v_fmac_f64_e32 v[10:11], v[50:51], v[56:57]
	v_fmac_f64_e32 v[12:13], v[38:39], v[56:57]
	;; [unrolled: 1-line block ×4, first 2 shown]
	v_lshl_add_u64 v[48:49], v[26:27], 4, s[8:9]
	v_fmac_f64_e32 v[12:13], v[36:37], v[58:59]
	global_load_dwordx4 v[36:39], v[32:33], off
	v_fma_f64 v[18:19], -v[50:51], v[58:59], v[18:19]
	global_load_dwordx4 v[48:51], v[48:49], off
	v_fma_f64 v[32:33], -v[46:47], v[58:59], v[20:21]
	global_load_dwordx4 v[20:23], v[22:23], off
	v_add_u32_e32 v26, -8, v24
	global_load_dwordx4 v[44:47], v[44:45], off
	v_lshl_add_u64 v[56:57], v[26:27], 4, s[8:9]
	v_add_u32_e32 v26, 4, v30
	s_waitcnt vmcnt(10)
	v_fmac_f64_e32 v[88:89], v[52:53], v[60:61]
	v_fmac_f64_e32 v[12:13], v[54:55], v[60:61]
	v_fma_f64 v[88:89], -v[54:55], v[62:63], v[88:89]
	v_fmac_f64_e32 v[12:13], v[52:53], v[62:63]
	global_load_dwordx4 v[52:55], v[56:57], off
	v_lshl_add_u64 v[56:57], v[26:27], 4, s[10:11]
	v_add_u32_e32 v26, -7, v24
	v_lshl_add_u64 v[90:91], v[26:27], 4, s[8:9]
	v_add_u32_e32 v26, -6, v24
	s_waitcnt vmcnt(9)
	v_fmac_f64_e32 v[10:11], v[70:71], v[60:61]
	v_fmac_f64_e32 v[32:33], v[64:65], v[60:61]
	;; [unrolled: 1-line block ×5, first 2 shown]
	v_lshl_add_u64 v[68:69], v[26:27], 4, s[8:9]
	v_add_u32_e32 v26, -5, v24
	v_fma_f64 v[32:33], -v[66:67], v[62:63], v[32:33]
	v_fmac_f64_e32 v[14:15], v[64:65], v[62:63]
	global_load_dwordx4 v[56:59], v[56:57], off
	v_fma_f64 v[18:19], -v[70:71], v[62:63], v[18:19]
	global_load_dwordx4 v[60:63], v[90:91], off
	global_load_dwordx4 v[64:67], v[68:69], off
	v_lshl_add_u64 v[68:69], v[26:27], 4, s[8:9]
	v_add_u32_e32 v26, 5, v30
	s_waitcnt vmcnt(10)
	v_fmac_f64_e32 v[12:13], v[74:75], v[76:77]
	v_fmac_f64_e32 v[88:89], v[72:73], v[76:77]
	;; [unrolled: 1-line block ×3, first 2 shown]
	v_lshl_add_u64 v[72:73], v[26:27], 4, s[10:11]
	v_add_u32_e32 v26, -4, v24
	s_waitcnt vmcnt(9)
	v_fmac_f64_e32 v[32:33], v[80:81], v[76:77]
	v_fma_f64 v[90:91], -v[82:83], v[78:79], v[32:33]
	v_lshl_add_u64 v[32:33], v[26:27], 4, s[8:9]
	v_add_u32_e32 v26, -3, v24
	s_waitcnt vmcnt(8)
	v_fmac_f64_e32 v[10:11], v[86:87], v[76:77]
	v_fmac_f64_e32 v[14:15], v[82:83], v[76:77]
	;; [unrolled: 1-line block ×4, first 2 shown]
	v_lshl_add_u64 v[84:85], v[26:27], 4, s[8:9]
	v_add_u32_e32 v26, -2, v24
	v_fma_f64 v[88:89], -v[74:75], v[78:79], v[88:89]
	v_fmac_f64_e32 v[14:15], v[80:81], v[78:79]
	v_fma_f64 v[18:19], -v[86:87], v[78:79], v[18:19]
	v_lshl_add_u64 v[86:87], v[26:27], 4, s[8:9]
	v_add_u32_e32 v26, 6, v30
	global_load_dwordx4 v[68:71], v[68:69], off
	s_waitcnt vmcnt(6)
	v_fmac_f64_e32 v[12:13], v[38:39], v[20:21]
	global_load_dwordx4 v[76:79], v[32:33], off
	v_fmac_f64_e32 v[88:89], v[36:37], v[20:21]
	global_load_dwordx4 v[72:75], v[72:73], off
	v_fmac_f64_e32 v[12:13], v[36:37], v[22:23]
	v_lshl_add_u64 v[36:37], v[26:27], 4, s[10:11]
	v_add_u32_e32 v26, -1, v24
	s_waitcnt vmcnt(7)
	v_fmac_f64_e32 v[14:15], v[46:47], v[20:21]
	global_load_dwordx4 v[30:33], v[84:85], off
	global_load_dwordx4 v[80:83], v[86:87], off
	v_fmac_f64_e32 v[90:91], v[44:45], v[20:21]
	v_fmac_f64_e32 v[14:15], v[44:45], v[22:23]
	v_lshl_add_u64 v[44:45], v[26:27], 4, s[8:9]
	v_fma_f64 v[84:85], -v[38:39], v[22:23], v[88:89]
	global_load_dwordx4 v[36:39], v[36:37], off
	v_fma_f64 v[86:87], -v[46:47], v[22:23], v[90:91]
	global_load_dwordx4 v[44:47], v[44:45], off
	v_fmac_f64_e32 v[18:19], v[48:49], v[20:21]
	v_fmac_f64_e32 v[10:11], v[50:51], v[20:21]
	v_fma_f64 v[18:19], -v[50:51], v[22:23], v[18:19]
	v_fmac_f64_e32 v[10:11], v[48:49], v[22:23]
	v_add_u32_e32 v24, 0x54, v24
	s_waitcnt vmcnt(9)
	v_fmac_f64_e32 v[84:85], v[52:53], v[56:57]
	v_fmac_f64_e32 v[12:13], v[54:55], v[56:57]
	s_waitcnt vmcnt(8)
	v_fmac_f64_e32 v[86:87], v[60:61], v[56:57]
	v_fmac_f64_e32 v[14:15], v[62:63], v[56:57]
	;; [unrolled: 3-line block ×3, first 2 shown]
	v_fma_f64 v[20:21], -v[54:55], v[58:59], v[84:85]
	v_fmac_f64_e32 v[12:13], v[52:53], v[58:59]
	v_fma_f64 v[22:23], -v[62:63], v[58:59], v[86:87]
	v_fmac_f64_e32 v[14:15], v[60:61], v[58:59]
	;; [unrolled: 2-line block ×3, first 2 shown]
	s_waitcnt vmcnt(4)
	v_fmac_f64_e32 v[20:21], v[68:69], v[72:73]
	v_fmac_f64_e32 v[12:13], v[70:71], v[72:73]
	v_fmac_f64_e32 v[22:23], v[76:77], v[72:73]
	v_fmac_f64_e32 v[14:15], v[78:79], v[72:73]
	s_waitcnt vmcnt(3)
	v_fmac_f64_e32 v[18:19], v[30:31], v[72:73]
	v_fmac_f64_e32 v[10:11], v[32:33], v[72:73]
	v_fma_f64 v[20:21], -v[70:71], v[74:75], v[20:21]
	v_fmac_f64_e32 v[12:13], v[68:69], v[74:75]
	v_fma_f64 v[48:49], -v[78:79], v[74:75], v[22:23]
	;; [unrolled: 2-line block ×3, first 2 shown]
	v_fmac_f64_e32 v[10:11], v[30:31], v[74:75]
	s_waitcnt vmcnt(1)
	v_fmac_f64_e32 v[20:21], v[80:81], v[36:37]
	v_fmac_f64_e32 v[12:13], v[82:83], v[36:37]
	;; [unrolled: 1-line block ×4, first 2 shown]
	s_waitcnt vmcnt(0)
	v_fmac_f64_e32 v[48:49], v[44:45], v[36:37]
	v_fmac_f64_e32 v[14:15], v[46:47], v[36:37]
	v_fma_f64 v[22:23], -v[82:83], v[38:39], v[20:21]
	v_fmac_f64_e32 v[12:13], v[80:81], v[38:39]
	v_fma_f64 v[18:19], -v[42:43], v[38:39], v[18:19]
	;; [unrolled: 2-line block ×3, first 2 shown]
	v_fmac_f64_e32 v[14:15], v[44:45], v[38:39]
	s_andn2_b64 exec, exec, s[14:15]
	s_cbranch_execnz .LBB136_11
; %bb.12:
	s_or_b64 exec, exec, s[14:15]
.LBB136_13:
	s_or_b64 exec, exec, s[12:13]
	s_andn2_b64 vcc, exec, s[4:5]
	s_cbranch_vccz .LBB136_15
	s_branch .LBB136_20
.LBB136_14:
                                        ; implicit-def: $vgpr12_vgpr13
                                        ; implicit-def: $vgpr22_vgpr23
                                        ; implicit-def: $vgpr18_vgpr19
                                        ; implicit-def: $vgpr10_vgpr11
                                        ; implicit-def: $vgpr20_vgpr21
                                        ; implicit-def: $vgpr14_vgpr15
.LBB136_15:
	v_mov_b64_e32 v[12:13], 0
	v_mov_b64_e32 v[22:23], v[12:13]
	;; [unrolled: 1-line block ×6, first 2 shown]
	s_and_saveexec_b64 s[4:5], s[0:1]
	s_cbranch_execz .LBB136_19
; %bb.16:
	v_mad_u64_u32 v[24:25], s[0:1], v16, 21, 20
	v_mov_b64_e32 v[12:13], 0
	s_mov_b64 s[0:1], 0
	v_mov_b32_e32 v27, 0
	v_mov_b64_e32 v[22:23], v[12:13]
	v_mov_b64_e32 v[18:19], v[12:13]
	;; [unrolled: 1-line block ×5, first 2 shown]
.LBB136_17:                             ; =>This Inner Loop Header: Depth=1
	v_ashrrev_i32_e32 v17, 31, v16
	v_subrev_u32_e32 v26, 20, v24
	v_add_u32_e32 v32, -13, v24
	v_add_u32_e32 v30, -6, v24
	v_mov_b32_e32 v33, v27
	v_mov_b32_e32 v31, v27
	v_lshl_add_u64 v[44:45], v[16:17], 2, s[6:7]
	v_lshl_add_u64 v[46:47], v[26:27], 4, s[8:9]
	;; [unrolled: 1-line block ×4, first 2 shown]
	global_load_dword v17, v[44:45], off
	global_load_dwordx4 v[30:33], v[46:47], off
	global_load_dwordx4 v[36:39], v[48:49], off
	;; [unrolled: 1-line block ×3, first 2 shown]
	v_mov_b32_e32 v29, v27
	v_subrev_u32_e32 v26, 19, v24
	v_lshl_add_u64 v[44:45], v[26:27], 4, s[8:9]
	global_load_dwordx4 v[44:47], v[44:45], off
	v_mov_b32_e32 v25, v27
	v_lshl_add_u64 v[76:77], v[24:25], 4, s[8:9]
	v_add_u32_e32 v16, 4, v16
	v_cmp_ge_i32_e32 vcc, v16, v34
	s_or_b64 s[0:1], vcc, s[0:1]
	s_waitcnt vmcnt(4)
	v_subrev_u32_e32 v17, s16, v17
	v_mul_lo_u32 v28, v17, 7
	v_lshl_add_u64 v[48:49], v[28:29], 4, s[10:11]
	global_load_dwordx4 v[48:51], v[48:49], off
	v_add_u32_e32 v26, 1, v28
	v_lshl_add_u64 v[52:53], v[26:27], 4, s[10:11]
	global_load_dwordx4 v[52:55], v[52:53], off
	v_add_u32_e32 v26, -12, v24
	v_lshl_add_u64 v[56:57], v[26:27], 4, s[8:9]
	v_add_u32_e32 v26, -5, v24
	v_lshl_add_u64 v[60:61], v[26:27], 4, s[8:9]
	v_subrev_u32_e32 v26, 18, v24
	v_lshl_add_u64 v[64:65], v[26:27], 4, s[8:9]
	v_add_u32_e32 v26, 2, v28
	global_load_dwordx4 v[56:59], v[56:57], off
	v_lshl_add_u64 v[68:69], v[26:27], 4, s[10:11]
	global_load_dwordx4 v[60:63], v[60:61], off
	v_add_u32_e32 v26, -11, v24
	v_lshl_add_u64 v[72:73], v[26:27], 4, s[8:9]
	v_add_u32_e32 v26, -4, v24
	global_load_dwordx4 v[64:67], v[64:65], off
	s_waitcnt vmcnt(4)
	v_fmac_f64_e32 v[22:23], v[30:31], v[48:49]
	global_load_dwordx4 v[68:71], v[68:69], off
	v_fmac_f64_e32 v[12:13], v[32:33], v[48:49]
	v_fma_f64 v[78:79], -v[32:33], v[50:51], v[22:23]
	v_lshl_add_u64 v[22:23], v[26:27], 4, s[8:9]
	global_load_dwordx4 v[72:75], v[72:73], off
	v_fmac_f64_e32 v[12:13], v[30:31], v[50:51]
	v_subrev_u32_e32 v26, 17, v24
	global_load_dwordx4 v[30:33], v[22:23], off
	v_fmac_f64_e32 v[20:21], v[36:37], v[48:49]
	v_fmac_f64_e32 v[14:15], v[38:39], v[48:49]
	v_fma_f64 v[80:81], -v[38:39], v[50:51], v[20:21]
	v_lshl_add_u64 v[20:21], v[26:27], 4, s[8:9]
	v_add_u32_e32 v26, 3, v28
	v_fmac_f64_e32 v[14:15], v[36:37], v[50:51]
	v_fmac_f64_e32 v[10:11], v[42:43], v[48:49]
	v_lshl_add_u64 v[36:37], v[26:27], 4, s[10:11]
	v_add_u32_e32 v26, -10, v24
	global_load_dwordx4 v[20:23], v[20:21], off
	v_fmac_f64_e32 v[18:19], v[40:41], v[48:49]
	v_fmac_f64_e32 v[10:11], v[40:41], v[50:51]
	global_load_dwordx4 v[36:39], v[36:37], off
	v_lshl_add_u64 v[40:41], v[26:27], 4, s[8:9]
	v_fma_f64 v[18:19], -v[42:43], v[50:51], v[18:19]
	v_add_u32_e32 v26, -3, v24
	global_load_dwordx4 v[40:43], v[40:41], off
	s_waitcnt vmcnt(9)
	v_fmac_f64_e32 v[12:13], v[46:47], v[52:53]
	v_fmac_f64_e32 v[78:79], v[44:45], v[52:53]
	v_fmac_f64_e32 v[12:13], v[44:45], v[54:55]
	v_lshl_add_u64 v[44:45], v[26:27], 4, s[8:9]
	v_fma_f64 v[78:79], -v[46:47], v[54:55], v[78:79]
	global_load_dwordx4 v[44:47], v[44:45], off
	v_add_u32_e32 v26, -16, v24
	v_lshl_add_u64 v[48:49], v[26:27], 4, s[8:9]
	global_load_dwordx4 v[48:51], v[48:49], off
	v_add_u32_e32 v26, 4, v28
	s_waitcnt vmcnt(10)
	v_fmac_f64_e32 v[80:81], v[56:57], v[52:53]
	v_fmac_f64_e32 v[14:15], v[58:59], v[52:53]
	s_waitcnt vmcnt(9)
	v_fmac_f64_e32 v[18:19], v[60:61], v[52:53]
	v_fmac_f64_e32 v[10:11], v[62:63], v[52:53]
	v_lshl_add_u64 v[52:53], v[26:27], 4, s[10:11]
	v_add_u32_e32 v26, -9, v24
	v_lshl_add_u64 v[82:83], v[26:27], 4, s[8:9]
	v_add_u32_e32 v26, -2, v24
	v_fmac_f64_e32 v[14:15], v[56:57], v[54:55]
	v_fma_f64 v[18:19], -v[62:63], v[54:55], v[18:19]
	v_lshl_add_u64 v[84:85], v[26:27], 4, s[8:9]
	v_add_u32_e32 v26, -15, v24
	v_fma_f64 v[80:81], -v[58:59], v[54:55], v[80:81]
	v_fmac_f64_e32 v[10:11], v[60:61], v[54:55]
	global_load_dwordx4 v[52:55], v[52:53], off
	s_nop 0
	global_load_dwordx4 v[56:59], v[82:83], off
	global_load_dwordx4 v[60:63], v[84:85], off
	s_waitcnt vmcnt(10)
	v_fmac_f64_e32 v[12:13], v[66:67], v[68:69]
	v_fmac_f64_e32 v[78:79], v[64:65], v[68:69]
	;; [unrolled: 1-line block ×3, first 2 shown]
	v_lshl_add_u64 v[64:65], v[26:27], 4, s[8:9]
	s_waitcnt vmcnt(9)
	v_fmac_f64_e32 v[14:15], v[74:75], v[68:69]
	v_add_u32_e32 v26, 5, v28
	v_fmac_f64_e32 v[80:81], v[72:73], v[68:69]
	s_waitcnt vmcnt(8)
	v_fmac_f64_e32 v[18:19], v[30:31], v[68:69]
	v_fmac_f64_e32 v[14:15], v[72:73], v[70:71]
	;; [unrolled: 1-line block ×3, first 2 shown]
	v_fma_f64 v[72:73], -v[32:33], v[70:71], v[18:19]
	v_lshl_add_u64 v[18:19], v[26:27], 4, s[10:11]
	v_add_u32_e32 v26, -8, v24
	v_fma_f64 v[78:79], -v[66:67], v[70:71], v[78:79]
	v_fmac_f64_e32 v[10:11], v[30:31], v[70:71]
	global_load_dwordx4 v[30:33], v[18:19], off
	v_lshl_add_u64 v[18:19], v[26:27], 4, s[8:9]
	v_add_u32_e32 v26, -1, v24
	v_fma_f64 v[74:75], -v[74:75], v[70:71], v[80:81]
	v_lshl_add_u64 v[68:69], v[26:27], 4, s[8:9]
	v_add_u32_e32 v26, -14, v24
	s_waitcnt vmcnt(7)
	v_fmac_f64_e32 v[78:79], v[20:21], v[36:37]
	v_fmac_f64_e32 v[12:13], v[22:23], v[36:37]
	v_fma_f64 v[22:23], -v[22:23], v[38:39], v[78:79]
	v_lshl_add_u64 v[78:79], v[26:27], 4, s[8:9]
	v_add_u32_e32 v26, 6, v28
	s_waitcnt vmcnt(6)
	v_fmac_f64_e32 v[74:75], v[40:41], v[36:37]
	global_load_dwordx4 v[64:67], v[64:65], off
	v_fmac_f64_e32 v[12:13], v[20:21], v[38:39]
	global_load_dwordx4 v[18:21], v[18:19], off
	v_fma_f64 v[28:29], -v[42:43], v[38:39], v[74:75]
	global_load_dwordx4 v[68:71], v[68:69], off
	v_lshl_add_u64 v[74:75], v[26:27], 4, s[10:11]
	v_add_u32_e32 v26, -7, v24
	v_fmac_f64_e32 v[14:15], v[42:43], v[36:37]
	s_waitcnt vmcnt(8)
	v_fmac_f64_e32 v[72:73], v[44:45], v[36:37]
	v_fmac_f64_e32 v[10:11], v[46:47], v[36:37]
	v_lshl_add_u64 v[80:81], v[26:27], 4, s[8:9]
	v_fmac_f64_e32 v[14:15], v[40:41], v[38:39]
	global_load_dwordx4 v[40:43], v[78:79], off
	v_fma_f64 v[78:79], -v[46:47], v[38:39], v[72:73]
	v_fmac_f64_e32 v[10:11], v[44:45], v[38:39]
	global_load_dwordx4 v[36:39], v[74:75], off
	global_load_dwordx4 v[44:47], v[80:81], off
	s_nop 0
	global_load_dwordx4 v[72:75], v[76:77], off
	v_add_u32_e32 v24, 0x54, v24
	s_waitcnt vmcnt(10)
	v_fmac_f64_e32 v[22:23], v[48:49], v[52:53]
	v_fmac_f64_e32 v[12:13], v[50:51], v[52:53]
	s_waitcnt vmcnt(9)
	v_fmac_f64_e32 v[28:29], v[56:57], v[52:53]
	v_fmac_f64_e32 v[14:15], v[58:59], v[52:53]
	s_waitcnt vmcnt(8)
	v_fmac_f64_e32 v[78:79], v[60:61], v[52:53]
	v_fmac_f64_e32 v[10:11], v[62:63], v[52:53]
	v_fma_f64 v[22:23], -v[50:51], v[54:55], v[22:23]
	v_fmac_f64_e32 v[12:13], v[48:49], v[54:55]
	v_fma_f64 v[28:29], -v[58:59], v[54:55], v[28:29]
	v_fmac_f64_e32 v[14:15], v[56:57], v[54:55]
	v_fma_f64 v[48:49], -v[62:63], v[54:55], v[78:79]
	v_fmac_f64_e32 v[10:11], v[60:61], v[54:55]
	s_waitcnt vmcnt(6)
	v_fmac_f64_e32 v[22:23], v[64:65], v[30:31]
	v_fmac_f64_e32 v[12:13], v[66:67], v[30:31]
	s_waitcnt vmcnt(5)
	v_fmac_f64_e32 v[28:29], v[18:19], v[30:31]
	v_fmac_f64_e32 v[14:15], v[20:21], v[30:31]
	s_waitcnt vmcnt(4)
	v_fmac_f64_e32 v[48:49], v[68:69], v[30:31]
	v_fmac_f64_e32 v[10:11], v[70:71], v[30:31]
	v_fma_f64 v[22:23], -v[66:67], v[32:33], v[22:23]
	v_fmac_f64_e32 v[12:13], v[64:65], v[32:33]
	v_fma_f64 v[20:21], -v[20:21], v[32:33], v[28:29]
	v_fmac_f64_e32 v[14:15], v[18:19], v[32:33]
	v_fma_f64 v[18:19], -v[70:71], v[32:33], v[48:49]
	v_fmac_f64_e32 v[10:11], v[68:69], v[32:33]
	;; [unrolled: 15-line block ×3, first 2 shown]
	s_andn2_b64 exec, exec, s[0:1]
	s_cbranch_execnz .LBB136_17
; %bb.18:
	s_or_b64 exec, exec, s[0:1]
.LBB136_19:
	s_or_b64 exec, exec, s[4:5]
.LBB136_20:
	v_mov_b32_dpp v26, v20 row_shr:1 row_mask:0xf bank_mask:0xf
	v_mov_b32_dpp v27, v21 row_shr:1 row_mask:0xf bank_mask:0xf
	v_add_f64 v[26:27], v[20:21], v[26:27]
	v_mov_b32_dpp v20, v14 row_shr:1 row_mask:0xf bank_mask:0xf
	v_mov_b32_dpp v21, v15 row_shr:1 row_mask:0xf bank_mask:0xf
	v_add_f64 v[14:15], v[14:15], v[20:21]
	v_mov_b32_dpp v20, v18 row_shr:1 row_mask:0xf bank_mask:0xf
	v_mov_b32_dpp v21, v19 row_shr:1 row_mask:0xf bank_mask:0xf
	;; [unrolled: 1-line block ×6, first 2 shown]
	v_add_f64 v[32:33], v[18:19], v[20:21]
	v_mov_b32_dpp v18, v10 row_shr:1 row_mask:0xf bank_mask:0xf
	v_mov_b32_dpp v19, v11 row_shr:1 row_mask:0xf bank_mask:0xf
	v_add_f64 v[16:17], v[22:23], v[16:17]
	v_add_f64 v[12:13], v[12:13], v[24:25]
	;; [unrolled: 1-line block ×3, first 2 shown]
	v_mov_b32_dpp v22, v16 row_shr:2 row_mask:0xf bank_mask:0xf
	v_mov_b32_dpp v23, v17 row_shr:2 row_mask:0xf bank_mask:0xf
	;; [unrolled: 1-line block ×12, first 2 shown]
	v_cmp_eq_u32_e32 vcc, 3, v9
	s_and_b64 exec, exec, vcc
	s_cbranch_execz .LBB136_25
; %bb.21:
	s_load_dwordx2 s[2:3], s[2:3], 0x48
	v_cmp_eq_f64_e32 vcc, 0, v[4:5]
	v_cmp_eq_f64_e64 s[0:1], 0, v[6:7]
	v_add_f64 v[16:17], v[16:17], v[22:23]
	v_add_f64 v[20:21], v[12:13], v[24:25]
	;; [unrolled: 1-line block ×6, first 2 shown]
	s_and_b64 s[0:1], vcc, s[0:1]
	s_and_saveexec_b64 s[4:5], s[0:1]
	s_xor_b64 s[0:1], exec, s[4:5]
	s_cbranch_execz .LBB136_23
; %bb.22:
	v_lshl_add_u32 v8, v8, 1, v8
	v_mul_f64 v[4:5], v[20:21], -v[2:3]
	v_mul_f64 v[6:7], v[0:1], v[20:21]
	v_ashrrev_i32_e32 v9, 31, v8
	v_fmac_f64_e32 v[4:5], v[0:1], v[16:17]
	v_fmac_f64_e32 v[6:7], v[2:3], v[16:17]
	s_waitcnt lgkmcnt(0)
	v_lshl_add_u64 v[8:9], v[8:9], 4, s[2:3]
	global_store_dwordx4 v[8:9], v[4:7], off
                                        ; implicit-def: $vgpr16_vgpr17
                                        ; implicit-def: $vgpr20_vgpr21
	s_nop 1
	v_mul_f64 v[4:5], v[18:19], -v[2:3]
	v_mul_f64 v[6:7], v[0:1], v[18:19]
	v_fmac_f64_e32 v[4:5], v[0:1], v[12:13]
	v_fmac_f64_e32 v[6:7], v[2:3], v[12:13]
	global_store_dwordx4 v[8:9], v[4:7], off offset:16
                                        ; implicit-def: $vgpr12_vgpr13
                                        ; implicit-def: $vgpr18_vgpr19
	s_nop 1
	v_mul_f64 v[4:5], v[14:15], -v[2:3]
	v_mul_f64 v[6:7], v[0:1], v[14:15]
	v_fmac_f64_e32 v[4:5], v[0:1], v[10:11]
	v_fmac_f64_e32 v[6:7], v[2:3], v[10:11]
	global_store_dwordx4 v[8:9], v[4:7], off offset:32
                                        ; implicit-def: $vgpr0_vgpr1
                                        ; implicit-def: $vgpr2_vgpr3
                                        ; implicit-def: $vgpr4_vgpr5
                                        ; implicit-def: $vgpr6_vgpr7
                                        ; implicit-def: $vgpr8
                                        ; implicit-def: $vgpr10_vgpr11
                                        ; implicit-def: $vgpr14_vgpr15
.LBB136_23:
	s_andn2_saveexec_b64 s[0:1], s[0:1]
	s_cbranch_execz .LBB136_25
; %bb.24:
	v_lshl_add_u32 v8, v8, 1, v8
	v_ashrrev_i32_e32 v9, 31, v8
	s_waitcnt lgkmcnt(0)
	v_lshl_add_u64 v[38:39], v[8:9], 4, s[2:3]
	global_load_dwordx4 v[22:25], v[38:39], off
	global_load_dwordx4 v[26:29], v[38:39], off offset:16
	global_load_dwordx4 v[30:33], v[38:39], off offset:32
	v_mul_f64 v[34:35], v[20:21], -v[2:3]
	v_mul_f64 v[20:21], v[0:1], v[20:21]
	v_mul_f64 v[40:41], v[18:19], -v[2:3]
	v_mul_f64 v[36:37], v[0:1], v[18:19]
	;; [unrolled: 2-line block ×3, first 2 shown]
	v_fmac_f64_e32 v[34:35], v[0:1], v[16:17]
	v_fmac_f64_e32 v[20:21], v[2:3], v[16:17]
	;; [unrolled: 1-line block ×6, first 2 shown]
	s_waitcnt vmcnt(2)
	v_fmac_f64_e32 v[34:35], v[4:5], v[22:23]
	v_fmac_f64_e32 v[20:21], v[6:7], v[22:23]
	s_waitcnt vmcnt(1)
	v_fmac_f64_e32 v[40:41], v[4:5], v[26:27]
	v_fmac_f64_e32 v[36:37], v[6:7], v[26:27]
	;; [unrolled: 3-line block ×3, first 2 shown]
	v_fma_f64 v[18:19], -v[6:7], v[24:25], v[34:35]
	v_fmac_f64_e32 v[20:21], v[4:5], v[24:25]
	v_fma_f64 v[34:35], -v[6:7], v[28:29], v[40:41]
	v_fmac_f64_e32 v[36:37], v[4:5], v[28:29]
	;; [unrolled: 2-line block ×3, first 2 shown]
	global_store_dwordx4 v[38:39], v[18:21], off
	global_store_dwordx4 v[38:39], v[34:37], off offset:16
	global_store_dwordx4 v[38:39], v[6:9], off offset:32
.LBB136_25:
	s_endpgm
	.section	.rodata,"a",@progbits
	.p2align	6, 0x0
	.amdhsa_kernel _ZN9rocsparseL19gebsrmvn_3xn_kernelILj128ELj7ELj4E21rocsparse_complex_numIdEEEvi20rocsparse_direction_NS_24const_host_device_scalarIT2_EEPKiS8_PKS5_SA_S6_PS5_21rocsparse_index_base_b
		.amdhsa_group_segment_fixed_size 2048
		.amdhsa_private_segment_fixed_size 0
		.amdhsa_kernarg_size 88
		.amdhsa_user_sgpr_count 4
		.amdhsa_user_sgpr_dispatch_ptr 1
		.amdhsa_user_sgpr_queue_ptr 0
		.amdhsa_user_sgpr_kernarg_segment_ptr 1
		.amdhsa_user_sgpr_dispatch_id 0
		.amdhsa_user_sgpr_kernarg_preload_length 0
		.amdhsa_user_sgpr_kernarg_preload_offset 0
		.amdhsa_user_sgpr_private_segment_size 0
		.amdhsa_uses_dynamic_stack 0
		.amdhsa_enable_private_segment 0
		.amdhsa_system_sgpr_workgroup_id_x 1
		.amdhsa_system_sgpr_workgroup_id_y 0
		.amdhsa_system_sgpr_workgroup_id_z 0
		.amdhsa_system_sgpr_workgroup_info 0
		.amdhsa_system_vgpr_workitem_id 2
		.amdhsa_next_free_vgpr 92
		.amdhsa_next_free_sgpr 20
		.amdhsa_accum_offset 92
		.amdhsa_reserve_vcc 1
		.amdhsa_float_round_mode_32 0
		.amdhsa_float_round_mode_16_64 0
		.amdhsa_float_denorm_mode_32 3
		.amdhsa_float_denorm_mode_16_64 3
		.amdhsa_dx10_clamp 1
		.amdhsa_ieee_mode 1
		.amdhsa_fp16_overflow 0
		.amdhsa_tg_split 0
		.amdhsa_exception_fp_ieee_invalid_op 0
		.amdhsa_exception_fp_denorm_src 0
		.amdhsa_exception_fp_ieee_div_zero 0
		.amdhsa_exception_fp_ieee_overflow 0
		.amdhsa_exception_fp_ieee_underflow 0
		.amdhsa_exception_fp_ieee_inexact 0
		.amdhsa_exception_int_div_zero 0
	.end_amdhsa_kernel
	.section	.text._ZN9rocsparseL19gebsrmvn_3xn_kernelILj128ELj7ELj4E21rocsparse_complex_numIdEEEvi20rocsparse_direction_NS_24const_host_device_scalarIT2_EEPKiS8_PKS5_SA_S6_PS5_21rocsparse_index_base_b,"axG",@progbits,_ZN9rocsparseL19gebsrmvn_3xn_kernelILj128ELj7ELj4E21rocsparse_complex_numIdEEEvi20rocsparse_direction_NS_24const_host_device_scalarIT2_EEPKiS8_PKS5_SA_S6_PS5_21rocsparse_index_base_b,comdat
.Lfunc_end136:
	.size	_ZN9rocsparseL19gebsrmvn_3xn_kernelILj128ELj7ELj4E21rocsparse_complex_numIdEEEvi20rocsparse_direction_NS_24const_host_device_scalarIT2_EEPKiS8_PKS5_SA_S6_PS5_21rocsparse_index_base_b, .Lfunc_end136-_ZN9rocsparseL19gebsrmvn_3xn_kernelILj128ELj7ELj4E21rocsparse_complex_numIdEEEvi20rocsparse_direction_NS_24const_host_device_scalarIT2_EEPKiS8_PKS5_SA_S6_PS5_21rocsparse_index_base_b
                                        ; -- End function
	.section	.AMDGPU.csdata,"",@progbits
; Kernel info:
; codeLenInByte = 3516
; NumSgprs: 26
; NumVgprs: 92
; NumAgprs: 0
; TotalNumVgprs: 92
; ScratchSize: 0
; MemoryBound: 0
; FloatMode: 240
; IeeeMode: 1
; LDSByteSize: 2048 bytes/workgroup (compile time only)
; SGPRBlocks: 3
; VGPRBlocks: 11
; NumSGPRsForWavesPerEU: 26
; NumVGPRsForWavesPerEU: 92
; AccumOffset: 92
; Occupancy: 5
; WaveLimiterHint : 1
; COMPUTE_PGM_RSRC2:SCRATCH_EN: 0
; COMPUTE_PGM_RSRC2:USER_SGPR: 4
; COMPUTE_PGM_RSRC2:TRAP_HANDLER: 0
; COMPUTE_PGM_RSRC2:TGID_X_EN: 1
; COMPUTE_PGM_RSRC2:TGID_Y_EN: 0
; COMPUTE_PGM_RSRC2:TGID_Z_EN: 0
; COMPUTE_PGM_RSRC2:TIDIG_COMP_CNT: 2
; COMPUTE_PGM_RSRC3_GFX90A:ACCUM_OFFSET: 22
; COMPUTE_PGM_RSRC3_GFX90A:TG_SPLIT: 0
	.section	.text._ZN9rocsparseL19gebsrmvn_3xn_kernelILj128ELj7ELj8E21rocsparse_complex_numIdEEEvi20rocsparse_direction_NS_24const_host_device_scalarIT2_EEPKiS8_PKS5_SA_S6_PS5_21rocsparse_index_base_b,"axG",@progbits,_ZN9rocsparseL19gebsrmvn_3xn_kernelILj128ELj7ELj8E21rocsparse_complex_numIdEEEvi20rocsparse_direction_NS_24const_host_device_scalarIT2_EEPKiS8_PKS5_SA_S6_PS5_21rocsparse_index_base_b,comdat
	.globl	_ZN9rocsparseL19gebsrmvn_3xn_kernelILj128ELj7ELj8E21rocsparse_complex_numIdEEEvi20rocsparse_direction_NS_24const_host_device_scalarIT2_EEPKiS8_PKS5_SA_S6_PS5_21rocsparse_index_base_b ; -- Begin function _ZN9rocsparseL19gebsrmvn_3xn_kernelILj128ELj7ELj8E21rocsparse_complex_numIdEEEvi20rocsparse_direction_NS_24const_host_device_scalarIT2_EEPKiS8_PKS5_SA_S6_PS5_21rocsparse_index_base_b
	.p2align	8
	.type	_ZN9rocsparseL19gebsrmvn_3xn_kernelILj128ELj7ELj8E21rocsparse_complex_numIdEEEvi20rocsparse_direction_NS_24const_host_device_scalarIT2_EEPKiS8_PKS5_SA_S6_PS5_21rocsparse_index_base_b,@function
_ZN9rocsparseL19gebsrmvn_3xn_kernelILj128ELj7ELj8E21rocsparse_complex_numIdEEEvi20rocsparse_direction_NS_24const_host_device_scalarIT2_EEPKiS8_PKS5_SA_S6_PS5_21rocsparse_index_base_b: ; @_ZN9rocsparseL19gebsrmvn_3xn_kernelILj128ELj7ELj8E21rocsparse_complex_numIdEEEvi20rocsparse_direction_NS_24const_host_device_scalarIT2_EEPKiS8_PKS5_SA_S6_PS5_21rocsparse_index_base_b
; %bb.0:
	s_load_dwordx2 s[16:17], s[2:3], 0x50
	s_load_dwordx4 s[12:15], s[2:3], 0x8
	s_load_dwordx4 s[8:11], s[2:3], 0x38
	s_load_dwordx2 s[18:19], s[0:1], 0x4
	s_mov_b64 s[6:7], src_shared_base
	s_waitcnt lgkmcnt(0)
	s_bitcmp1_b32 s17, 0
	s_cselect_b64 s[0:1], -1, 0
	s_and_b64 vcc, s[0:1], exec
	s_cselect_b32 s5, s7, s13
	s_lshr_b32 s6, s18, 16
	v_bfe_u32 v1, v0, 10, 10
	v_and_b32_e32 v10, 0x3ff, v0
	s_mul_i32 s6, s6, s19
	v_mul_u32_u24_e32 v1, s19, v1
	v_mad_u32_u24 v1, s6, v10, v1
	v_bfe_u32 v0, v0, 20, 10
	v_add_lshl_u32 v4, v1, v0, 3
	v_mov_b32_e32 v5, s12
	v_add_u32_e32 v6, 0x400, v4
	v_mov_b64_e32 v[0:1], s[12:13]
	v_mov_b64_e32 v[2:3], s[8:9]
	ds_write2st64_b64 v4, v[2:3], v[0:1] offset1:2
	v_cndmask_b32_e64 v0, v5, v6, s[0:1]
	v_mov_b32_e32 v1, s5
	flat_load_dwordx2 v[0:1], v[0:1]
	s_xor_b64 s[18:19], s[0:1], -1
	v_mov_b64_e32 v[2:3], s[14:15]
	s_cbranch_vccnz .LBB137_2
; %bb.1:
	v_mov_b64_e32 v[2:3], s[12:13]
	flat_load_dwordx2 v[2:3], v[2:3] offset:8
.LBB137_2:
	s_and_b64 s[12:13], s[0:1], exec
	s_cselect_b32 s5, s7, s9
	v_mov_b32_e32 v5, s8
	v_cndmask_b32_e64 v4, v5, v4, s[0:1]
	v_mov_b32_e32 v5, s5
	flat_load_dwordx2 v[4:5], v[4:5]
	s_andn2_b64 vcc, exec, s[18:19]
	v_mov_b64_e32 v[6:7], s[10:11]
	s_cbranch_vccnz .LBB137_4
; %bb.3:
	v_mov_b64_e32 v[6:7], s[8:9]
	flat_load_dwordx2 v[6:7], v[6:7] offset:8
.LBB137_4:
	s_waitcnt vmcnt(0) lgkmcnt(0)
	v_cmp_eq_f64_e32 vcc, 0, v[0:1]
	v_cmp_eq_f64_e64 s[0:1], 0, v[2:3]
	s_and_b64 s[8:9], vcc, s[0:1]
	s_mov_b64 s[0:1], -1
	s_and_saveexec_b64 s[6:7], s[8:9]
; %bb.5:
	v_cmp_neq_f64_e32 vcc, 1.0, v[4:5]
	v_cmp_neq_f64_e64 s[0:1], 0, v[6:7]
	s_or_b64 s[0:1], vcc, s[0:1]
	s_orn2_b64 s[0:1], s[0:1], exec
; %bb.6:
	s_or_b64 exec, exec, s[6:7]
	s_and_saveexec_b64 s[6:7], s[0:1]
	s_cbranch_execz .LBB137_25
; %bb.7:
	s_load_dwordx2 s[0:1], s[2:3], 0x0
	v_lshrrev_b32_e32 v8, 3, v10
	v_lshl_or_b32 v8, s4, 4, v8
	s_waitcnt lgkmcnt(0)
	v_cmp_gt_i32_e32 vcc, s0, v8
	s_and_b64 exec, exec, vcc
	s_cbranch_execz .LBB137_25
; %bb.8:
	s_load_dwordx8 s[4:11], s[2:3], 0x18
	v_ashrrev_i32_e32 v9, 31, v8
	s_cmp_lg_u32 s1, 0
	s_waitcnt lgkmcnt(0)
	v_lshl_add_u64 v[12:13], v[8:9], 2, s[4:5]
	global_load_dwordx2 v[12:13], v[12:13], off
	v_and_b32_e32 v9, 7, v10
	s_waitcnt vmcnt(0)
	v_subrev_u32_e32 v10, s16, v12
	v_subrev_u32_e32 v34, s16, v13
	v_add_u32_e32 v16, v10, v9
	v_cmp_lt_i32_e64 s[0:1], v16, v34
	s_cbranch_scc0 .LBB137_14
; %bb.9:
	v_mov_b64_e32 v[12:13], 0
	s_mov_b64 s[4:5], 0
	v_mov_b64_e32 v[22:23], v[12:13]
	v_mov_b64_e32 v[18:19], v[12:13]
	;; [unrolled: 1-line block ×5, first 2 shown]
	s_and_saveexec_b64 s[12:13], s[0:1]
	s_cbranch_execz .LBB137_13
; %bb.10:
	v_mad_u64_u32 v[24:25], s[14:15], v16, 21, 20
	v_mov_b64_e32 v[12:13], 0
	s_mov_b64 s[14:15], 0
	v_mov_b32_e32 v27, 0
	v_mov_b32_e32 v28, v16
	v_mov_b64_e32 v[22:23], v[12:13]
	v_mov_b64_e32 v[18:19], v[12:13]
	;; [unrolled: 1-line block ×5, first 2 shown]
.LBB137_11:                             ; =>This Inner Loop Header: Depth=1
	v_ashrrev_i32_e32 v29, 31, v28
	v_subrev_u32_e32 v26, 20, v24
	v_lshl_add_u64 v[32:33], v[28:29], 2, s[6:7]
	v_lshl_add_u64 v[40:41], v[26:27], 4, s[8:9]
	global_load_dword v17, v[32:33], off
	global_load_dwordx4 v[36:39], v[40:41], off
	v_subrev_u32_e32 v26, 19, v24
	v_mov_b32_e32 v25, v27
	v_lshl_add_u64 v[32:33], v[26:27], 4, s[8:9]
	v_subrev_u32_e32 v26, 18, v24
	v_lshl_add_u64 v[42:43], v[24:25], 4, s[8:9]
	v_lshl_add_u64 v[52:53], v[26:27], 4, s[8:9]
	v_subrev_u32_e32 v26, 17, v24
	v_mov_b32_e32 v31, v27
	global_load_dwordx4 v[40:43], v[42:43], off
	s_nop 0
	global_load_dwordx4 v[44:47], v[32:33], off
	global_load_dwordx4 v[48:51], v[52:53], off
	v_lshl_add_u64 v[32:33], v[26:27], 4, s[8:9]
	global_load_dwordx4 v[52:55], v[32:33], off
	v_add_u32_e32 v28, 8, v28
	v_cmp_ge_i32_e32 vcc, v28, v34
	s_or_b64 s[14:15], vcc, s[14:15]
	s_waitcnt vmcnt(5)
	v_subrev_u32_e32 v17, s16, v17
	v_mul_lo_u32 v30, v17, 7
	v_lshl_add_u64 v[32:33], v[30:31], 4, s[10:11]
	global_load_dwordx4 v[56:59], v[32:33], off
	v_add_u32_e32 v26, 1, v30
	v_lshl_add_u64 v[32:33], v[26:27], 4, s[10:11]
	v_add_u32_e32 v26, -16, v24
	global_load_dwordx4 v[60:63], v[32:33], off
	v_lshl_add_u64 v[32:33], v[26:27], 4, s[8:9]
	v_add_u32_e32 v26, -15, v24
	global_load_dwordx4 v[64:67], v[32:33], off
	;; [unrolled: 3-line block ×3, first 2 shown]
	v_lshl_add_u64 v[32:33], v[26:27], 4, s[8:9]
	v_add_u32_e32 v26, 2, v30
	global_load_dwordx4 v[72:75], v[32:33], off
	v_lshl_add_u64 v[32:33], v[26:27], 4, s[10:11]
	v_add_u32_e32 v26, -13, v24
	global_load_dwordx4 v[76:79], v[32:33], off
	v_lshl_add_u64 v[32:33], v[26:27], 4, s[8:9]
	v_add_u32_e32 v26, -12, v24
	;; [unrolled: 3-line block ×3, first 2 shown]
	global_load_dwordx4 v[84:87], v[32:33], off
	v_lshl_add_u64 v[32:33], v[26:27], 4, s[8:9]
	v_add_u32_e32 v26, 3, v30
	s_waitcnt vmcnt(7)
	v_fmac_f64_e32 v[22:23], v[36:37], v[56:57]
	v_fma_f64 v[88:89], -v[38:39], v[58:59], v[22:23]
	v_lshl_add_u64 v[22:23], v[26:27], 4, s[10:11]
	v_add_u32_e32 v26, -10, v24
	v_fmac_f64_e32 v[14:15], v[46:47], v[56:57]
	v_fmac_f64_e32 v[20:21], v[44:45], v[56:57]
	;; [unrolled: 1-line block ×3, first 2 shown]
	v_lshl_add_u64 v[44:45], v[26:27], 4, s[8:9]
	v_add_u32_e32 v26, -9, v24
	v_fmac_f64_e32 v[10:11], v[50:51], v[56:57]
	v_fmac_f64_e32 v[12:13], v[38:39], v[56:57]
	;; [unrolled: 1-line block ×4, first 2 shown]
	v_lshl_add_u64 v[48:49], v[26:27], 4, s[8:9]
	v_fmac_f64_e32 v[12:13], v[36:37], v[58:59]
	global_load_dwordx4 v[36:39], v[32:33], off
	v_fma_f64 v[18:19], -v[50:51], v[58:59], v[18:19]
	global_load_dwordx4 v[48:51], v[48:49], off
	v_fma_f64 v[32:33], -v[46:47], v[58:59], v[20:21]
	global_load_dwordx4 v[20:23], v[22:23], off
	v_add_u32_e32 v26, -8, v24
	global_load_dwordx4 v[44:47], v[44:45], off
	v_lshl_add_u64 v[56:57], v[26:27], 4, s[8:9]
	v_add_u32_e32 v26, 4, v30
	s_waitcnt vmcnt(10)
	v_fmac_f64_e32 v[88:89], v[52:53], v[60:61]
	v_fmac_f64_e32 v[12:13], v[54:55], v[60:61]
	v_fma_f64 v[88:89], -v[54:55], v[62:63], v[88:89]
	v_fmac_f64_e32 v[12:13], v[52:53], v[62:63]
	global_load_dwordx4 v[52:55], v[56:57], off
	v_lshl_add_u64 v[56:57], v[26:27], 4, s[10:11]
	v_add_u32_e32 v26, -7, v24
	v_lshl_add_u64 v[90:91], v[26:27], 4, s[8:9]
	v_add_u32_e32 v26, -6, v24
	s_waitcnt vmcnt(9)
	v_fmac_f64_e32 v[10:11], v[70:71], v[60:61]
	v_fmac_f64_e32 v[32:33], v[64:65], v[60:61]
	;; [unrolled: 1-line block ×5, first 2 shown]
	v_lshl_add_u64 v[68:69], v[26:27], 4, s[8:9]
	v_add_u32_e32 v26, -5, v24
	v_fma_f64 v[32:33], -v[66:67], v[62:63], v[32:33]
	v_fmac_f64_e32 v[14:15], v[64:65], v[62:63]
	global_load_dwordx4 v[56:59], v[56:57], off
	v_fma_f64 v[18:19], -v[70:71], v[62:63], v[18:19]
	global_load_dwordx4 v[60:63], v[90:91], off
	global_load_dwordx4 v[64:67], v[68:69], off
	v_lshl_add_u64 v[68:69], v[26:27], 4, s[8:9]
	v_add_u32_e32 v26, 5, v30
	s_waitcnt vmcnt(10)
	v_fmac_f64_e32 v[12:13], v[74:75], v[76:77]
	v_fmac_f64_e32 v[88:89], v[72:73], v[76:77]
	;; [unrolled: 1-line block ×3, first 2 shown]
	v_lshl_add_u64 v[72:73], v[26:27], 4, s[10:11]
	v_add_u32_e32 v26, -4, v24
	s_waitcnt vmcnt(9)
	v_fmac_f64_e32 v[32:33], v[80:81], v[76:77]
	v_fma_f64 v[90:91], -v[82:83], v[78:79], v[32:33]
	v_lshl_add_u64 v[32:33], v[26:27], 4, s[8:9]
	v_add_u32_e32 v26, -3, v24
	s_waitcnt vmcnt(8)
	v_fmac_f64_e32 v[10:11], v[86:87], v[76:77]
	v_fmac_f64_e32 v[14:15], v[82:83], v[76:77]
	;; [unrolled: 1-line block ×4, first 2 shown]
	v_lshl_add_u64 v[84:85], v[26:27], 4, s[8:9]
	v_add_u32_e32 v26, -2, v24
	v_fma_f64 v[88:89], -v[74:75], v[78:79], v[88:89]
	v_fmac_f64_e32 v[14:15], v[80:81], v[78:79]
	v_fma_f64 v[18:19], -v[86:87], v[78:79], v[18:19]
	v_lshl_add_u64 v[86:87], v[26:27], 4, s[8:9]
	v_add_u32_e32 v26, 6, v30
	global_load_dwordx4 v[68:71], v[68:69], off
	s_waitcnt vmcnt(6)
	v_fmac_f64_e32 v[12:13], v[38:39], v[20:21]
	global_load_dwordx4 v[76:79], v[32:33], off
	v_fmac_f64_e32 v[88:89], v[36:37], v[20:21]
	global_load_dwordx4 v[72:75], v[72:73], off
	v_fmac_f64_e32 v[12:13], v[36:37], v[22:23]
	v_lshl_add_u64 v[36:37], v[26:27], 4, s[10:11]
	v_add_u32_e32 v26, -1, v24
	s_waitcnt vmcnt(7)
	v_fmac_f64_e32 v[14:15], v[46:47], v[20:21]
	global_load_dwordx4 v[30:33], v[84:85], off
	global_load_dwordx4 v[80:83], v[86:87], off
	v_fmac_f64_e32 v[90:91], v[44:45], v[20:21]
	v_fmac_f64_e32 v[14:15], v[44:45], v[22:23]
	v_lshl_add_u64 v[44:45], v[26:27], 4, s[8:9]
	v_fma_f64 v[84:85], -v[38:39], v[22:23], v[88:89]
	global_load_dwordx4 v[36:39], v[36:37], off
	v_fma_f64 v[86:87], -v[46:47], v[22:23], v[90:91]
	global_load_dwordx4 v[44:47], v[44:45], off
	v_fmac_f64_e32 v[18:19], v[48:49], v[20:21]
	v_fmac_f64_e32 v[10:11], v[50:51], v[20:21]
	v_fma_f64 v[18:19], -v[50:51], v[22:23], v[18:19]
	v_fmac_f64_e32 v[10:11], v[48:49], v[22:23]
	v_add_u32_e32 v24, 0xa8, v24
	s_waitcnt vmcnt(9)
	v_fmac_f64_e32 v[84:85], v[52:53], v[56:57]
	v_fmac_f64_e32 v[12:13], v[54:55], v[56:57]
	s_waitcnt vmcnt(8)
	v_fmac_f64_e32 v[86:87], v[60:61], v[56:57]
	v_fmac_f64_e32 v[14:15], v[62:63], v[56:57]
	;; [unrolled: 3-line block ×3, first 2 shown]
	v_fma_f64 v[20:21], -v[54:55], v[58:59], v[84:85]
	v_fmac_f64_e32 v[12:13], v[52:53], v[58:59]
	v_fma_f64 v[22:23], -v[62:63], v[58:59], v[86:87]
	v_fmac_f64_e32 v[14:15], v[60:61], v[58:59]
	;; [unrolled: 2-line block ×3, first 2 shown]
	s_waitcnt vmcnt(4)
	v_fmac_f64_e32 v[20:21], v[68:69], v[72:73]
	v_fmac_f64_e32 v[12:13], v[70:71], v[72:73]
	;; [unrolled: 1-line block ×4, first 2 shown]
	s_waitcnt vmcnt(3)
	v_fmac_f64_e32 v[18:19], v[30:31], v[72:73]
	v_fmac_f64_e32 v[10:11], v[32:33], v[72:73]
	v_fma_f64 v[20:21], -v[70:71], v[74:75], v[20:21]
	v_fmac_f64_e32 v[12:13], v[68:69], v[74:75]
	v_fma_f64 v[48:49], -v[78:79], v[74:75], v[22:23]
	;; [unrolled: 2-line block ×3, first 2 shown]
	v_fmac_f64_e32 v[10:11], v[30:31], v[74:75]
	s_waitcnt vmcnt(1)
	v_fmac_f64_e32 v[20:21], v[80:81], v[36:37]
	v_fmac_f64_e32 v[12:13], v[82:83], v[36:37]
	;; [unrolled: 1-line block ×4, first 2 shown]
	s_waitcnt vmcnt(0)
	v_fmac_f64_e32 v[48:49], v[44:45], v[36:37]
	v_fmac_f64_e32 v[14:15], v[46:47], v[36:37]
	v_fma_f64 v[22:23], -v[82:83], v[38:39], v[20:21]
	v_fmac_f64_e32 v[12:13], v[80:81], v[38:39]
	v_fma_f64 v[18:19], -v[42:43], v[38:39], v[18:19]
	;; [unrolled: 2-line block ×3, first 2 shown]
	v_fmac_f64_e32 v[14:15], v[44:45], v[38:39]
	s_andn2_b64 exec, exec, s[14:15]
	s_cbranch_execnz .LBB137_11
; %bb.12:
	s_or_b64 exec, exec, s[14:15]
.LBB137_13:
	s_or_b64 exec, exec, s[12:13]
	s_andn2_b64 vcc, exec, s[4:5]
	s_cbranch_vccz .LBB137_15
	s_branch .LBB137_20
.LBB137_14:
                                        ; implicit-def: $vgpr12_vgpr13
                                        ; implicit-def: $vgpr22_vgpr23
                                        ; implicit-def: $vgpr18_vgpr19
                                        ; implicit-def: $vgpr10_vgpr11
                                        ; implicit-def: $vgpr20_vgpr21
                                        ; implicit-def: $vgpr14_vgpr15
.LBB137_15:
	v_mov_b64_e32 v[12:13], 0
	v_mov_b64_e32 v[22:23], v[12:13]
	;; [unrolled: 1-line block ×6, first 2 shown]
	s_and_saveexec_b64 s[4:5], s[0:1]
	s_cbranch_execz .LBB137_19
; %bb.16:
	v_mad_u64_u32 v[24:25], s[0:1], v16, 21, 20
	v_mov_b64_e32 v[12:13], 0
	s_mov_b64 s[0:1], 0
	v_mov_b32_e32 v27, 0
	v_mov_b64_e32 v[22:23], v[12:13]
	v_mov_b64_e32 v[18:19], v[12:13]
	;; [unrolled: 1-line block ×5, first 2 shown]
.LBB137_17:                             ; =>This Inner Loop Header: Depth=1
	v_ashrrev_i32_e32 v17, 31, v16
	v_subrev_u32_e32 v26, 20, v24
	v_add_u32_e32 v32, -13, v24
	v_add_u32_e32 v30, -6, v24
	v_mov_b32_e32 v33, v27
	v_mov_b32_e32 v31, v27
	v_lshl_add_u64 v[44:45], v[16:17], 2, s[6:7]
	v_lshl_add_u64 v[46:47], v[26:27], 4, s[8:9]
	;; [unrolled: 1-line block ×4, first 2 shown]
	global_load_dword v17, v[44:45], off
	global_load_dwordx4 v[30:33], v[46:47], off
	global_load_dwordx4 v[36:39], v[48:49], off
	;; [unrolled: 1-line block ×3, first 2 shown]
	v_mov_b32_e32 v29, v27
	v_subrev_u32_e32 v26, 19, v24
	v_lshl_add_u64 v[44:45], v[26:27], 4, s[8:9]
	global_load_dwordx4 v[44:47], v[44:45], off
	v_mov_b32_e32 v25, v27
	v_lshl_add_u64 v[76:77], v[24:25], 4, s[8:9]
	v_add_u32_e32 v16, 8, v16
	v_cmp_ge_i32_e32 vcc, v16, v34
	s_or_b64 s[0:1], vcc, s[0:1]
	s_waitcnt vmcnt(4)
	v_subrev_u32_e32 v17, s16, v17
	v_mul_lo_u32 v28, v17, 7
	v_lshl_add_u64 v[48:49], v[28:29], 4, s[10:11]
	global_load_dwordx4 v[48:51], v[48:49], off
	v_add_u32_e32 v26, 1, v28
	v_lshl_add_u64 v[52:53], v[26:27], 4, s[10:11]
	global_load_dwordx4 v[52:55], v[52:53], off
	v_add_u32_e32 v26, -12, v24
	v_lshl_add_u64 v[56:57], v[26:27], 4, s[8:9]
	v_add_u32_e32 v26, -5, v24
	v_lshl_add_u64 v[60:61], v[26:27], 4, s[8:9]
	v_subrev_u32_e32 v26, 18, v24
	v_lshl_add_u64 v[64:65], v[26:27], 4, s[8:9]
	v_add_u32_e32 v26, 2, v28
	global_load_dwordx4 v[56:59], v[56:57], off
	v_lshl_add_u64 v[68:69], v[26:27], 4, s[10:11]
	global_load_dwordx4 v[60:63], v[60:61], off
	v_add_u32_e32 v26, -11, v24
	v_lshl_add_u64 v[72:73], v[26:27], 4, s[8:9]
	v_add_u32_e32 v26, -4, v24
	global_load_dwordx4 v[64:67], v[64:65], off
	s_waitcnt vmcnt(4)
	v_fmac_f64_e32 v[22:23], v[30:31], v[48:49]
	global_load_dwordx4 v[68:71], v[68:69], off
	v_fmac_f64_e32 v[12:13], v[32:33], v[48:49]
	v_fma_f64 v[78:79], -v[32:33], v[50:51], v[22:23]
	v_lshl_add_u64 v[22:23], v[26:27], 4, s[8:9]
	global_load_dwordx4 v[72:75], v[72:73], off
	v_fmac_f64_e32 v[12:13], v[30:31], v[50:51]
	v_subrev_u32_e32 v26, 17, v24
	global_load_dwordx4 v[30:33], v[22:23], off
	v_fmac_f64_e32 v[20:21], v[36:37], v[48:49]
	v_fmac_f64_e32 v[14:15], v[38:39], v[48:49]
	v_fma_f64 v[80:81], -v[38:39], v[50:51], v[20:21]
	v_lshl_add_u64 v[20:21], v[26:27], 4, s[8:9]
	v_add_u32_e32 v26, 3, v28
	v_fmac_f64_e32 v[14:15], v[36:37], v[50:51]
	v_fmac_f64_e32 v[10:11], v[42:43], v[48:49]
	v_lshl_add_u64 v[36:37], v[26:27], 4, s[10:11]
	v_add_u32_e32 v26, -10, v24
	global_load_dwordx4 v[20:23], v[20:21], off
	v_fmac_f64_e32 v[18:19], v[40:41], v[48:49]
	v_fmac_f64_e32 v[10:11], v[40:41], v[50:51]
	global_load_dwordx4 v[36:39], v[36:37], off
	v_lshl_add_u64 v[40:41], v[26:27], 4, s[8:9]
	v_fma_f64 v[18:19], -v[42:43], v[50:51], v[18:19]
	v_add_u32_e32 v26, -3, v24
	global_load_dwordx4 v[40:43], v[40:41], off
	s_waitcnt vmcnt(9)
	v_fmac_f64_e32 v[12:13], v[46:47], v[52:53]
	v_fmac_f64_e32 v[78:79], v[44:45], v[52:53]
	v_fmac_f64_e32 v[12:13], v[44:45], v[54:55]
	v_lshl_add_u64 v[44:45], v[26:27], 4, s[8:9]
	v_fma_f64 v[78:79], -v[46:47], v[54:55], v[78:79]
	global_load_dwordx4 v[44:47], v[44:45], off
	v_add_u32_e32 v26, -16, v24
	v_lshl_add_u64 v[48:49], v[26:27], 4, s[8:9]
	global_load_dwordx4 v[48:51], v[48:49], off
	v_add_u32_e32 v26, 4, v28
	s_waitcnt vmcnt(10)
	v_fmac_f64_e32 v[80:81], v[56:57], v[52:53]
	v_fmac_f64_e32 v[14:15], v[58:59], v[52:53]
	s_waitcnt vmcnt(9)
	v_fmac_f64_e32 v[18:19], v[60:61], v[52:53]
	v_fmac_f64_e32 v[10:11], v[62:63], v[52:53]
	v_lshl_add_u64 v[52:53], v[26:27], 4, s[10:11]
	v_add_u32_e32 v26, -9, v24
	v_lshl_add_u64 v[82:83], v[26:27], 4, s[8:9]
	v_add_u32_e32 v26, -2, v24
	v_fmac_f64_e32 v[14:15], v[56:57], v[54:55]
	v_fma_f64 v[18:19], -v[62:63], v[54:55], v[18:19]
	v_lshl_add_u64 v[84:85], v[26:27], 4, s[8:9]
	v_add_u32_e32 v26, -15, v24
	v_fma_f64 v[80:81], -v[58:59], v[54:55], v[80:81]
	v_fmac_f64_e32 v[10:11], v[60:61], v[54:55]
	global_load_dwordx4 v[52:55], v[52:53], off
	s_nop 0
	global_load_dwordx4 v[56:59], v[82:83], off
	global_load_dwordx4 v[60:63], v[84:85], off
	s_waitcnt vmcnt(10)
	v_fmac_f64_e32 v[12:13], v[66:67], v[68:69]
	v_fmac_f64_e32 v[78:79], v[64:65], v[68:69]
	;; [unrolled: 1-line block ×3, first 2 shown]
	v_lshl_add_u64 v[64:65], v[26:27], 4, s[8:9]
	s_waitcnt vmcnt(9)
	v_fmac_f64_e32 v[14:15], v[74:75], v[68:69]
	v_add_u32_e32 v26, 5, v28
	v_fmac_f64_e32 v[80:81], v[72:73], v[68:69]
	s_waitcnt vmcnt(8)
	v_fmac_f64_e32 v[18:19], v[30:31], v[68:69]
	v_fmac_f64_e32 v[14:15], v[72:73], v[70:71]
	;; [unrolled: 1-line block ×3, first 2 shown]
	v_fma_f64 v[72:73], -v[32:33], v[70:71], v[18:19]
	v_lshl_add_u64 v[18:19], v[26:27], 4, s[10:11]
	v_add_u32_e32 v26, -8, v24
	v_fma_f64 v[78:79], -v[66:67], v[70:71], v[78:79]
	v_fmac_f64_e32 v[10:11], v[30:31], v[70:71]
	global_load_dwordx4 v[30:33], v[18:19], off
	v_lshl_add_u64 v[18:19], v[26:27], 4, s[8:9]
	v_add_u32_e32 v26, -1, v24
	v_fma_f64 v[74:75], -v[74:75], v[70:71], v[80:81]
	v_lshl_add_u64 v[68:69], v[26:27], 4, s[8:9]
	v_add_u32_e32 v26, -14, v24
	s_waitcnt vmcnt(7)
	v_fmac_f64_e32 v[78:79], v[20:21], v[36:37]
	v_fmac_f64_e32 v[12:13], v[22:23], v[36:37]
	v_fma_f64 v[22:23], -v[22:23], v[38:39], v[78:79]
	v_lshl_add_u64 v[78:79], v[26:27], 4, s[8:9]
	v_add_u32_e32 v26, 6, v28
	s_waitcnt vmcnt(6)
	v_fmac_f64_e32 v[74:75], v[40:41], v[36:37]
	global_load_dwordx4 v[64:67], v[64:65], off
	v_fmac_f64_e32 v[12:13], v[20:21], v[38:39]
	global_load_dwordx4 v[18:21], v[18:19], off
	v_fma_f64 v[28:29], -v[42:43], v[38:39], v[74:75]
	global_load_dwordx4 v[68:71], v[68:69], off
	v_lshl_add_u64 v[74:75], v[26:27], 4, s[10:11]
	v_add_u32_e32 v26, -7, v24
	v_fmac_f64_e32 v[14:15], v[42:43], v[36:37]
	s_waitcnt vmcnt(8)
	v_fmac_f64_e32 v[72:73], v[44:45], v[36:37]
	v_fmac_f64_e32 v[10:11], v[46:47], v[36:37]
	v_lshl_add_u64 v[80:81], v[26:27], 4, s[8:9]
	v_fmac_f64_e32 v[14:15], v[40:41], v[38:39]
	global_load_dwordx4 v[40:43], v[78:79], off
	v_fma_f64 v[78:79], -v[46:47], v[38:39], v[72:73]
	v_fmac_f64_e32 v[10:11], v[44:45], v[38:39]
	global_load_dwordx4 v[36:39], v[74:75], off
	global_load_dwordx4 v[44:47], v[80:81], off
	s_nop 0
	global_load_dwordx4 v[72:75], v[76:77], off
	v_add_u32_e32 v24, 0xa8, v24
	s_waitcnt vmcnt(10)
	v_fmac_f64_e32 v[22:23], v[48:49], v[52:53]
	v_fmac_f64_e32 v[12:13], v[50:51], v[52:53]
	s_waitcnt vmcnt(9)
	v_fmac_f64_e32 v[28:29], v[56:57], v[52:53]
	v_fmac_f64_e32 v[14:15], v[58:59], v[52:53]
	s_waitcnt vmcnt(8)
	v_fmac_f64_e32 v[78:79], v[60:61], v[52:53]
	v_fmac_f64_e32 v[10:11], v[62:63], v[52:53]
	v_fma_f64 v[22:23], -v[50:51], v[54:55], v[22:23]
	v_fmac_f64_e32 v[12:13], v[48:49], v[54:55]
	v_fma_f64 v[28:29], -v[58:59], v[54:55], v[28:29]
	v_fmac_f64_e32 v[14:15], v[56:57], v[54:55]
	v_fma_f64 v[48:49], -v[62:63], v[54:55], v[78:79]
	v_fmac_f64_e32 v[10:11], v[60:61], v[54:55]
	s_waitcnt vmcnt(6)
	v_fmac_f64_e32 v[22:23], v[64:65], v[30:31]
	v_fmac_f64_e32 v[12:13], v[66:67], v[30:31]
	s_waitcnt vmcnt(5)
	v_fmac_f64_e32 v[28:29], v[18:19], v[30:31]
	v_fmac_f64_e32 v[14:15], v[20:21], v[30:31]
	s_waitcnt vmcnt(4)
	v_fmac_f64_e32 v[48:49], v[68:69], v[30:31]
	v_fmac_f64_e32 v[10:11], v[70:71], v[30:31]
	v_fma_f64 v[22:23], -v[66:67], v[32:33], v[22:23]
	v_fmac_f64_e32 v[12:13], v[64:65], v[32:33]
	v_fma_f64 v[20:21], -v[20:21], v[32:33], v[28:29]
	v_fmac_f64_e32 v[14:15], v[18:19], v[32:33]
	v_fma_f64 v[18:19], -v[70:71], v[32:33], v[48:49]
	v_fmac_f64_e32 v[10:11], v[68:69], v[32:33]
	;; [unrolled: 15-line block ×3, first 2 shown]
	s_andn2_b64 exec, exec, s[0:1]
	s_cbranch_execnz .LBB137_17
; %bb.18:
	s_or_b64 exec, exec, s[0:1]
.LBB137_19:
	s_or_b64 exec, exec, s[4:5]
.LBB137_20:
	v_mov_b32_dpp v26, v20 row_shr:1 row_mask:0xf bank_mask:0xf
	v_mov_b32_dpp v27, v21 row_shr:1 row_mask:0xf bank_mask:0xf
	v_add_f64 v[20:21], v[20:21], v[26:27]
	v_mov_b32_dpp v16, v22 row_shr:1 row_mask:0xf bank_mask:0xf
	v_mov_b32_dpp v17, v23 row_shr:1 row_mask:0xf bank_mask:0xf
	;; [unrolled: 1-line block ×4, first 2 shown]
	v_add_f64 v[26:27], v[20:21], v[26:27]
	v_mov_b32_dpp v20, v14 row_shr:1 row_mask:0xf bank_mask:0xf
	v_mov_b32_dpp v21, v15 row_shr:1 row_mask:0xf bank_mask:0xf
	v_add_f64 v[14:15], v[14:15], v[20:21]
	v_mov_b32_dpp v24, v12 row_shr:1 row_mask:0xf bank_mask:0xf
	v_mov_b32_dpp v25, v13 row_shr:1 row_mask:0xf bank_mask:0xf
	v_mov_b32_dpp v20, v14 row_shr:2 row_mask:0xf bank_mask:0xf
	v_mov_b32_dpp v21, v15 row_shr:2 row_mask:0xf bank_mask:0xf
	v_add_f64 v[14:15], v[14:15], v[20:21]
	v_mov_b32_dpp v20, v18 row_shr:1 row_mask:0xf bank_mask:0xf
	v_mov_b32_dpp v21, v19 row_shr:1 row_mask:0xf bank_mask:0xf
	v_add_f64 v[18:19], v[18:19], v[20:21]
	v_add_f64 v[16:17], v[22:23], v[16:17]
	;; [unrolled: 1-line block ×3, first 2 shown]
	v_mov_b32_dpp v20, v18 row_shr:2 row_mask:0xf bank_mask:0xf
	v_mov_b32_dpp v21, v19 row_shr:2 row_mask:0xf bank_mask:0xf
	v_add_f64 v[32:33], v[18:19], v[20:21]
	v_mov_b32_dpp v18, v10 row_shr:1 row_mask:0xf bank_mask:0xf
	v_mov_b32_dpp v19, v11 row_shr:1 row_mask:0xf bank_mask:0xf
	v_add_f64 v[10:11], v[10:11], v[18:19]
	v_mov_b32_dpp v22, v16 row_shr:2 row_mask:0xf bank_mask:0xf
	v_mov_b32_dpp v23, v17 row_shr:2 row_mask:0xf bank_mask:0xf
	;; [unrolled: 1-line block ×6, first 2 shown]
	v_add_f64 v[16:17], v[16:17], v[22:23]
	v_add_f64 v[12:13], v[12:13], v[24:25]
	;; [unrolled: 1-line block ×3, first 2 shown]
	v_mov_b32_dpp v22, v16 row_shr:4 row_mask:0xf bank_mask:0xe
	v_mov_b32_dpp v23, v17 row_shr:4 row_mask:0xf bank_mask:0xe
	;; [unrolled: 1-line block ×12, first 2 shown]
	v_cmp_eq_u32_e32 vcc, 7, v9
	s_and_b64 exec, exec, vcc
	s_cbranch_execz .LBB137_25
; %bb.21:
	s_load_dwordx2 s[2:3], s[2:3], 0x48
	v_cmp_eq_f64_e32 vcc, 0, v[4:5]
	v_cmp_eq_f64_e64 s[0:1], 0, v[6:7]
	v_add_f64 v[16:17], v[16:17], v[22:23]
	v_add_f64 v[20:21], v[12:13], v[24:25]
	;; [unrolled: 1-line block ×6, first 2 shown]
	s_and_b64 s[0:1], vcc, s[0:1]
	s_and_saveexec_b64 s[4:5], s[0:1]
	s_xor_b64 s[0:1], exec, s[4:5]
	s_cbranch_execz .LBB137_23
; %bb.22:
	v_lshl_add_u32 v8, v8, 1, v8
	v_mul_f64 v[4:5], v[20:21], -v[2:3]
	v_mul_f64 v[6:7], v[0:1], v[20:21]
	v_ashrrev_i32_e32 v9, 31, v8
	v_fmac_f64_e32 v[4:5], v[0:1], v[16:17]
	v_fmac_f64_e32 v[6:7], v[2:3], v[16:17]
	s_waitcnt lgkmcnt(0)
	v_lshl_add_u64 v[8:9], v[8:9], 4, s[2:3]
	global_store_dwordx4 v[8:9], v[4:7], off
                                        ; implicit-def: $vgpr16_vgpr17
                                        ; implicit-def: $vgpr20_vgpr21
	s_nop 1
	v_mul_f64 v[4:5], v[18:19], -v[2:3]
	v_mul_f64 v[6:7], v[0:1], v[18:19]
	v_fmac_f64_e32 v[4:5], v[0:1], v[12:13]
	v_fmac_f64_e32 v[6:7], v[2:3], v[12:13]
	global_store_dwordx4 v[8:9], v[4:7], off offset:16
                                        ; implicit-def: $vgpr12_vgpr13
                                        ; implicit-def: $vgpr18_vgpr19
	s_nop 1
	v_mul_f64 v[4:5], v[14:15], -v[2:3]
	v_mul_f64 v[6:7], v[0:1], v[14:15]
	v_fmac_f64_e32 v[4:5], v[0:1], v[10:11]
	v_fmac_f64_e32 v[6:7], v[2:3], v[10:11]
	global_store_dwordx4 v[8:9], v[4:7], off offset:32
                                        ; implicit-def: $vgpr0_vgpr1
                                        ; implicit-def: $vgpr2_vgpr3
                                        ; implicit-def: $vgpr4_vgpr5
                                        ; implicit-def: $vgpr6_vgpr7
                                        ; implicit-def: $vgpr8
                                        ; implicit-def: $vgpr10_vgpr11
                                        ; implicit-def: $vgpr14_vgpr15
.LBB137_23:
	s_andn2_saveexec_b64 s[0:1], s[0:1]
	s_cbranch_execz .LBB137_25
; %bb.24:
	v_lshl_add_u32 v8, v8, 1, v8
	v_ashrrev_i32_e32 v9, 31, v8
	s_waitcnt lgkmcnt(0)
	v_lshl_add_u64 v[38:39], v[8:9], 4, s[2:3]
	global_load_dwordx4 v[22:25], v[38:39], off
	global_load_dwordx4 v[26:29], v[38:39], off offset:16
	global_load_dwordx4 v[30:33], v[38:39], off offset:32
	v_mul_f64 v[34:35], v[20:21], -v[2:3]
	v_mul_f64 v[20:21], v[0:1], v[20:21]
	v_mul_f64 v[40:41], v[18:19], -v[2:3]
	v_mul_f64 v[36:37], v[0:1], v[18:19]
	;; [unrolled: 2-line block ×3, first 2 shown]
	v_fmac_f64_e32 v[34:35], v[0:1], v[16:17]
	v_fmac_f64_e32 v[20:21], v[2:3], v[16:17]
	;; [unrolled: 1-line block ×6, first 2 shown]
	s_waitcnt vmcnt(2)
	v_fmac_f64_e32 v[34:35], v[4:5], v[22:23]
	v_fmac_f64_e32 v[20:21], v[6:7], v[22:23]
	s_waitcnt vmcnt(1)
	v_fmac_f64_e32 v[40:41], v[4:5], v[26:27]
	v_fmac_f64_e32 v[36:37], v[6:7], v[26:27]
	;; [unrolled: 3-line block ×3, first 2 shown]
	v_fma_f64 v[18:19], -v[6:7], v[24:25], v[34:35]
	v_fmac_f64_e32 v[20:21], v[4:5], v[24:25]
	v_fma_f64 v[34:35], -v[6:7], v[28:29], v[40:41]
	v_fmac_f64_e32 v[36:37], v[4:5], v[28:29]
	;; [unrolled: 2-line block ×3, first 2 shown]
	global_store_dwordx4 v[38:39], v[18:21], off
	global_store_dwordx4 v[38:39], v[34:37], off offset:16
	global_store_dwordx4 v[38:39], v[6:9], off offset:32
.LBB137_25:
	s_endpgm
	.section	.rodata,"a",@progbits
	.p2align	6, 0x0
	.amdhsa_kernel _ZN9rocsparseL19gebsrmvn_3xn_kernelILj128ELj7ELj8E21rocsparse_complex_numIdEEEvi20rocsparse_direction_NS_24const_host_device_scalarIT2_EEPKiS8_PKS5_SA_S6_PS5_21rocsparse_index_base_b
		.amdhsa_group_segment_fixed_size 2048
		.amdhsa_private_segment_fixed_size 0
		.amdhsa_kernarg_size 88
		.amdhsa_user_sgpr_count 4
		.amdhsa_user_sgpr_dispatch_ptr 1
		.amdhsa_user_sgpr_queue_ptr 0
		.amdhsa_user_sgpr_kernarg_segment_ptr 1
		.amdhsa_user_sgpr_dispatch_id 0
		.amdhsa_user_sgpr_kernarg_preload_length 0
		.amdhsa_user_sgpr_kernarg_preload_offset 0
		.amdhsa_user_sgpr_private_segment_size 0
		.amdhsa_uses_dynamic_stack 0
		.amdhsa_enable_private_segment 0
		.amdhsa_system_sgpr_workgroup_id_x 1
		.amdhsa_system_sgpr_workgroup_id_y 0
		.amdhsa_system_sgpr_workgroup_id_z 0
		.amdhsa_system_sgpr_workgroup_info 0
		.amdhsa_system_vgpr_workitem_id 2
		.amdhsa_next_free_vgpr 92
		.amdhsa_next_free_sgpr 20
		.amdhsa_accum_offset 92
		.amdhsa_reserve_vcc 1
		.amdhsa_float_round_mode_32 0
		.amdhsa_float_round_mode_16_64 0
		.amdhsa_float_denorm_mode_32 3
		.amdhsa_float_denorm_mode_16_64 3
		.amdhsa_dx10_clamp 1
		.amdhsa_ieee_mode 1
		.amdhsa_fp16_overflow 0
		.amdhsa_tg_split 0
		.amdhsa_exception_fp_ieee_invalid_op 0
		.amdhsa_exception_fp_denorm_src 0
		.amdhsa_exception_fp_ieee_div_zero 0
		.amdhsa_exception_fp_ieee_overflow 0
		.amdhsa_exception_fp_ieee_underflow 0
		.amdhsa_exception_fp_ieee_inexact 0
		.amdhsa_exception_int_div_zero 0
	.end_amdhsa_kernel
	.section	.text._ZN9rocsparseL19gebsrmvn_3xn_kernelILj128ELj7ELj8E21rocsparse_complex_numIdEEEvi20rocsparse_direction_NS_24const_host_device_scalarIT2_EEPKiS8_PKS5_SA_S6_PS5_21rocsparse_index_base_b,"axG",@progbits,_ZN9rocsparseL19gebsrmvn_3xn_kernelILj128ELj7ELj8E21rocsparse_complex_numIdEEEvi20rocsparse_direction_NS_24const_host_device_scalarIT2_EEPKiS8_PKS5_SA_S6_PS5_21rocsparse_index_base_b,comdat
.Lfunc_end137:
	.size	_ZN9rocsparseL19gebsrmvn_3xn_kernelILj128ELj7ELj8E21rocsparse_complex_numIdEEEvi20rocsparse_direction_NS_24const_host_device_scalarIT2_EEPKiS8_PKS5_SA_S6_PS5_21rocsparse_index_base_b, .Lfunc_end137-_ZN9rocsparseL19gebsrmvn_3xn_kernelILj128ELj7ELj8E21rocsparse_complex_numIdEEEvi20rocsparse_direction_NS_24const_host_device_scalarIT2_EEPKiS8_PKS5_SA_S6_PS5_21rocsparse_index_base_b
                                        ; -- End function
	.section	.AMDGPU.csdata,"",@progbits
; Kernel info:
; codeLenInByte = 3660
; NumSgprs: 26
; NumVgprs: 92
; NumAgprs: 0
; TotalNumVgprs: 92
; ScratchSize: 0
; MemoryBound: 0
; FloatMode: 240
; IeeeMode: 1
; LDSByteSize: 2048 bytes/workgroup (compile time only)
; SGPRBlocks: 3
; VGPRBlocks: 11
; NumSGPRsForWavesPerEU: 26
; NumVGPRsForWavesPerEU: 92
; AccumOffset: 92
; Occupancy: 5
; WaveLimiterHint : 1
; COMPUTE_PGM_RSRC2:SCRATCH_EN: 0
; COMPUTE_PGM_RSRC2:USER_SGPR: 4
; COMPUTE_PGM_RSRC2:TRAP_HANDLER: 0
; COMPUTE_PGM_RSRC2:TGID_X_EN: 1
; COMPUTE_PGM_RSRC2:TGID_Y_EN: 0
; COMPUTE_PGM_RSRC2:TGID_Z_EN: 0
; COMPUTE_PGM_RSRC2:TIDIG_COMP_CNT: 2
; COMPUTE_PGM_RSRC3_GFX90A:ACCUM_OFFSET: 22
; COMPUTE_PGM_RSRC3_GFX90A:TG_SPLIT: 0
	.section	.text._ZN9rocsparseL19gebsrmvn_3xn_kernelILj128ELj7ELj16E21rocsparse_complex_numIdEEEvi20rocsparse_direction_NS_24const_host_device_scalarIT2_EEPKiS8_PKS5_SA_S6_PS5_21rocsparse_index_base_b,"axG",@progbits,_ZN9rocsparseL19gebsrmvn_3xn_kernelILj128ELj7ELj16E21rocsparse_complex_numIdEEEvi20rocsparse_direction_NS_24const_host_device_scalarIT2_EEPKiS8_PKS5_SA_S6_PS5_21rocsparse_index_base_b,comdat
	.globl	_ZN9rocsparseL19gebsrmvn_3xn_kernelILj128ELj7ELj16E21rocsparse_complex_numIdEEEvi20rocsparse_direction_NS_24const_host_device_scalarIT2_EEPKiS8_PKS5_SA_S6_PS5_21rocsparse_index_base_b ; -- Begin function _ZN9rocsparseL19gebsrmvn_3xn_kernelILj128ELj7ELj16E21rocsparse_complex_numIdEEEvi20rocsparse_direction_NS_24const_host_device_scalarIT2_EEPKiS8_PKS5_SA_S6_PS5_21rocsparse_index_base_b
	.p2align	8
	.type	_ZN9rocsparseL19gebsrmvn_3xn_kernelILj128ELj7ELj16E21rocsparse_complex_numIdEEEvi20rocsparse_direction_NS_24const_host_device_scalarIT2_EEPKiS8_PKS5_SA_S6_PS5_21rocsparse_index_base_b,@function
_ZN9rocsparseL19gebsrmvn_3xn_kernelILj128ELj7ELj16E21rocsparse_complex_numIdEEEvi20rocsparse_direction_NS_24const_host_device_scalarIT2_EEPKiS8_PKS5_SA_S6_PS5_21rocsparse_index_base_b: ; @_ZN9rocsparseL19gebsrmvn_3xn_kernelILj128ELj7ELj16E21rocsparse_complex_numIdEEEvi20rocsparse_direction_NS_24const_host_device_scalarIT2_EEPKiS8_PKS5_SA_S6_PS5_21rocsparse_index_base_b
; %bb.0:
	s_load_dwordx2 s[16:17], s[2:3], 0x50
	s_load_dwordx4 s[12:15], s[2:3], 0x8
	s_load_dwordx4 s[8:11], s[2:3], 0x38
	s_load_dwordx2 s[18:19], s[0:1], 0x4
	s_mov_b64 s[6:7], src_shared_base
	s_waitcnt lgkmcnt(0)
	s_bitcmp1_b32 s17, 0
	s_cselect_b64 s[0:1], -1, 0
	s_and_b64 vcc, s[0:1], exec
	s_cselect_b32 s5, s7, s13
	s_lshr_b32 s6, s18, 16
	v_bfe_u32 v1, v0, 10, 10
	v_and_b32_e32 v10, 0x3ff, v0
	s_mul_i32 s6, s6, s19
	v_mul_u32_u24_e32 v1, s19, v1
	v_mad_u32_u24 v1, s6, v10, v1
	v_bfe_u32 v0, v0, 20, 10
	v_add_lshl_u32 v4, v1, v0, 3
	v_mov_b32_e32 v5, s12
	v_add_u32_e32 v6, 0x400, v4
	v_mov_b64_e32 v[0:1], s[12:13]
	v_mov_b64_e32 v[2:3], s[8:9]
	ds_write2st64_b64 v4, v[2:3], v[0:1] offset1:2
	v_cndmask_b32_e64 v0, v5, v6, s[0:1]
	v_mov_b32_e32 v1, s5
	flat_load_dwordx2 v[0:1], v[0:1]
	s_xor_b64 s[18:19], s[0:1], -1
	v_mov_b64_e32 v[2:3], s[14:15]
	s_cbranch_vccnz .LBB138_2
; %bb.1:
	v_mov_b64_e32 v[2:3], s[12:13]
	flat_load_dwordx2 v[2:3], v[2:3] offset:8
.LBB138_2:
	s_and_b64 s[12:13], s[0:1], exec
	s_cselect_b32 s5, s7, s9
	v_mov_b32_e32 v5, s8
	v_cndmask_b32_e64 v4, v5, v4, s[0:1]
	v_mov_b32_e32 v5, s5
	flat_load_dwordx2 v[4:5], v[4:5]
	s_andn2_b64 vcc, exec, s[18:19]
	v_mov_b64_e32 v[6:7], s[10:11]
	s_cbranch_vccnz .LBB138_4
; %bb.3:
	v_mov_b64_e32 v[6:7], s[8:9]
	flat_load_dwordx2 v[6:7], v[6:7] offset:8
.LBB138_4:
	s_waitcnt vmcnt(0) lgkmcnt(0)
	v_cmp_eq_f64_e32 vcc, 0, v[0:1]
	v_cmp_eq_f64_e64 s[0:1], 0, v[2:3]
	s_and_b64 s[8:9], vcc, s[0:1]
	s_mov_b64 s[0:1], -1
	s_and_saveexec_b64 s[6:7], s[8:9]
; %bb.5:
	v_cmp_neq_f64_e32 vcc, 1.0, v[4:5]
	v_cmp_neq_f64_e64 s[0:1], 0, v[6:7]
	s_or_b64 s[0:1], vcc, s[0:1]
	s_orn2_b64 s[0:1], s[0:1], exec
; %bb.6:
	s_or_b64 exec, exec, s[6:7]
	s_and_saveexec_b64 s[6:7], s[0:1]
	s_cbranch_execz .LBB138_25
; %bb.7:
	s_load_dwordx2 s[0:1], s[2:3], 0x0
	v_lshrrev_b32_e32 v8, 4, v10
	v_lshl_or_b32 v8, s4, 3, v8
	s_waitcnt lgkmcnt(0)
	v_cmp_gt_i32_e32 vcc, s0, v8
	s_and_b64 exec, exec, vcc
	s_cbranch_execz .LBB138_25
; %bb.8:
	s_load_dwordx8 s[4:11], s[2:3], 0x18
	v_ashrrev_i32_e32 v9, 31, v8
	s_cmp_lg_u32 s1, 0
	s_waitcnt lgkmcnt(0)
	v_lshl_add_u64 v[12:13], v[8:9], 2, s[4:5]
	global_load_dwordx2 v[12:13], v[12:13], off
	v_and_b32_e32 v9, 15, v10
	s_waitcnt vmcnt(0)
	v_subrev_u32_e32 v10, s16, v12
	v_subrev_u32_e32 v34, s16, v13
	v_add_u32_e32 v16, v10, v9
	v_cmp_lt_i32_e64 s[0:1], v16, v34
	s_cbranch_scc0 .LBB138_14
; %bb.9:
	v_mov_b64_e32 v[12:13], 0
	s_mov_b64 s[4:5], 0
	v_mov_b64_e32 v[22:23], v[12:13]
	v_mov_b64_e32 v[18:19], v[12:13]
	;; [unrolled: 1-line block ×5, first 2 shown]
	s_and_saveexec_b64 s[12:13], s[0:1]
	s_cbranch_execz .LBB138_13
; %bb.10:
	v_mad_u64_u32 v[24:25], s[14:15], v16, 21, 20
	v_mov_b64_e32 v[12:13], 0
	s_mov_b64 s[14:15], 0
	v_mov_b32_e32 v27, 0
	v_mov_b32_e32 v28, v16
	v_mov_b64_e32 v[22:23], v[12:13]
	v_mov_b64_e32 v[18:19], v[12:13]
	;; [unrolled: 1-line block ×5, first 2 shown]
.LBB138_11:                             ; =>This Inner Loop Header: Depth=1
	v_ashrrev_i32_e32 v29, 31, v28
	v_subrev_u32_e32 v26, 20, v24
	v_lshl_add_u64 v[32:33], v[28:29], 2, s[6:7]
	v_lshl_add_u64 v[40:41], v[26:27], 4, s[8:9]
	global_load_dword v17, v[32:33], off
	global_load_dwordx4 v[36:39], v[40:41], off
	v_subrev_u32_e32 v26, 19, v24
	v_mov_b32_e32 v25, v27
	v_lshl_add_u64 v[32:33], v[26:27], 4, s[8:9]
	v_subrev_u32_e32 v26, 18, v24
	v_lshl_add_u64 v[42:43], v[24:25], 4, s[8:9]
	v_lshl_add_u64 v[52:53], v[26:27], 4, s[8:9]
	v_subrev_u32_e32 v26, 17, v24
	v_mov_b32_e32 v31, v27
	global_load_dwordx4 v[40:43], v[42:43], off
	s_nop 0
	global_load_dwordx4 v[44:47], v[32:33], off
	global_load_dwordx4 v[48:51], v[52:53], off
	v_lshl_add_u64 v[32:33], v[26:27], 4, s[8:9]
	global_load_dwordx4 v[52:55], v[32:33], off
	v_add_u32_e32 v28, 16, v28
	v_cmp_ge_i32_e32 vcc, v28, v34
	s_or_b64 s[14:15], vcc, s[14:15]
	s_waitcnt vmcnt(5)
	v_subrev_u32_e32 v17, s16, v17
	v_mul_lo_u32 v30, v17, 7
	v_lshl_add_u64 v[32:33], v[30:31], 4, s[10:11]
	global_load_dwordx4 v[56:59], v[32:33], off
	v_add_u32_e32 v26, 1, v30
	v_lshl_add_u64 v[32:33], v[26:27], 4, s[10:11]
	v_add_u32_e32 v26, -16, v24
	global_load_dwordx4 v[60:63], v[32:33], off
	v_lshl_add_u64 v[32:33], v[26:27], 4, s[8:9]
	v_add_u32_e32 v26, -15, v24
	global_load_dwordx4 v[64:67], v[32:33], off
	;; [unrolled: 3-line block ×3, first 2 shown]
	v_lshl_add_u64 v[32:33], v[26:27], 4, s[8:9]
	v_add_u32_e32 v26, 2, v30
	global_load_dwordx4 v[72:75], v[32:33], off
	v_lshl_add_u64 v[32:33], v[26:27], 4, s[10:11]
	v_add_u32_e32 v26, -13, v24
	global_load_dwordx4 v[76:79], v[32:33], off
	v_lshl_add_u64 v[32:33], v[26:27], 4, s[8:9]
	v_add_u32_e32 v26, -12, v24
	global_load_dwordx4 v[80:83], v[32:33], off
	v_lshl_add_u64 v[32:33], v[26:27], 4, s[8:9]
	v_add_u32_e32 v26, -11, v24
	global_load_dwordx4 v[84:87], v[32:33], off
	v_lshl_add_u64 v[32:33], v[26:27], 4, s[8:9]
	v_add_u32_e32 v26, 3, v30
	s_waitcnt vmcnt(7)
	v_fmac_f64_e32 v[22:23], v[36:37], v[56:57]
	v_fma_f64 v[88:89], -v[38:39], v[58:59], v[22:23]
	v_lshl_add_u64 v[22:23], v[26:27], 4, s[10:11]
	v_add_u32_e32 v26, -10, v24
	v_fmac_f64_e32 v[14:15], v[46:47], v[56:57]
	v_fmac_f64_e32 v[20:21], v[44:45], v[56:57]
	;; [unrolled: 1-line block ×3, first 2 shown]
	v_lshl_add_u64 v[44:45], v[26:27], 4, s[8:9]
	v_add_u32_e32 v26, -9, v24
	v_fmac_f64_e32 v[10:11], v[50:51], v[56:57]
	v_fmac_f64_e32 v[12:13], v[38:39], v[56:57]
	;; [unrolled: 1-line block ×4, first 2 shown]
	v_lshl_add_u64 v[48:49], v[26:27], 4, s[8:9]
	v_fmac_f64_e32 v[12:13], v[36:37], v[58:59]
	global_load_dwordx4 v[36:39], v[32:33], off
	v_fma_f64 v[18:19], -v[50:51], v[58:59], v[18:19]
	global_load_dwordx4 v[48:51], v[48:49], off
	v_fma_f64 v[32:33], -v[46:47], v[58:59], v[20:21]
	global_load_dwordx4 v[20:23], v[22:23], off
	v_add_u32_e32 v26, -8, v24
	global_load_dwordx4 v[44:47], v[44:45], off
	v_lshl_add_u64 v[56:57], v[26:27], 4, s[8:9]
	v_add_u32_e32 v26, 4, v30
	s_waitcnt vmcnt(10)
	v_fmac_f64_e32 v[88:89], v[52:53], v[60:61]
	v_fmac_f64_e32 v[12:13], v[54:55], v[60:61]
	v_fma_f64 v[88:89], -v[54:55], v[62:63], v[88:89]
	v_fmac_f64_e32 v[12:13], v[52:53], v[62:63]
	global_load_dwordx4 v[52:55], v[56:57], off
	v_lshl_add_u64 v[56:57], v[26:27], 4, s[10:11]
	v_add_u32_e32 v26, -7, v24
	v_lshl_add_u64 v[90:91], v[26:27], 4, s[8:9]
	v_add_u32_e32 v26, -6, v24
	s_waitcnt vmcnt(9)
	v_fmac_f64_e32 v[10:11], v[70:71], v[60:61]
	v_fmac_f64_e32 v[32:33], v[64:65], v[60:61]
	;; [unrolled: 1-line block ×5, first 2 shown]
	v_lshl_add_u64 v[68:69], v[26:27], 4, s[8:9]
	v_add_u32_e32 v26, -5, v24
	v_fma_f64 v[32:33], -v[66:67], v[62:63], v[32:33]
	v_fmac_f64_e32 v[14:15], v[64:65], v[62:63]
	global_load_dwordx4 v[56:59], v[56:57], off
	v_fma_f64 v[18:19], -v[70:71], v[62:63], v[18:19]
	global_load_dwordx4 v[60:63], v[90:91], off
	global_load_dwordx4 v[64:67], v[68:69], off
	v_lshl_add_u64 v[68:69], v[26:27], 4, s[8:9]
	v_add_u32_e32 v26, 5, v30
	s_waitcnt vmcnt(10)
	v_fmac_f64_e32 v[12:13], v[74:75], v[76:77]
	v_fmac_f64_e32 v[88:89], v[72:73], v[76:77]
	;; [unrolled: 1-line block ×3, first 2 shown]
	v_lshl_add_u64 v[72:73], v[26:27], 4, s[10:11]
	v_add_u32_e32 v26, -4, v24
	s_waitcnt vmcnt(9)
	v_fmac_f64_e32 v[32:33], v[80:81], v[76:77]
	v_fma_f64 v[90:91], -v[82:83], v[78:79], v[32:33]
	v_lshl_add_u64 v[32:33], v[26:27], 4, s[8:9]
	v_add_u32_e32 v26, -3, v24
	s_waitcnt vmcnt(8)
	v_fmac_f64_e32 v[10:11], v[86:87], v[76:77]
	v_fmac_f64_e32 v[14:15], v[82:83], v[76:77]
	;; [unrolled: 1-line block ×4, first 2 shown]
	v_lshl_add_u64 v[84:85], v[26:27], 4, s[8:9]
	v_add_u32_e32 v26, -2, v24
	v_fma_f64 v[88:89], -v[74:75], v[78:79], v[88:89]
	v_fmac_f64_e32 v[14:15], v[80:81], v[78:79]
	v_fma_f64 v[18:19], -v[86:87], v[78:79], v[18:19]
	v_lshl_add_u64 v[86:87], v[26:27], 4, s[8:9]
	v_add_u32_e32 v26, 6, v30
	global_load_dwordx4 v[68:71], v[68:69], off
	s_waitcnt vmcnt(6)
	v_fmac_f64_e32 v[12:13], v[38:39], v[20:21]
	global_load_dwordx4 v[76:79], v[32:33], off
	v_fmac_f64_e32 v[88:89], v[36:37], v[20:21]
	global_load_dwordx4 v[72:75], v[72:73], off
	v_fmac_f64_e32 v[12:13], v[36:37], v[22:23]
	v_lshl_add_u64 v[36:37], v[26:27], 4, s[10:11]
	v_add_u32_e32 v26, -1, v24
	s_waitcnt vmcnt(7)
	v_fmac_f64_e32 v[14:15], v[46:47], v[20:21]
	global_load_dwordx4 v[30:33], v[84:85], off
	global_load_dwordx4 v[80:83], v[86:87], off
	v_fmac_f64_e32 v[90:91], v[44:45], v[20:21]
	v_fmac_f64_e32 v[14:15], v[44:45], v[22:23]
	v_lshl_add_u64 v[44:45], v[26:27], 4, s[8:9]
	v_fma_f64 v[84:85], -v[38:39], v[22:23], v[88:89]
	global_load_dwordx4 v[36:39], v[36:37], off
	v_fma_f64 v[86:87], -v[46:47], v[22:23], v[90:91]
	global_load_dwordx4 v[44:47], v[44:45], off
	v_fmac_f64_e32 v[18:19], v[48:49], v[20:21]
	v_fmac_f64_e32 v[10:11], v[50:51], v[20:21]
	v_fma_f64 v[18:19], -v[50:51], v[22:23], v[18:19]
	v_fmac_f64_e32 v[10:11], v[48:49], v[22:23]
	v_add_u32_e32 v24, 0x150, v24
	s_waitcnt vmcnt(9)
	v_fmac_f64_e32 v[84:85], v[52:53], v[56:57]
	v_fmac_f64_e32 v[12:13], v[54:55], v[56:57]
	s_waitcnt vmcnt(8)
	v_fmac_f64_e32 v[86:87], v[60:61], v[56:57]
	v_fmac_f64_e32 v[14:15], v[62:63], v[56:57]
	s_waitcnt vmcnt(7)
	v_fmac_f64_e32 v[18:19], v[64:65], v[56:57]
	v_fmac_f64_e32 v[10:11], v[66:67], v[56:57]
	v_fma_f64 v[20:21], -v[54:55], v[58:59], v[84:85]
	v_fmac_f64_e32 v[12:13], v[52:53], v[58:59]
	v_fma_f64 v[22:23], -v[62:63], v[58:59], v[86:87]
	v_fmac_f64_e32 v[14:15], v[60:61], v[58:59]
	;; [unrolled: 2-line block ×3, first 2 shown]
	s_waitcnt vmcnt(4)
	v_fmac_f64_e32 v[20:21], v[68:69], v[72:73]
	v_fmac_f64_e32 v[12:13], v[70:71], v[72:73]
	;; [unrolled: 1-line block ×4, first 2 shown]
	s_waitcnt vmcnt(3)
	v_fmac_f64_e32 v[18:19], v[30:31], v[72:73]
	v_fmac_f64_e32 v[10:11], v[32:33], v[72:73]
	v_fma_f64 v[20:21], -v[70:71], v[74:75], v[20:21]
	v_fmac_f64_e32 v[12:13], v[68:69], v[74:75]
	v_fma_f64 v[48:49], -v[78:79], v[74:75], v[22:23]
	;; [unrolled: 2-line block ×3, first 2 shown]
	v_fmac_f64_e32 v[10:11], v[30:31], v[74:75]
	s_waitcnt vmcnt(1)
	v_fmac_f64_e32 v[20:21], v[80:81], v[36:37]
	v_fmac_f64_e32 v[12:13], v[82:83], v[36:37]
	;; [unrolled: 1-line block ×4, first 2 shown]
	s_waitcnt vmcnt(0)
	v_fmac_f64_e32 v[48:49], v[44:45], v[36:37]
	v_fmac_f64_e32 v[14:15], v[46:47], v[36:37]
	v_fma_f64 v[22:23], -v[82:83], v[38:39], v[20:21]
	v_fmac_f64_e32 v[12:13], v[80:81], v[38:39]
	v_fma_f64 v[18:19], -v[42:43], v[38:39], v[18:19]
	;; [unrolled: 2-line block ×3, first 2 shown]
	v_fmac_f64_e32 v[14:15], v[44:45], v[38:39]
	s_andn2_b64 exec, exec, s[14:15]
	s_cbranch_execnz .LBB138_11
; %bb.12:
	s_or_b64 exec, exec, s[14:15]
.LBB138_13:
	s_or_b64 exec, exec, s[12:13]
	s_andn2_b64 vcc, exec, s[4:5]
	s_cbranch_vccz .LBB138_15
	s_branch .LBB138_20
.LBB138_14:
                                        ; implicit-def: $vgpr12_vgpr13
                                        ; implicit-def: $vgpr22_vgpr23
                                        ; implicit-def: $vgpr18_vgpr19
                                        ; implicit-def: $vgpr10_vgpr11
                                        ; implicit-def: $vgpr20_vgpr21
                                        ; implicit-def: $vgpr14_vgpr15
.LBB138_15:
	v_mov_b64_e32 v[12:13], 0
	v_mov_b64_e32 v[22:23], v[12:13]
	;; [unrolled: 1-line block ×6, first 2 shown]
	s_and_saveexec_b64 s[4:5], s[0:1]
	s_cbranch_execz .LBB138_19
; %bb.16:
	v_mad_u64_u32 v[24:25], s[0:1], v16, 21, 20
	v_mov_b64_e32 v[12:13], 0
	s_mov_b64 s[0:1], 0
	v_mov_b32_e32 v27, 0
	v_mov_b64_e32 v[22:23], v[12:13]
	v_mov_b64_e32 v[18:19], v[12:13]
	;; [unrolled: 1-line block ×5, first 2 shown]
.LBB138_17:                             ; =>This Inner Loop Header: Depth=1
	v_ashrrev_i32_e32 v17, 31, v16
	v_subrev_u32_e32 v26, 20, v24
	v_add_u32_e32 v32, -13, v24
	v_add_u32_e32 v30, -6, v24
	v_mov_b32_e32 v33, v27
	v_mov_b32_e32 v31, v27
	v_lshl_add_u64 v[44:45], v[16:17], 2, s[6:7]
	v_lshl_add_u64 v[46:47], v[26:27], 4, s[8:9]
	;; [unrolled: 1-line block ×4, first 2 shown]
	global_load_dword v17, v[44:45], off
	global_load_dwordx4 v[30:33], v[46:47], off
	global_load_dwordx4 v[36:39], v[48:49], off
	;; [unrolled: 1-line block ×3, first 2 shown]
	v_mov_b32_e32 v29, v27
	v_subrev_u32_e32 v26, 19, v24
	v_lshl_add_u64 v[44:45], v[26:27], 4, s[8:9]
	global_load_dwordx4 v[44:47], v[44:45], off
	v_mov_b32_e32 v25, v27
	v_lshl_add_u64 v[76:77], v[24:25], 4, s[8:9]
	v_add_u32_e32 v16, 16, v16
	v_cmp_ge_i32_e32 vcc, v16, v34
	s_or_b64 s[0:1], vcc, s[0:1]
	s_waitcnt vmcnt(4)
	v_subrev_u32_e32 v17, s16, v17
	v_mul_lo_u32 v28, v17, 7
	v_lshl_add_u64 v[48:49], v[28:29], 4, s[10:11]
	global_load_dwordx4 v[48:51], v[48:49], off
	v_add_u32_e32 v26, 1, v28
	v_lshl_add_u64 v[52:53], v[26:27], 4, s[10:11]
	global_load_dwordx4 v[52:55], v[52:53], off
	v_add_u32_e32 v26, -12, v24
	v_lshl_add_u64 v[56:57], v[26:27], 4, s[8:9]
	v_add_u32_e32 v26, -5, v24
	v_lshl_add_u64 v[60:61], v[26:27], 4, s[8:9]
	v_subrev_u32_e32 v26, 18, v24
	v_lshl_add_u64 v[64:65], v[26:27], 4, s[8:9]
	v_add_u32_e32 v26, 2, v28
	global_load_dwordx4 v[56:59], v[56:57], off
	v_lshl_add_u64 v[68:69], v[26:27], 4, s[10:11]
	global_load_dwordx4 v[60:63], v[60:61], off
	v_add_u32_e32 v26, -11, v24
	v_lshl_add_u64 v[72:73], v[26:27], 4, s[8:9]
	v_add_u32_e32 v26, -4, v24
	global_load_dwordx4 v[64:67], v[64:65], off
	s_waitcnt vmcnt(4)
	v_fmac_f64_e32 v[22:23], v[30:31], v[48:49]
	global_load_dwordx4 v[68:71], v[68:69], off
	v_fmac_f64_e32 v[12:13], v[32:33], v[48:49]
	v_fma_f64 v[78:79], -v[32:33], v[50:51], v[22:23]
	v_lshl_add_u64 v[22:23], v[26:27], 4, s[8:9]
	global_load_dwordx4 v[72:75], v[72:73], off
	v_fmac_f64_e32 v[12:13], v[30:31], v[50:51]
	v_subrev_u32_e32 v26, 17, v24
	global_load_dwordx4 v[30:33], v[22:23], off
	v_fmac_f64_e32 v[20:21], v[36:37], v[48:49]
	v_fmac_f64_e32 v[14:15], v[38:39], v[48:49]
	v_fma_f64 v[80:81], -v[38:39], v[50:51], v[20:21]
	v_lshl_add_u64 v[20:21], v[26:27], 4, s[8:9]
	v_add_u32_e32 v26, 3, v28
	v_fmac_f64_e32 v[14:15], v[36:37], v[50:51]
	v_fmac_f64_e32 v[10:11], v[42:43], v[48:49]
	v_lshl_add_u64 v[36:37], v[26:27], 4, s[10:11]
	v_add_u32_e32 v26, -10, v24
	global_load_dwordx4 v[20:23], v[20:21], off
	v_fmac_f64_e32 v[18:19], v[40:41], v[48:49]
	v_fmac_f64_e32 v[10:11], v[40:41], v[50:51]
	global_load_dwordx4 v[36:39], v[36:37], off
	v_lshl_add_u64 v[40:41], v[26:27], 4, s[8:9]
	v_fma_f64 v[18:19], -v[42:43], v[50:51], v[18:19]
	v_add_u32_e32 v26, -3, v24
	global_load_dwordx4 v[40:43], v[40:41], off
	s_waitcnt vmcnt(9)
	v_fmac_f64_e32 v[12:13], v[46:47], v[52:53]
	v_fmac_f64_e32 v[78:79], v[44:45], v[52:53]
	;; [unrolled: 1-line block ×3, first 2 shown]
	v_lshl_add_u64 v[44:45], v[26:27], 4, s[8:9]
	v_fma_f64 v[78:79], -v[46:47], v[54:55], v[78:79]
	global_load_dwordx4 v[44:47], v[44:45], off
	v_add_u32_e32 v26, -16, v24
	v_lshl_add_u64 v[48:49], v[26:27], 4, s[8:9]
	global_load_dwordx4 v[48:51], v[48:49], off
	v_add_u32_e32 v26, 4, v28
	s_waitcnt vmcnt(10)
	v_fmac_f64_e32 v[80:81], v[56:57], v[52:53]
	v_fmac_f64_e32 v[14:15], v[58:59], v[52:53]
	s_waitcnt vmcnt(9)
	v_fmac_f64_e32 v[18:19], v[60:61], v[52:53]
	v_fmac_f64_e32 v[10:11], v[62:63], v[52:53]
	v_lshl_add_u64 v[52:53], v[26:27], 4, s[10:11]
	v_add_u32_e32 v26, -9, v24
	v_lshl_add_u64 v[82:83], v[26:27], 4, s[8:9]
	v_add_u32_e32 v26, -2, v24
	v_fmac_f64_e32 v[14:15], v[56:57], v[54:55]
	v_fma_f64 v[18:19], -v[62:63], v[54:55], v[18:19]
	v_lshl_add_u64 v[84:85], v[26:27], 4, s[8:9]
	v_add_u32_e32 v26, -15, v24
	v_fma_f64 v[80:81], -v[58:59], v[54:55], v[80:81]
	v_fmac_f64_e32 v[10:11], v[60:61], v[54:55]
	global_load_dwordx4 v[52:55], v[52:53], off
	s_nop 0
	global_load_dwordx4 v[56:59], v[82:83], off
	global_load_dwordx4 v[60:63], v[84:85], off
	s_waitcnt vmcnt(10)
	v_fmac_f64_e32 v[12:13], v[66:67], v[68:69]
	v_fmac_f64_e32 v[78:79], v[64:65], v[68:69]
	;; [unrolled: 1-line block ×3, first 2 shown]
	v_lshl_add_u64 v[64:65], v[26:27], 4, s[8:9]
	s_waitcnt vmcnt(9)
	v_fmac_f64_e32 v[14:15], v[74:75], v[68:69]
	v_add_u32_e32 v26, 5, v28
	v_fmac_f64_e32 v[80:81], v[72:73], v[68:69]
	s_waitcnt vmcnt(8)
	v_fmac_f64_e32 v[18:19], v[30:31], v[68:69]
	v_fmac_f64_e32 v[14:15], v[72:73], v[70:71]
	;; [unrolled: 1-line block ×3, first 2 shown]
	v_fma_f64 v[72:73], -v[32:33], v[70:71], v[18:19]
	v_lshl_add_u64 v[18:19], v[26:27], 4, s[10:11]
	v_add_u32_e32 v26, -8, v24
	v_fma_f64 v[78:79], -v[66:67], v[70:71], v[78:79]
	v_fmac_f64_e32 v[10:11], v[30:31], v[70:71]
	global_load_dwordx4 v[30:33], v[18:19], off
	v_lshl_add_u64 v[18:19], v[26:27], 4, s[8:9]
	v_add_u32_e32 v26, -1, v24
	v_fma_f64 v[74:75], -v[74:75], v[70:71], v[80:81]
	v_lshl_add_u64 v[68:69], v[26:27], 4, s[8:9]
	v_add_u32_e32 v26, -14, v24
	s_waitcnt vmcnt(7)
	v_fmac_f64_e32 v[78:79], v[20:21], v[36:37]
	v_fmac_f64_e32 v[12:13], v[22:23], v[36:37]
	v_fma_f64 v[22:23], -v[22:23], v[38:39], v[78:79]
	v_lshl_add_u64 v[78:79], v[26:27], 4, s[8:9]
	v_add_u32_e32 v26, 6, v28
	s_waitcnt vmcnt(6)
	v_fmac_f64_e32 v[74:75], v[40:41], v[36:37]
	global_load_dwordx4 v[64:67], v[64:65], off
	v_fmac_f64_e32 v[12:13], v[20:21], v[38:39]
	global_load_dwordx4 v[18:21], v[18:19], off
	v_fma_f64 v[28:29], -v[42:43], v[38:39], v[74:75]
	global_load_dwordx4 v[68:71], v[68:69], off
	v_lshl_add_u64 v[74:75], v[26:27], 4, s[10:11]
	v_add_u32_e32 v26, -7, v24
	v_fmac_f64_e32 v[14:15], v[42:43], v[36:37]
	s_waitcnt vmcnt(8)
	v_fmac_f64_e32 v[72:73], v[44:45], v[36:37]
	v_fmac_f64_e32 v[10:11], v[46:47], v[36:37]
	v_lshl_add_u64 v[80:81], v[26:27], 4, s[8:9]
	v_fmac_f64_e32 v[14:15], v[40:41], v[38:39]
	global_load_dwordx4 v[40:43], v[78:79], off
	v_fma_f64 v[78:79], -v[46:47], v[38:39], v[72:73]
	v_fmac_f64_e32 v[10:11], v[44:45], v[38:39]
	global_load_dwordx4 v[36:39], v[74:75], off
	global_load_dwordx4 v[44:47], v[80:81], off
	s_nop 0
	global_load_dwordx4 v[72:75], v[76:77], off
	v_add_u32_e32 v24, 0x150, v24
	s_waitcnt vmcnt(10)
	v_fmac_f64_e32 v[22:23], v[48:49], v[52:53]
	v_fmac_f64_e32 v[12:13], v[50:51], v[52:53]
	s_waitcnt vmcnt(9)
	v_fmac_f64_e32 v[28:29], v[56:57], v[52:53]
	v_fmac_f64_e32 v[14:15], v[58:59], v[52:53]
	s_waitcnt vmcnt(8)
	v_fmac_f64_e32 v[78:79], v[60:61], v[52:53]
	v_fmac_f64_e32 v[10:11], v[62:63], v[52:53]
	v_fma_f64 v[22:23], -v[50:51], v[54:55], v[22:23]
	v_fmac_f64_e32 v[12:13], v[48:49], v[54:55]
	v_fma_f64 v[28:29], -v[58:59], v[54:55], v[28:29]
	v_fmac_f64_e32 v[14:15], v[56:57], v[54:55]
	v_fma_f64 v[48:49], -v[62:63], v[54:55], v[78:79]
	v_fmac_f64_e32 v[10:11], v[60:61], v[54:55]
	s_waitcnt vmcnt(6)
	v_fmac_f64_e32 v[22:23], v[64:65], v[30:31]
	v_fmac_f64_e32 v[12:13], v[66:67], v[30:31]
	s_waitcnt vmcnt(5)
	v_fmac_f64_e32 v[28:29], v[18:19], v[30:31]
	v_fmac_f64_e32 v[14:15], v[20:21], v[30:31]
	s_waitcnt vmcnt(4)
	v_fmac_f64_e32 v[48:49], v[68:69], v[30:31]
	v_fmac_f64_e32 v[10:11], v[70:71], v[30:31]
	v_fma_f64 v[22:23], -v[66:67], v[32:33], v[22:23]
	v_fmac_f64_e32 v[12:13], v[64:65], v[32:33]
	v_fma_f64 v[20:21], -v[20:21], v[32:33], v[28:29]
	v_fmac_f64_e32 v[14:15], v[18:19], v[32:33]
	v_fma_f64 v[18:19], -v[70:71], v[32:33], v[48:49]
	v_fmac_f64_e32 v[10:11], v[68:69], v[32:33]
	;; [unrolled: 15-line block ×3, first 2 shown]
	s_andn2_b64 exec, exec, s[0:1]
	s_cbranch_execnz .LBB138_17
; %bb.18:
	s_or_b64 exec, exec, s[0:1]
.LBB138_19:
	s_or_b64 exec, exec, s[4:5]
.LBB138_20:
	v_mov_b32_dpp v26, v20 row_shr:1 row_mask:0xf bank_mask:0xf
	v_mov_b32_dpp v27, v21 row_shr:1 row_mask:0xf bank_mask:0xf
	v_add_f64 v[20:21], v[20:21], v[26:27]
	v_mov_b32_dpp v16, v22 row_shr:1 row_mask:0xf bank_mask:0xf
	v_mov_b32_dpp v17, v23 row_shr:1 row_mask:0xf bank_mask:0xf
	v_mov_b32_dpp v26, v20 row_shr:2 row_mask:0xf bank_mask:0xf
	v_mov_b32_dpp v27, v21 row_shr:2 row_mask:0xf bank_mask:0xf
	v_add_f64 v[20:21], v[20:21], v[26:27]
	v_mov_b32_dpp v24, v12 row_shr:1 row_mask:0xf bank_mask:0xf
	v_mov_b32_dpp v25, v13 row_shr:1 row_mask:0xf bank_mask:0xf
	;; [unrolled: 5-line block ×3, first 2 shown]
	v_add_f64 v[14:15], v[14:15], v[20:21]
	v_add_f64 v[16:17], v[22:23], v[16:17]
	;; [unrolled: 1-line block ×3, first 2 shown]
	v_mov_b32_dpp v20, v14 row_shr:2 row_mask:0xf bank_mask:0xf
	v_mov_b32_dpp v21, v15 row_shr:2 row_mask:0xf bank_mask:0xf
	v_add_f64 v[14:15], v[14:15], v[20:21]
	v_mov_b32_dpp v22, v16 row_shr:2 row_mask:0xf bank_mask:0xf
	v_mov_b32_dpp v23, v17 row_shr:2 row_mask:0xf bank_mask:0xf
	;; [unrolled: 1-line block ×4, first 2 shown]
	v_add_f64 v[14:15], v[14:15], v[20:21]
	v_mov_b32_dpp v20, v18 row_shr:1 row_mask:0xf bank_mask:0xf
	v_mov_b32_dpp v21, v19 row_shr:1 row_mask:0xf bank_mask:0xf
	v_add_f64 v[18:19], v[18:19], v[20:21]
	v_mov_b32_dpp v24, v12 row_shr:2 row_mask:0xf bank_mask:0xf
	v_mov_b32_dpp v25, v13 row_shr:2 row_mask:0xf bank_mask:0xf
	;; [unrolled: 1-line block ×4, first 2 shown]
	v_add_f64 v[18:19], v[18:19], v[20:21]
	v_add_f64 v[16:17], v[16:17], v[22:23]
	;; [unrolled: 1-line block ×3, first 2 shown]
	v_mov_b32_dpp v20, v18 row_shr:4 row_mask:0xf bank_mask:0xe
	v_mov_b32_dpp v21, v19 row_shr:4 row_mask:0xf bank_mask:0xe
	v_add_f64 v[32:33], v[18:19], v[20:21]
	v_mov_b32_dpp v18, v10 row_shr:1 row_mask:0xf bank_mask:0xf
	v_mov_b32_dpp v19, v11 row_shr:1 row_mask:0xf bank_mask:0xf
	v_add_f64 v[10:11], v[10:11], v[18:19]
	v_mov_b32_dpp v22, v16 row_shr:4 row_mask:0xf bank_mask:0xe
	v_mov_b32_dpp v23, v17 row_shr:4 row_mask:0xf bank_mask:0xe
	;; [unrolled: 1-line block ×4, first 2 shown]
	v_add_f64 v[10:11], v[10:11], v[18:19]
	v_mov_b32_dpp v24, v12 row_shr:4 row_mask:0xf bank_mask:0xe
	v_mov_b32_dpp v25, v13 row_shr:4 row_mask:0xf bank_mask:0xe
	;; [unrolled: 1-line block ×4, first 2 shown]
	v_add_f64 v[16:17], v[16:17], v[22:23]
	v_add_f64 v[12:13], v[12:13], v[24:25]
	;; [unrolled: 1-line block ×3, first 2 shown]
	v_mov_b32_dpp v22, v16 row_shr:8 row_mask:0xf bank_mask:0xc
	v_mov_b32_dpp v23, v17 row_shr:8 row_mask:0xf bank_mask:0xc
	;; [unrolled: 1-line block ×12, first 2 shown]
	v_cmp_eq_u32_e32 vcc, 15, v9
	s_and_b64 exec, exec, vcc
	s_cbranch_execz .LBB138_25
; %bb.21:
	s_load_dwordx2 s[2:3], s[2:3], 0x48
	v_cmp_eq_f64_e32 vcc, 0, v[4:5]
	v_cmp_eq_f64_e64 s[0:1], 0, v[6:7]
	v_add_f64 v[16:17], v[16:17], v[22:23]
	v_add_f64 v[20:21], v[12:13], v[24:25]
	;; [unrolled: 1-line block ×6, first 2 shown]
	s_and_b64 s[0:1], vcc, s[0:1]
	s_and_saveexec_b64 s[4:5], s[0:1]
	s_xor_b64 s[0:1], exec, s[4:5]
	s_cbranch_execz .LBB138_23
; %bb.22:
	v_lshl_add_u32 v8, v8, 1, v8
	v_mul_f64 v[4:5], v[20:21], -v[2:3]
	v_mul_f64 v[6:7], v[0:1], v[20:21]
	v_ashrrev_i32_e32 v9, 31, v8
	v_fmac_f64_e32 v[4:5], v[0:1], v[16:17]
	v_fmac_f64_e32 v[6:7], v[2:3], v[16:17]
	s_waitcnt lgkmcnt(0)
	v_lshl_add_u64 v[8:9], v[8:9], 4, s[2:3]
	global_store_dwordx4 v[8:9], v[4:7], off
                                        ; implicit-def: $vgpr16_vgpr17
                                        ; implicit-def: $vgpr20_vgpr21
	s_nop 1
	v_mul_f64 v[4:5], v[18:19], -v[2:3]
	v_mul_f64 v[6:7], v[0:1], v[18:19]
	v_fmac_f64_e32 v[4:5], v[0:1], v[12:13]
	v_fmac_f64_e32 v[6:7], v[2:3], v[12:13]
	global_store_dwordx4 v[8:9], v[4:7], off offset:16
                                        ; implicit-def: $vgpr12_vgpr13
                                        ; implicit-def: $vgpr18_vgpr19
	s_nop 1
	v_mul_f64 v[4:5], v[14:15], -v[2:3]
	v_mul_f64 v[6:7], v[0:1], v[14:15]
	v_fmac_f64_e32 v[4:5], v[0:1], v[10:11]
	v_fmac_f64_e32 v[6:7], v[2:3], v[10:11]
	global_store_dwordx4 v[8:9], v[4:7], off offset:32
                                        ; implicit-def: $vgpr0_vgpr1
                                        ; implicit-def: $vgpr2_vgpr3
                                        ; implicit-def: $vgpr4_vgpr5
                                        ; implicit-def: $vgpr6_vgpr7
                                        ; implicit-def: $vgpr8
                                        ; implicit-def: $vgpr10_vgpr11
                                        ; implicit-def: $vgpr14_vgpr15
.LBB138_23:
	s_andn2_saveexec_b64 s[0:1], s[0:1]
	s_cbranch_execz .LBB138_25
; %bb.24:
	v_lshl_add_u32 v8, v8, 1, v8
	v_ashrrev_i32_e32 v9, 31, v8
	s_waitcnt lgkmcnt(0)
	v_lshl_add_u64 v[38:39], v[8:9], 4, s[2:3]
	global_load_dwordx4 v[22:25], v[38:39], off
	global_load_dwordx4 v[26:29], v[38:39], off offset:16
	global_load_dwordx4 v[30:33], v[38:39], off offset:32
	v_mul_f64 v[34:35], v[20:21], -v[2:3]
	v_mul_f64 v[20:21], v[0:1], v[20:21]
	v_mul_f64 v[40:41], v[18:19], -v[2:3]
	v_mul_f64 v[36:37], v[0:1], v[18:19]
	v_mul_f64 v[42:43], v[14:15], -v[2:3]
	v_mul_f64 v[8:9], v[0:1], v[14:15]
	v_fmac_f64_e32 v[34:35], v[0:1], v[16:17]
	v_fmac_f64_e32 v[20:21], v[2:3], v[16:17]
	;; [unrolled: 1-line block ×6, first 2 shown]
	s_waitcnt vmcnt(2)
	v_fmac_f64_e32 v[34:35], v[4:5], v[22:23]
	v_fmac_f64_e32 v[20:21], v[6:7], v[22:23]
	s_waitcnt vmcnt(1)
	v_fmac_f64_e32 v[40:41], v[4:5], v[26:27]
	v_fmac_f64_e32 v[36:37], v[6:7], v[26:27]
	;; [unrolled: 3-line block ×3, first 2 shown]
	v_fma_f64 v[18:19], -v[6:7], v[24:25], v[34:35]
	v_fmac_f64_e32 v[20:21], v[4:5], v[24:25]
	v_fma_f64 v[34:35], -v[6:7], v[28:29], v[40:41]
	v_fmac_f64_e32 v[36:37], v[4:5], v[28:29]
	;; [unrolled: 2-line block ×3, first 2 shown]
	global_store_dwordx4 v[38:39], v[18:21], off
	global_store_dwordx4 v[38:39], v[34:37], off offset:16
	global_store_dwordx4 v[38:39], v[6:9], off offset:32
.LBB138_25:
	s_endpgm
	.section	.rodata,"a",@progbits
	.p2align	6, 0x0
	.amdhsa_kernel _ZN9rocsparseL19gebsrmvn_3xn_kernelILj128ELj7ELj16E21rocsparse_complex_numIdEEEvi20rocsparse_direction_NS_24const_host_device_scalarIT2_EEPKiS8_PKS5_SA_S6_PS5_21rocsparse_index_base_b
		.amdhsa_group_segment_fixed_size 2048
		.amdhsa_private_segment_fixed_size 0
		.amdhsa_kernarg_size 88
		.amdhsa_user_sgpr_count 4
		.amdhsa_user_sgpr_dispatch_ptr 1
		.amdhsa_user_sgpr_queue_ptr 0
		.amdhsa_user_sgpr_kernarg_segment_ptr 1
		.amdhsa_user_sgpr_dispatch_id 0
		.amdhsa_user_sgpr_kernarg_preload_length 0
		.amdhsa_user_sgpr_kernarg_preload_offset 0
		.amdhsa_user_sgpr_private_segment_size 0
		.amdhsa_uses_dynamic_stack 0
		.amdhsa_enable_private_segment 0
		.amdhsa_system_sgpr_workgroup_id_x 1
		.amdhsa_system_sgpr_workgroup_id_y 0
		.amdhsa_system_sgpr_workgroup_id_z 0
		.amdhsa_system_sgpr_workgroup_info 0
		.amdhsa_system_vgpr_workitem_id 2
		.amdhsa_next_free_vgpr 92
		.amdhsa_next_free_sgpr 20
		.amdhsa_accum_offset 92
		.amdhsa_reserve_vcc 1
		.amdhsa_float_round_mode_32 0
		.amdhsa_float_round_mode_16_64 0
		.amdhsa_float_denorm_mode_32 3
		.amdhsa_float_denorm_mode_16_64 3
		.amdhsa_dx10_clamp 1
		.amdhsa_ieee_mode 1
		.amdhsa_fp16_overflow 0
		.amdhsa_tg_split 0
		.amdhsa_exception_fp_ieee_invalid_op 0
		.amdhsa_exception_fp_denorm_src 0
		.amdhsa_exception_fp_ieee_div_zero 0
		.amdhsa_exception_fp_ieee_overflow 0
		.amdhsa_exception_fp_ieee_underflow 0
		.amdhsa_exception_fp_ieee_inexact 0
		.amdhsa_exception_int_div_zero 0
	.end_amdhsa_kernel
	.section	.text._ZN9rocsparseL19gebsrmvn_3xn_kernelILj128ELj7ELj16E21rocsparse_complex_numIdEEEvi20rocsparse_direction_NS_24const_host_device_scalarIT2_EEPKiS8_PKS5_SA_S6_PS5_21rocsparse_index_base_b,"axG",@progbits,_ZN9rocsparseL19gebsrmvn_3xn_kernelILj128ELj7ELj16E21rocsparse_complex_numIdEEEvi20rocsparse_direction_NS_24const_host_device_scalarIT2_EEPKiS8_PKS5_SA_S6_PS5_21rocsparse_index_base_b,comdat
.Lfunc_end138:
	.size	_ZN9rocsparseL19gebsrmvn_3xn_kernelILj128ELj7ELj16E21rocsparse_complex_numIdEEEvi20rocsparse_direction_NS_24const_host_device_scalarIT2_EEPKiS8_PKS5_SA_S6_PS5_21rocsparse_index_base_b, .Lfunc_end138-_ZN9rocsparseL19gebsrmvn_3xn_kernelILj128ELj7ELj16E21rocsparse_complex_numIdEEEvi20rocsparse_direction_NS_24const_host_device_scalarIT2_EEPKiS8_PKS5_SA_S6_PS5_21rocsparse_index_base_b
                                        ; -- End function
	.section	.AMDGPU.csdata,"",@progbits
; Kernel info:
; codeLenInByte = 3804
; NumSgprs: 26
; NumVgprs: 92
; NumAgprs: 0
; TotalNumVgprs: 92
; ScratchSize: 0
; MemoryBound: 0
; FloatMode: 240
; IeeeMode: 1
; LDSByteSize: 2048 bytes/workgroup (compile time only)
; SGPRBlocks: 3
; VGPRBlocks: 11
; NumSGPRsForWavesPerEU: 26
; NumVGPRsForWavesPerEU: 92
; AccumOffset: 92
; Occupancy: 5
; WaveLimiterHint : 1
; COMPUTE_PGM_RSRC2:SCRATCH_EN: 0
; COMPUTE_PGM_RSRC2:USER_SGPR: 4
; COMPUTE_PGM_RSRC2:TRAP_HANDLER: 0
; COMPUTE_PGM_RSRC2:TGID_X_EN: 1
; COMPUTE_PGM_RSRC2:TGID_Y_EN: 0
; COMPUTE_PGM_RSRC2:TGID_Z_EN: 0
; COMPUTE_PGM_RSRC2:TIDIG_COMP_CNT: 2
; COMPUTE_PGM_RSRC3_GFX90A:ACCUM_OFFSET: 22
; COMPUTE_PGM_RSRC3_GFX90A:TG_SPLIT: 0
	.section	.text._ZN9rocsparseL19gebsrmvn_3xn_kernelILj128ELj7ELj32E21rocsparse_complex_numIdEEEvi20rocsparse_direction_NS_24const_host_device_scalarIT2_EEPKiS8_PKS5_SA_S6_PS5_21rocsparse_index_base_b,"axG",@progbits,_ZN9rocsparseL19gebsrmvn_3xn_kernelILj128ELj7ELj32E21rocsparse_complex_numIdEEEvi20rocsparse_direction_NS_24const_host_device_scalarIT2_EEPKiS8_PKS5_SA_S6_PS5_21rocsparse_index_base_b,comdat
	.globl	_ZN9rocsparseL19gebsrmvn_3xn_kernelILj128ELj7ELj32E21rocsparse_complex_numIdEEEvi20rocsparse_direction_NS_24const_host_device_scalarIT2_EEPKiS8_PKS5_SA_S6_PS5_21rocsparse_index_base_b ; -- Begin function _ZN9rocsparseL19gebsrmvn_3xn_kernelILj128ELj7ELj32E21rocsparse_complex_numIdEEEvi20rocsparse_direction_NS_24const_host_device_scalarIT2_EEPKiS8_PKS5_SA_S6_PS5_21rocsparse_index_base_b
	.p2align	8
	.type	_ZN9rocsparseL19gebsrmvn_3xn_kernelILj128ELj7ELj32E21rocsparse_complex_numIdEEEvi20rocsparse_direction_NS_24const_host_device_scalarIT2_EEPKiS8_PKS5_SA_S6_PS5_21rocsparse_index_base_b,@function
_ZN9rocsparseL19gebsrmvn_3xn_kernelILj128ELj7ELj32E21rocsparse_complex_numIdEEEvi20rocsparse_direction_NS_24const_host_device_scalarIT2_EEPKiS8_PKS5_SA_S6_PS5_21rocsparse_index_base_b: ; @_ZN9rocsparseL19gebsrmvn_3xn_kernelILj128ELj7ELj32E21rocsparse_complex_numIdEEEvi20rocsparse_direction_NS_24const_host_device_scalarIT2_EEPKiS8_PKS5_SA_S6_PS5_21rocsparse_index_base_b
; %bb.0:
	s_load_dwordx2 s[16:17], s[2:3], 0x50
	s_load_dwordx4 s[12:15], s[2:3], 0x8
	s_load_dwordx4 s[8:11], s[2:3], 0x38
	s_load_dwordx2 s[18:19], s[0:1], 0x4
	s_mov_b64 s[6:7], src_shared_base
	s_waitcnt lgkmcnt(0)
	s_bitcmp1_b32 s17, 0
	s_cselect_b64 s[0:1], -1, 0
	s_and_b64 vcc, s[0:1], exec
	s_cselect_b32 s5, s7, s13
	s_lshr_b32 s6, s18, 16
	v_bfe_u32 v1, v0, 10, 10
	v_and_b32_e32 v10, 0x3ff, v0
	s_mul_i32 s6, s6, s19
	v_mul_u32_u24_e32 v1, s19, v1
	v_mad_u32_u24 v1, s6, v10, v1
	v_bfe_u32 v0, v0, 20, 10
	v_add_lshl_u32 v4, v1, v0, 3
	v_mov_b32_e32 v5, s12
	v_add_u32_e32 v6, 0x400, v4
	v_mov_b64_e32 v[0:1], s[12:13]
	v_mov_b64_e32 v[2:3], s[8:9]
	ds_write2st64_b64 v4, v[2:3], v[0:1] offset1:2
	v_cndmask_b32_e64 v0, v5, v6, s[0:1]
	v_mov_b32_e32 v1, s5
	flat_load_dwordx2 v[0:1], v[0:1]
	s_xor_b64 s[18:19], s[0:1], -1
	v_mov_b64_e32 v[2:3], s[14:15]
	s_cbranch_vccnz .LBB139_2
; %bb.1:
	v_mov_b64_e32 v[2:3], s[12:13]
	flat_load_dwordx2 v[2:3], v[2:3] offset:8
.LBB139_2:
	s_and_b64 s[12:13], s[0:1], exec
	s_cselect_b32 s5, s7, s9
	v_mov_b32_e32 v5, s8
	v_cndmask_b32_e64 v4, v5, v4, s[0:1]
	v_mov_b32_e32 v5, s5
	flat_load_dwordx2 v[4:5], v[4:5]
	s_andn2_b64 vcc, exec, s[18:19]
	v_mov_b64_e32 v[6:7], s[10:11]
	s_cbranch_vccnz .LBB139_4
; %bb.3:
	v_mov_b64_e32 v[6:7], s[8:9]
	flat_load_dwordx2 v[6:7], v[6:7] offset:8
.LBB139_4:
	s_waitcnt vmcnt(0) lgkmcnt(0)
	v_cmp_eq_f64_e32 vcc, 0, v[0:1]
	v_cmp_eq_f64_e64 s[0:1], 0, v[2:3]
	s_and_b64 s[8:9], vcc, s[0:1]
	s_mov_b64 s[0:1], -1
	s_and_saveexec_b64 s[6:7], s[8:9]
; %bb.5:
	v_cmp_neq_f64_e32 vcc, 1.0, v[4:5]
	v_cmp_neq_f64_e64 s[0:1], 0, v[6:7]
	s_or_b64 s[0:1], vcc, s[0:1]
	s_orn2_b64 s[0:1], s[0:1], exec
; %bb.6:
	s_or_b64 exec, exec, s[6:7]
	s_and_saveexec_b64 s[6:7], s[0:1]
	s_cbranch_execz .LBB139_25
; %bb.7:
	s_load_dwordx2 s[0:1], s[2:3], 0x0
	v_lshrrev_b32_e32 v8, 5, v10
	v_lshl_or_b32 v8, s4, 2, v8
	s_waitcnt lgkmcnt(0)
	v_cmp_gt_i32_e32 vcc, s0, v8
	s_and_b64 exec, exec, vcc
	s_cbranch_execz .LBB139_25
; %bb.8:
	s_load_dwordx8 s[4:11], s[2:3], 0x18
	v_ashrrev_i32_e32 v9, 31, v8
	s_cmp_lg_u32 s1, 0
	s_waitcnt lgkmcnt(0)
	v_lshl_add_u64 v[12:13], v[8:9], 2, s[4:5]
	global_load_dwordx2 v[12:13], v[12:13], off
	v_and_b32_e32 v9, 31, v10
	s_waitcnt vmcnt(0)
	v_subrev_u32_e32 v10, s16, v12
	v_subrev_u32_e32 v34, s16, v13
	v_add_u32_e32 v16, v10, v9
	v_cmp_lt_i32_e64 s[0:1], v16, v34
	s_cbranch_scc0 .LBB139_14
; %bb.9:
	v_mov_b64_e32 v[14:15], 0
	s_mov_b64 s[4:5], 0
	v_mov_b64_e32 v[22:23], v[14:15]
	v_mov_b64_e32 v[18:19], v[14:15]
	;; [unrolled: 1-line block ×5, first 2 shown]
	s_and_saveexec_b64 s[12:13], s[0:1]
	s_cbranch_execz .LBB139_13
; %bb.10:
	v_mad_u64_u32 v[24:25], s[14:15], v16, 21, 20
	v_mov_b64_e32 v[14:15], 0
	s_mov_b64 s[14:15], 0
	v_mov_b32_e32 v27, 0
	v_mov_b32_e32 v28, v16
	v_mov_b64_e32 v[22:23], v[14:15]
	v_mov_b64_e32 v[18:19], v[14:15]
	;; [unrolled: 1-line block ×5, first 2 shown]
.LBB139_11:                             ; =>This Inner Loop Header: Depth=1
	v_ashrrev_i32_e32 v29, 31, v28
	v_subrev_u32_e32 v26, 20, v24
	v_lshl_add_u64 v[32:33], v[28:29], 2, s[6:7]
	v_lshl_add_u64 v[40:41], v[26:27], 4, s[8:9]
	global_load_dword v17, v[32:33], off
	global_load_dwordx4 v[36:39], v[40:41], off
	v_subrev_u32_e32 v26, 19, v24
	v_mov_b32_e32 v25, v27
	v_lshl_add_u64 v[32:33], v[26:27], 4, s[8:9]
	v_subrev_u32_e32 v26, 18, v24
	v_lshl_add_u64 v[42:43], v[24:25], 4, s[8:9]
	v_lshl_add_u64 v[52:53], v[26:27], 4, s[8:9]
	v_subrev_u32_e32 v26, 17, v24
	v_mov_b32_e32 v31, v27
	global_load_dwordx4 v[40:43], v[42:43], off
	s_nop 0
	global_load_dwordx4 v[44:47], v[32:33], off
	global_load_dwordx4 v[48:51], v[52:53], off
	v_lshl_add_u64 v[32:33], v[26:27], 4, s[8:9]
	global_load_dwordx4 v[52:55], v[32:33], off
	v_add_u32_e32 v28, 32, v28
	v_cmp_ge_i32_e32 vcc, v28, v34
	s_or_b64 s[14:15], vcc, s[14:15]
	s_waitcnt vmcnt(5)
	v_subrev_u32_e32 v17, s16, v17
	v_mul_lo_u32 v30, v17, 7
	v_lshl_add_u64 v[32:33], v[30:31], 4, s[10:11]
	global_load_dwordx4 v[56:59], v[32:33], off
	v_add_u32_e32 v26, 1, v30
	v_lshl_add_u64 v[32:33], v[26:27], 4, s[10:11]
	v_add_u32_e32 v26, -16, v24
	global_load_dwordx4 v[60:63], v[32:33], off
	v_lshl_add_u64 v[32:33], v[26:27], 4, s[8:9]
	v_add_u32_e32 v26, -15, v24
	global_load_dwordx4 v[64:67], v[32:33], off
	;; [unrolled: 3-line block ×3, first 2 shown]
	v_lshl_add_u64 v[32:33], v[26:27], 4, s[8:9]
	v_add_u32_e32 v26, 2, v30
	global_load_dwordx4 v[72:75], v[32:33], off
	v_lshl_add_u64 v[32:33], v[26:27], 4, s[10:11]
	v_add_u32_e32 v26, -13, v24
	global_load_dwordx4 v[76:79], v[32:33], off
	v_lshl_add_u64 v[32:33], v[26:27], 4, s[8:9]
	v_add_u32_e32 v26, -12, v24
	;; [unrolled: 3-line block ×3, first 2 shown]
	global_load_dwordx4 v[84:87], v[32:33], off
	v_lshl_add_u64 v[32:33], v[26:27], 4, s[8:9]
	v_add_u32_e32 v26, 3, v30
	s_waitcnt vmcnt(7)
	v_fmac_f64_e32 v[22:23], v[36:37], v[56:57]
	v_fma_f64 v[88:89], -v[38:39], v[58:59], v[22:23]
	v_lshl_add_u64 v[22:23], v[26:27], 4, s[10:11]
	v_add_u32_e32 v26, -10, v24
	v_fmac_f64_e32 v[12:13], v[46:47], v[56:57]
	v_fmac_f64_e32 v[20:21], v[44:45], v[56:57]
	;; [unrolled: 1-line block ×3, first 2 shown]
	v_lshl_add_u64 v[44:45], v[26:27], 4, s[8:9]
	v_add_u32_e32 v26, -9, v24
	v_fmac_f64_e32 v[10:11], v[50:51], v[56:57]
	v_fmac_f64_e32 v[14:15], v[38:39], v[56:57]
	;; [unrolled: 1-line block ×4, first 2 shown]
	v_lshl_add_u64 v[48:49], v[26:27], 4, s[8:9]
	v_fmac_f64_e32 v[14:15], v[36:37], v[58:59]
	global_load_dwordx4 v[36:39], v[32:33], off
	v_fma_f64 v[18:19], -v[50:51], v[58:59], v[18:19]
	global_load_dwordx4 v[48:51], v[48:49], off
	v_fma_f64 v[32:33], -v[46:47], v[58:59], v[20:21]
	global_load_dwordx4 v[20:23], v[22:23], off
	v_add_u32_e32 v26, -8, v24
	global_load_dwordx4 v[44:47], v[44:45], off
	v_lshl_add_u64 v[56:57], v[26:27], 4, s[8:9]
	v_add_u32_e32 v26, 4, v30
	s_waitcnt vmcnt(10)
	v_fmac_f64_e32 v[88:89], v[52:53], v[60:61]
	v_fmac_f64_e32 v[14:15], v[54:55], v[60:61]
	v_fma_f64 v[88:89], -v[54:55], v[62:63], v[88:89]
	v_fmac_f64_e32 v[14:15], v[52:53], v[62:63]
	global_load_dwordx4 v[52:55], v[56:57], off
	v_lshl_add_u64 v[56:57], v[26:27], 4, s[10:11]
	v_add_u32_e32 v26, -7, v24
	v_lshl_add_u64 v[90:91], v[26:27], 4, s[8:9]
	v_add_u32_e32 v26, -6, v24
	s_waitcnt vmcnt(9)
	v_fmac_f64_e32 v[10:11], v[70:71], v[60:61]
	v_fmac_f64_e32 v[32:33], v[64:65], v[60:61]
	;; [unrolled: 1-line block ×5, first 2 shown]
	v_lshl_add_u64 v[68:69], v[26:27], 4, s[8:9]
	v_add_u32_e32 v26, -5, v24
	v_fma_f64 v[32:33], -v[66:67], v[62:63], v[32:33]
	v_fmac_f64_e32 v[12:13], v[64:65], v[62:63]
	global_load_dwordx4 v[56:59], v[56:57], off
	v_fma_f64 v[18:19], -v[70:71], v[62:63], v[18:19]
	global_load_dwordx4 v[60:63], v[90:91], off
	global_load_dwordx4 v[64:67], v[68:69], off
	v_lshl_add_u64 v[68:69], v[26:27], 4, s[8:9]
	v_add_u32_e32 v26, 5, v30
	s_waitcnt vmcnt(10)
	v_fmac_f64_e32 v[14:15], v[74:75], v[76:77]
	v_fmac_f64_e32 v[88:89], v[72:73], v[76:77]
	;; [unrolled: 1-line block ×3, first 2 shown]
	v_lshl_add_u64 v[72:73], v[26:27], 4, s[10:11]
	v_add_u32_e32 v26, -4, v24
	s_waitcnt vmcnt(9)
	v_fmac_f64_e32 v[32:33], v[80:81], v[76:77]
	v_fma_f64 v[90:91], -v[82:83], v[78:79], v[32:33]
	v_lshl_add_u64 v[32:33], v[26:27], 4, s[8:9]
	v_add_u32_e32 v26, -3, v24
	s_waitcnt vmcnt(8)
	v_fmac_f64_e32 v[10:11], v[86:87], v[76:77]
	v_fmac_f64_e32 v[12:13], v[82:83], v[76:77]
	;; [unrolled: 1-line block ×4, first 2 shown]
	v_lshl_add_u64 v[84:85], v[26:27], 4, s[8:9]
	v_add_u32_e32 v26, -2, v24
	v_fma_f64 v[88:89], -v[74:75], v[78:79], v[88:89]
	v_fmac_f64_e32 v[12:13], v[80:81], v[78:79]
	v_fma_f64 v[18:19], -v[86:87], v[78:79], v[18:19]
	v_lshl_add_u64 v[86:87], v[26:27], 4, s[8:9]
	v_add_u32_e32 v26, 6, v30
	global_load_dwordx4 v[68:71], v[68:69], off
	s_waitcnt vmcnt(6)
	v_fmac_f64_e32 v[14:15], v[38:39], v[20:21]
	global_load_dwordx4 v[76:79], v[32:33], off
	v_fmac_f64_e32 v[88:89], v[36:37], v[20:21]
	global_load_dwordx4 v[72:75], v[72:73], off
	v_fmac_f64_e32 v[14:15], v[36:37], v[22:23]
	v_lshl_add_u64 v[36:37], v[26:27], 4, s[10:11]
	v_add_u32_e32 v26, -1, v24
	s_waitcnt vmcnt(7)
	v_fmac_f64_e32 v[12:13], v[46:47], v[20:21]
	global_load_dwordx4 v[30:33], v[84:85], off
	global_load_dwordx4 v[80:83], v[86:87], off
	v_fmac_f64_e32 v[90:91], v[44:45], v[20:21]
	v_fmac_f64_e32 v[12:13], v[44:45], v[22:23]
	v_lshl_add_u64 v[44:45], v[26:27], 4, s[8:9]
	v_fma_f64 v[84:85], -v[38:39], v[22:23], v[88:89]
	global_load_dwordx4 v[36:39], v[36:37], off
	v_fma_f64 v[86:87], -v[46:47], v[22:23], v[90:91]
	global_load_dwordx4 v[44:47], v[44:45], off
	v_fmac_f64_e32 v[18:19], v[48:49], v[20:21]
	v_fmac_f64_e32 v[10:11], v[50:51], v[20:21]
	v_fma_f64 v[18:19], -v[50:51], v[22:23], v[18:19]
	v_fmac_f64_e32 v[10:11], v[48:49], v[22:23]
	v_add_u32_e32 v24, 0x2a0, v24
	s_waitcnt vmcnt(9)
	v_fmac_f64_e32 v[84:85], v[52:53], v[56:57]
	v_fmac_f64_e32 v[14:15], v[54:55], v[56:57]
	s_waitcnt vmcnt(8)
	v_fmac_f64_e32 v[86:87], v[60:61], v[56:57]
	v_fmac_f64_e32 v[12:13], v[62:63], v[56:57]
	;; [unrolled: 3-line block ×3, first 2 shown]
	v_fma_f64 v[20:21], -v[54:55], v[58:59], v[84:85]
	v_fmac_f64_e32 v[14:15], v[52:53], v[58:59]
	v_fma_f64 v[22:23], -v[62:63], v[58:59], v[86:87]
	v_fmac_f64_e32 v[12:13], v[60:61], v[58:59]
	;; [unrolled: 2-line block ×3, first 2 shown]
	s_waitcnt vmcnt(4)
	v_fmac_f64_e32 v[20:21], v[68:69], v[72:73]
	v_fmac_f64_e32 v[14:15], v[70:71], v[72:73]
	;; [unrolled: 1-line block ×4, first 2 shown]
	s_waitcnt vmcnt(3)
	v_fmac_f64_e32 v[18:19], v[30:31], v[72:73]
	v_fmac_f64_e32 v[10:11], v[32:33], v[72:73]
	v_fma_f64 v[20:21], -v[70:71], v[74:75], v[20:21]
	v_fmac_f64_e32 v[14:15], v[68:69], v[74:75]
	v_fma_f64 v[48:49], -v[78:79], v[74:75], v[22:23]
	;; [unrolled: 2-line block ×3, first 2 shown]
	v_fmac_f64_e32 v[10:11], v[30:31], v[74:75]
	s_waitcnt vmcnt(1)
	v_fmac_f64_e32 v[20:21], v[80:81], v[36:37]
	v_fmac_f64_e32 v[14:15], v[82:83], v[36:37]
	;; [unrolled: 1-line block ×4, first 2 shown]
	s_waitcnt vmcnt(0)
	v_fmac_f64_e32 v[48:49], v[44:45], v[36:37]
	v_fmac_f64_e32 v[12:13], v[46:47], v[36:37]
	v_fma_f64 v[22:23], -v[82:83], v[38:39], v[20:21]
	v_fmac_f64_e32 v[14:15], v[80:81], v[38:39]
	v_fma_f64 v[18:19], -v[42:43], v[38:39], v[18:19]
	;; [unrolled: 2-line block ×3, first 2 shown]
	v_fmac_f64_e32 v[12:13], v[44:45], v[38:39]
	s_andn2_b64 exec, exec, s[14:15]
	s_cbranch_execnz .LBB139_11
; %bb.12:
	s_or_b64 exec, exec, s[14:15]
.LBB139_13:
	s_or_b64 exec, exec, s[12:13]
	s_andn2_b64 vcc, exec, s[4:5]
	s_cbranch_vccz .LBB139_15
	s_branch .LBB139_20
.LBB139_14:
                                        ; implicit-def: $vgpr14_vgpr15
                                        ; implicit-def: $vgpr22_vgpr23
                                        ; implicit-def: $vgpr18_vgpr19
                                        ; implicit-def: $vgpr10_vgpr11
                                        ; implicit-def: $vgpr20_vgpr21
                                        ; implicit-def: $vgpr12_vgpr13
.LBB139_15:
	v_mov_b64_e32 v[14:15], 0
	v_mov_b64_e32 v[22:23], v[14:15]
	;; [unrolled: 1-line block ×6, first 2 shown]
	s_and_saveexec_b64 s[4:5], s[0:1]
	s_cbranch_execz .LBB139_19
; %bb.16:
	v_mad_u64_u32 v[24:25], s[0:1], v16, 21, 20
	v_mov_b64_e32 v[14:15], 0
	s_mov_b64 s[0:1], 0
	v_mov_b32_e32 v27, 0
	v_mov_b64_e32 v[22:23], v[14:15]
	v_mov_b64_e32 v[18:19], v[14:15]
	v_mov_b64_e32 v[10:11], v[14:15]
	v_mov_b64_e32 v[20:21], v[14:15]
	v_mov_b64_e32 v[12:13], v[14:15]
.LBB139_17:                             ; =>This Inner Loop Header: Depth=1
	v_ashrrev_i32_e32 v17, 31, v16
	v_subrev_u32_e32 v26, 20, v24
	v_add_u32_e32 v32, -13, v24
	v_add_u32_e32 v30, -6, v24
	v_mov_b32_e32 v33, v27
	v_mov_b32_e32 v31, v27
	v_lshl_add_u64 v[44:45], v[16:17], 2, s[6:7]
	v_lshl_add_u64 v[46:47], v[26:27], 4, s[8:9]
	;; [unrolled: 1-line block ×4, first 2 shown]
	global_load_dword v17, v[44:45], off
	global_load_dwordx4 v[30:33], v[46:47], off
	global_load_dwordx4 v[36:39], v[48:49], off
	;; [unrolled: 1-line block ×3, first 2 shown]
	v_mov_b32_e32 v29, v27
	v_subrev_u32_e32 v26, 19, v24
	v_lshl_add_u64 v[44:45], v[26:27], 4, s[8:9]
	global_load_dwordx4 v[44:47], v[44:45], off
	v_mov_b32_e32 v25, v27
	v_lshl_add_u64 v[76:77], v[24:25], 4, s[8:9]
	v_add_u32_e32 v16, 32, v16
	v_cmp_ge_i32_e32 vcc, v16, v34
	s_or_b64 s[0:1], vcc, s[0:1]
	s_waitcnt vmcnt(4)
	v_subrev_u32_e32 v17, s16, v17
	v_mul_lo_u32 v28, v17, 7
	v_lshl_add_u64 v[48:49], v[28:29], 4, s[10:11]
	global_load_dwordx4 v[48:51], v[48:49], off
	v_add_u32_e32 v26, 1, v28
	v_lshl_add_u64 v[52:53], v[26:27], 4, s[10:11]
	global_load_dwordx4 v[52:55], v[52:53], off
	v_add_u32_e32 v26, -12, v24
	v_lshl_add_u64 v[56:57], v[26:27], 4, s[8:9]
	v_add_u32_e32 v26, -5, v24
	v_lshl_add_u64 v[60:61], v[26:27], 4, s[8:9]
	v_subrev_u32_e32 v26, 18, v24
	v_lshl_add_u64 v[64:65], v[26:27], 4, s[8:9]
	v_add_u32_e32 v26, 2, v28
	global_load_dwordx4 v[56:59], v[56:57], off
	v_lshl_add_u64 v[68:69], v[26:27], 4, s[10:11]
	global_load_dwordx4 v[60:63], v[60:61], off
	v_add_u32_e32 v26, -11, v24
	v_lshl_add_u64 v[72:73], v[26:27], 4, s[8:9]
	v_add_u32_e32 v26, -4, v24
	global_load_dwordx4 v[64:67], v[64:65], off
	s_waitcnt vmcnt(4)
	v_fmac_f64_e32 v[22:23], v[30:31], v[48:49]
	global_load_dwordx4 v[68:71], v[68:69], off
	v_fmac_f64_e32 v[14:15], v[32:33], v[48:49]
	v_fma_f64 v[78:79], -v[32:33], v[50:51], v[22:23]
	v_lshl_add_u64 v[22:23], v[26:27], 4, s[8:9]
	global_load_dwordx4 v[72:75], v[72:73], off
	v_fmac_f64_e32 v[14:15], v[30:31], v[50:51]
	v_subrev_u32_e32 v26, 17, v24
	global_load_dwordx4 v[30:33], v[22:23], off
	v_fmac_f64_e32 v[20:21], v[36:37], v[48:49]
	v_fmac_f64_e32 v[12:13], v[38:39], v[48:49]
	v_fma_f64 v[80:81], -v[38:39], v[50:51], v[20:21]
	v_lshl_add_u64 v[20:21], v[26:27], 4, s[8:9]
	v_add_u32_e32 v26, 3, v28
	v_fmac_f64_e32 v[12:13], v[36:37], v[50:51]
	v_fmac_f64_e32 v[10:11], v[42:43], v[48:49]
	v_lshl_add_u64 v[36:37], v[26:27], 4, s[10:11]
	v_add_u32_e32 v26, -10, v24
	global_load_dwordx4 v[20:23], v[20:21], off
	v_fmac_f64_e32 v[18:19], v[40:41], v[48:49]
	v_fmac_f64_e32 v[10:11], v[40:41], v[50:51]
	global_load_dwordx4 v[36:39], v[36:37], off
	v_lshl_add_u64 v[40:41], v[26:27], 4, s[8:9]
	v_fma_f64 v[18:19], -v[42:43], v[50:51], v[18:19]
	v_add_u32_e32 v26, -3, v24
	global_load_dwordx4 v[40:43], v[40:41], off
	s_waitcnt vmcnt(9)
	v_fmac_f64_e32 v[14:15], v[46:47], v[52:53]
	v_fmac_f64_e32 v[78:79], v[44:45], v[52:53]
	;; [unrolled: 1-line block ×3, first 2 shown]
	v_lshl_add_u64 v[44:45], v[26:27], 4, s[8:9]
	v_fma_f64 v[78:79], -v[46:47], v[54:55], v[78:79]
	global_load_dwordx4 v[44:47], v[44:45], off
	v_add_u32_e32 v26, -16, v24
	v_lshl_add_u64 v[48:49], v[26:27], 4, s[8:9]
	global_load_dwordx4 v[48:51], v[48:49], off
	v_add_u32_e32 v26, 4, v28
	s_waitcnt vmcnt(10)
	v_fmac_f64_e32 v[80:81], v[56:57], v[52:53]
	v_fmac_f64_e32 v[12:13], v[58:59], v[52:53]
	s_waitcnt vmcnt(9)
	v_fmac_f64_e32 v[18:19], v[60:61], v[52:53]
	v_fmac_f64_e32 v[10:11], v[62:63], v[52:53]
	v_lshl_add_u64 v[52:53], v[26:27], 4, s[10:11]
	v_add_u32_e32 v26, -9, v24
	v_lshl_add_u64 v[82:83], v[26:27], 4, s[8:9]
	v_add_u32_e32 v26, -2, v24
	v_fmac_f64_e32 v[12:13], v[56:57], v[54:55]
	v_fma_f64 v[18:19], -v[62:63], v[54:55], v[18:19]
	v_lshl_add_u64 v[84:85], v[26:27], 4, s[8:9]
	v_add_u32_e32 v26, -15, v24
	v_fma_f64 v[80:81], -v[58:59], v[54:55], v[80:81]
	v_fmac_f64_e32 v[10:11], v[60:61], v[54:55]
	global_load_dwordx4 v[52:55], v[52:53], off
	s_nop 0
	global_load_dwordx4 v[56:59], v[82:83], off
	global_load_dwordx4 v[60:63], v[84:85], off
	s_waitcnt vmcnt(10)
	v_fmac_f64_e32 v[14:15], v[66:67], v[68:69]
	v_fmac_f64_e32 v[78:79], v[64:65], v[68:69]
	;; [unrolled: 1-line block ×3, first 2 shown]
	v_lshl_add_u64 v[64:65], v[26:27], 4, s[8:9]
	s_waitcnt vmcnt(9)
	v_fmac_f64_e32 v[12:13], v[74:75], v[68:69]
	v_add_u32_e32 v26, 5, v28
	v_fmac_f64_e32 v[80:81], v[72:73], v[68:69]
	s_waitcnt vmcnt(8)
	v_fmac_f64_e32 v[18:19], v[30:31], v[68:69]
	v_fmac_f64_e32 v[12:13], v[72:73], v[70:71]
	;; [unrolled: 1-line block ×3, first 2 shown]
	v_fma_f64 v[72:73], -v[32:33], v[70:71], v[18:19]
	v_lshl_add_u64 v[18:19], v[26:27], 4, s[10:11]
	v_add_u32_e32 v26, -8, v24
	v_fma_f64 v[78:79], -v[66:67], v[70:71], v[78:79]
	v_fmac_f64_e32 v[10:11], v[30:31], v[70:71]
	global_load_dwordx4 v[30:33], v[18:19], off
	v_lshl_add_u64 v[18:19], v[26:27], 4, s[8:9]
	v_add_u32_e32 v26, -1, v24
	v_fma_f64 v[74:75], -v[74:75], v[70:71], v[80:81]
	v_lshl_add_u64 v[68:69], v[26:27], 4, s[8:9]
	v_add_u32_e32 v26, -14, v24
	s_waitcnt vmcnt(7)
	v_fmac_f64_e32 v[78:79], v[20:21], v[36:37]
	v_fmac_f64_e32 v[14:15], v[22:23], v[36:37]
	v_fma_f64 v[22:23], -v[22:23], v[38:39], v[78:79]
	v_lshl_add_u64 v[78:79], v[26:27], 4, s[8:9]
	v_add_u32_e32 v26, 6, v28
	s_waitcnt vmcnt(6)
	v_fmac_f64_e32 v[74:75], v[40:41], v[36:37]
	global_load_dwordx4 v[64:67], v[64:65], off
	v_fmac_f64_e32 v[14:15], v[20:21], v[38:39]
	global_load_dwordx4 v[18:21], v[18:19], off
	v_fma_f64 v[28:29], -v[42:43], v[38:39], v[74:75]
	global_load_dwordx4 v[68:71], v[68:69], off
	v_lshl_add_u64 v[74:75], v[26:27], 4, s[10:11]
	v_add_u32_e32 v26, -7, v24
	v_fmac_f64_e32 v[12:13], v[42:43], v[36:37]
	s_waitcnt vmcnt(8)
	v_fmac_f64_e32 v[72:73], v[44:45], v[36:37]
	v_fmac_f64_e32 v[10:11], v[46:47], v[36:37]
	v_lshl_add_u64 v[80:81], v[26:27], 4, s[8:9]
	v_fmac_f64_e32 v[12:13], v[40:41], v[38:39]
	global_load_dwordx4 v[40:43], v[78:79], off
	v_fma_f64 v[78:79], -v[46:47], v[38:39], v[72:73]
	v_fmac_f64_e32 v[10:11], v[44:45], v[38:39]
	global_load_dwordx4 v[36:39], v[74:75], off
	global_load_dwordx4 v[44:47], v[80:81], off
	s_nop 0
	global_load_dwordx4 v[72:75], v[76:77], off
	v_add_u32_e32 v24, 0x2a0, v24
	s_waitcnt vmcnt(10)
	v_fmac_f64_e32 v[22:23], v[48:49], v[52:53]
	v_fmac_f64_e32 v[14:15], v[50:51], v[52:53]
	s_waitcnt vmcnt(9)
	v_fmac_f64_e32 v[28:29], v[56:57], v[52:53]
	v_fmac_f64_e32 v[12:13], v[58:59], v[52:53]
	s_waitcnt vmcnt(8)
	v_fmac_f64_e32 v[78:79], v[60:61], v[52:53]
	v_fmac_f64_e32 v[10:11], v[62:63], v[52:53]
	v_fma_f64 v[22:23], -v[50:51], v[54:55], v[22:23]
	v_fmac_f64_e32 v[14:15], v[48:49], v[54:55]
	v_fma_f64 v[28:29], -v[58:59], v[54:55], v[28:29]
	v_fmac_f64_e32 v[12:13], v[56:57], v[54:55]
	v_fma_f64 v[48:49], -v[62:63], v[54:55], v[78:79]
	v_fmac_f64_e32 v[10:11], v[60:61], v[54:55]
	s_waitcnt vmcnt(6)
	v_fmac_f64_e32 v[22:23], v[64:65], v[30:31]
	v_fmac_f64_e32 v[14:15], v[66:67], v[30:31]
	s_waitcnt vmcnt(5)
	v_fmac_f64_e32 v[28:29], v[18:19], v[30:31]
	v_fmac_f64_e32 v[12:13], v[20:21], v[30:31]
	s_waitcnt vmcnt(4)
	v_fmac_f64_e32 v[48:49], v[68:69], v[30:31]
	v_fmac_f64_e32 v[10:11], v[70:71], v[30:31]
	v_fma_f64 v[22:23], -v[66:67], v[32:33], v[22:23]
	v_fmac_f64_e32 v[14:15], v[64:65], v[32:33]
	v_fma_f64 v[20:21], -v[20:21], v[32:33], v[28:29]
	v_fmac_f64_e32 v[12:13], v[18:19], v[32:33]
	v_fma_f64 v[18:19], -v[70:71], v[32:33], v[48:49]
	v_fmac_f64_e32 v[10:11], v[68:69], v[32:33]
	;; [unrolled: 15-line block ×3, first 2 shown]
	s_andn2_b64 exec, exec, s[0:1]
	s_cbranch_execnz .LBB139_17
; %bb.18:
	s_or_b64 exec, exec, s[0:1]
.LBB139_19:
	s_or_b64 exec, exec, s[4:5]
.LBB139_20:
	v_mov_b32_dpp v26, v20 row_shr:1 row_mask:0xf bank_mask:0xf
	v_mov_b32_dpp v27, v21 row_shr:1 row_mask:0xf bank_mask:0xf
	v_add_f64 v[20:21], v[20:21], v[26:27]
	v_mov_b32_dpp v16, v22 row_shr:1 row_mask:0xf bank_mask:0xf
	v_mov_b32_dpp v17, v23 row_shr:1 row_mask:0xf bank_mask:0xf
	v_mov_b32_dpp v26, v20 row_shr:2 row_mask:0xf bank_mask:0xf
	v_mov_b32_dpp v27, v21 row_shr:2 row_mask:0xf bank_mask:0xf
	v_add_f64 v[20:21], v[20:21], v[26:27]
	v_mov_b32_dpp v24, v14 row_shr:1 row_mask:0xf bank_mask:0xf
	v_mov_b32_dpp v25, v15 row_shr:1 row_mask:0xf bank_mask:0xf
	v_mov_b32_dpp v26, v20 row_shr:4 row_mask:0xf bank_mask:0xe
	v_mov_b32_dpp v27, v21 row_shr:4 row_mask:0xf bank_mask:0xe
	v_add_f64 v[20:21], v[20:21], v[26:27]
	v_add_f64 v[16:17], v[22:23], v[16:17]
	v_add_f64 v[14:15], v[14:15], v[24:25]
	v_mov_b32_dpp v26, v20 row_shr:8 row_mask:0xf bank_mask:0xc
	v_mov_b32_dpp v27, v21 row_shr:8 row_mask:0xf bank_mask:0xc
	v_add_f64 v[26:27], v[20:21], v[26:27]
	v_mov_b32_dpp v20, v12 row_shr:1 row_mask:0xf bank_mask:0xf
	v_mov_b32_dpp v21, v13 row_shr:1 row_mask:0xf bank_mask:0xf
	v_add_f64 v[12:13], v[12:13], v[20:21]
	v_mov_b32_dpp v22, v16 row_shr:2 row_mask:0xf bank_mask:0xf
	v_mov_b32_dpp v23, v17 row_shr:2 row_mask:0xf bank_mask:0xf
	v_mov_b32_dpp v20, v12 row_shr:2 row_mask:0xf bank_mask:0xf
	v_mov_b32_dpp v21, v13 row_shr:2 row_mask:0xf bank_mask:0xf
	v_add_f64 v[12:13], v[12:13], v[20:21]
	v_mov_b32_dpp v24, v14 row_shr:2 row_mask:0xf bank_mask:0xf
	v_mov_b32_dpp v25, v15 row_shr:2 row_mask:0xf bank_mask:0xf
	v_mov_b32_dpp v20, v12 row_shr:4 row_mask:0xf bank_mask:0xe
	v_mov_b32_dpp v21, v13 row_shr:4 row_mask:0xf bank_mask:0xe
	v_add_f64 v[12:13], v[12:13], v[20:21]
	v_add_f64 v[16:17], v[16:17], v[22:23]
	v_add_f64 v[14:15], v[14:15], v[24:25]
	v_mov_b32_dpp v20, v12 row_shr:8 row_mask:0xf bank_mask:0xc
	v_mov_b32_dpp v21, v13 row_shr:8 row_mask:0xf bank_mask:0xc
	v_add_f64 v[30:31], v[12:13], v[20:21]
	;; [unrolled: 18-line block ×4, first 2 shown]
	v_mov_b32_dpp v22, v16 row_bcast:15 row_mask:0xa bank_mask:0xf
	v_mov_b32_dpp v23, v17 row_bcast:15 row_mask:0xa bank_mask:0xf
	;; [unrolled: 1-line block ×12, first 2 shown]
	v_cmp_eq_u32_e32 vcc, 31, v9
	s_and_b64 exec, exec, vcc
	s_cbranch_execz .LBB139_25
; %bb.21:
	s_load_dwordx2 s[2:3], s[2:3], 0x48
	v_cmp_eq_f64_e32 vcc, 0, v[4:5]
	v_cmp_eq_f64_e64 s[0:1], 0, v[6:7]
	v_add_f64 v[16:17], v[16:17], v[22:23]
	v_add_f64 v[20:21], v[14:15], v[24:25]
	;; [unrolled: 1-line block ×6, first 2 shown]
	s_and_b64 s[0:1], vcc, s[0:1]
	s_and_saveexec_b64 s[4:5], s[0:1]
	s_xor_b64 s[0:1], exec, s[4:5]
	s_cbranch_execz .LBB139_23
; %bb.22:
	v_lshl_add_u32 v8, v8, 1, v8
	v_mul_f64 v[4:5], v[20:21], -v[2:3]
	v_mul_f64 v[6:7], v[0:1], v[20:21]
	v_ashrrev_i32_e32 v9, 31, v8
	v_fmac_f64_e32 v[4:5], v[0:1], v[16:17]
	v_fmac_f64_e32 v[6:7], v[2:3], v[16:17]
	s_waitcnt lgkmcnt(0)
	v_lshl_add_u64 v[8:9], v[8:9], 4, s[2:3]
	global_store_dwordx4 v[8:9], v[4:7], off
                                        ; implicit-def: $vgpr16_vgpr17
                                        ; implicit-def: $vgpr20_vgpr21
	s_nop 1
	v_mul_f64 v[4:5], v[18:19], -v[2:3]
	v_mul_f64 v[6:7], v[0:1], v[18:19]
	v_fmac_f64_e32 v[4:5], v[0:1], v[12:13]
	v_fmac_f64_e32 v[6:7], v[2:3], v[12:13]
	global_store_dwordx4 v[8:9], v[4:7], off offset:16
                                        ; implicit-def: $vgpr12_vgpr13
                                        ; implicit-def: $vgpr18_vgpr19
	s_nop 1
	v_mul_f64 v[4:5], v[14:15], -v[2:3]
	v_mul_f64 v[6:7], v[0:1], v[14:15]
	v_fmac_f64_e32 v[4:5], v[0:1], v[10:11]
	v_fmac_f64_e32 v[6:7], v[2:3], v[10:11]
	global_store_dwordx4 v[8:9], v[4:7], off offset:32
                                        ; implicit-def: $vgpr0_vgpr1
                                        ; implicit-def: $vgpr2_vgpr3
                                        ; implicit-def: $vgpr4_vgpr5
                                        ; implicit-def: $vgpr6_vgpr7
                                        ; implicit-def: $vgpr8
                                        ; implicit-def: $vgpr10_vgpr11
                                        ; implicit-def: $vgpr14_vgpr15
.LBB139_23:
	s_andn2_saveexec_b64 s[0:1], s[0:1]
	s_cbranch_execz .LBB139_25
; %bb.24:
	v_lshl_add_u32 v8, v8, 1, v8
	v_ashrrev_i32_e32 v9, 31, v8
	s_waitcnt lgkmcnt(0)
	v_lshl_add_u64 v[38:39], v[8:9], 4, s[2:3]
	global_load_dwordx4 v[22:25], v[38:39], off
	global_load_dwordx4 v[26:29], v[38:39], off offset:16
	global_load_dwordx4 v[30:33], v[38:39], off offset:32
	v_mul_f64 v[34:35], v[20:21], -v[2:3]
	v_mul_f64 v[20:21], v[0:1], v[20:21]
	v_mul_f64 v[40:41], v[18:19], -v[2:3]
	v_mul_f64 v[36:37], v[0:1], v[18:19]
	;; [unrolled: 2-line block ×3, first 2 shown]
	v_fmac_f64_e32 v[34:35], v[0:1], v[16:17]
	v_fmac_f64_e32 v[20:21], v[2:3], v[16:17]
	;; [unrolled: 1-line block ×6, first 2 shown]
	s_waitcnt vmcnt(2)
	v_fmac_f64_e32 v[34:35], v[4:5], v[22:23]
	v_fmac_f64_e32 v[20:21], v[6:7], v[22:23]
	s_waitcnt vmcnt(1)
	v_fmac_f64_e32 v[40:41], v[4:5], v[26:27]
	v_fmac_f64_e32 v[36:37], v[6:7], v[26:27]
	;; [unrolled: 3-line block ×3, first 2 shown]
	v_fma_f64 v[18:19], -v[6:7], v[24:25], v[34:35]
	v_fmac_f64_e32 v[20:21], v[4:5], v[24:25]
	v_fma_f64 v[34:35], -v[6:7], v[28:29], v[40:41]
	v_fmac_f64_e32 v[36:37], v[4:5], v[28:29]
	;; [unrolled: 2-line block ×3, first 2 shown]
	global_store_dwordx4 v[38:39], v[18:21], off
	global_store_dwordx4 v[38:39], v[34:37], off offset:16
	global_store_dwordx4 v[38:39], v[6:9], off offset:32
.LBB139_25:
	s_endpgm
	.section	.rodata,"a",@progbits
	.p2align	6, 0x0
	.amdhsa_kernel _ZN9rocsparseL19gebsrmvn_3xn_kernelILj128ELj7ELj32E21rocsparse_complex_numIdEEEvi20rocsparse_direction_NS_24const_host_device_scalarIT2_EEPKiS8_PKS5_SA_S6_PS5_21rocsparse_index_base_b
		.amdhsa_group_segment_fixed_size 2048
		.amdhsa_private_segment_fixed_size 0
		.amdhsa_kernarg_size 88
		.amdhsa_user_sgpr_count 4
		.amdhsa_user_sgpr_dispatch_ptr 1
		.amdhsa_user_sgpr_queue_ptr 0
		.amdhsa_user_sgpr_kernarg_segment_ptr 1
		.amdhsa_user_sgpr_dispatch_id 0
		.amdhsa_user_sgpr_kernarg_preload_length 0
		.amdhsa_user_sgpr_kernarg_preload_offset 0
		.amdhsa_user_sgpr_private_segment_size 0
		.amdhsa_uses_dynamic_stack 0
		.amdhsa_enable_private_segment 0
		.amdhsa_system_sgpr_workgroup_id_x 1
		.amdhsa_system_sgpr_workgroup_id_y 0
		.amdhsa_system_sgpr_workgroup_id_z 0
		.amdhsa_system_sgpr_workgroup_info 0
		.amdhsa_system_vgpr_workitem_id 2
		.amdhsa_next_free_vgpr 92
		.amdhsa_next_free_sgpr 20
		.amdhsa_accum_offset 92
		.amdhsa_reserve_vcc 1
		.amdhsa_float_round_mode_32 0
		.amdhsa_float_round_mode_16_64 0
		.amdhsa_float_denorm_mode_32 3
		.amdhsa_float_denorm_mode_16_64 3
		.amdhsa_dx10_clamp 1
		.amdhsa_ieee_mode 1
		.amdhsa_fp16_overflow 0
		.amdhsa_tg_split 0
		.amdhsa_exception_fp_ieee_invalid_op 0
		.amdhsa_exception_fp_denorm_src 0
		.amdhsa_exception_fp_ieee_div_zero 0
		.amdhsa_exception_fp_ieee_overflow 0
		.amdhsa_exception_fp_ieee_underflow 0
		.amdhsa_exception_fp_ieee_inexact 0
		.amdhsa_exception_int_div_zero 0
	.end_amdhsa_kernel
	.section	.text._ZN9rocsparseL19gebsrmvn_3xn_kernelILj128ELj7ELj32E21rocsparse_complex_numIdEEEvi20rocsparse_direction_NS_24const_host_device_scalarIT2_EEPKiS8_PKS5_SA_S6_PS5_21rocsparse_index_base_b,"axG",@progbits,_ZN9rocsparseL19gebsrmvn_3xn_kernelILj128ELj7ELj32E21rocsparse_complex_numIdEEEvi20rocsparse_direction_NS_24const_host_device_scalarIT2_EEPKiS8_PKS5_SA_S6_PS5_21rocsparse_index_base_b,comdat
.Lfunc_end139:
	.size	_ZN9rocsparseL19gebsrmvn_3xn_kernelILj128ELj7ELj32E21rocsparse_complex_numIdEEEvi20rocsparse_direction_NS_24const_host_device_scalarIT2_EEPKiS8_PKS5_SA_S6_PS5_21rocsparse_index_base_b, .Lfunc_end139-_ZN9rocsparseL19gebsrmvn_3xn_kernelILj128ELj7ELj32E21rocsparse_complex_numIdEEEvi20rocsparse_direction_NS_24const_host_device_scalarIT2_EEPKiS8_PKS5_SA_S6_PS5_21rocsparse_index_base_b
                                        ; -- End function
	.section	.AMDGPU.csdata,"",@progbits
; Kernel info:
; codeLenInByte = 3948
; NumSgprs: 26
; NumVgprs: 92
; NumAgprs: 0
; TotalNumVgprs: 92
; ScratchSize: 0
; MemoryBound: 0
; FloatMode: 240
; IeeeMode: 1
; LDSByteSize: 2048 bytes/workgroup (compile time only)
; SGPRBlocks: 3
; VGPRBlocks: 11
; NumSGPRsForWavesPerEU: 26
; NumVGPRsForWavesPerEU: 92
; AccumOffset: 92
; Occupancy: 5
; WaveLimiterHint : 1
; COMPUTE_PGM_RSRC2:SCRATCH_EN: 0
; COMPUTE_PGM_RSRC2:USER_SGPR: 4
; COMPUTE_PGM_RSRC2:TRAP_HANDLER: 0
; COMPUTE_PGM_RSRC2:TGID_X_EN: 1
; COMPUTE_PGM_RSRC2:TGID_Y_EN: 0
; COMPUTE_PGM_RSRC2:TGID_Z_EN: 0
; COMPUTE_PGM_RSRC2:TIDIG_COMP_CNT: 2
; COMPUTE_PGM_RSRC3_GFX90A:ACCUM_OFFSET: 22
; COMPUTE_PGM_RSRC3_GFX90A:TG_SPLIT: 0
	.section	.text._ZN9rocsparseL19gebsrmvn_3xn_kernelILj128ELj7ELj64E21rocsparse_complex_numIdEEEvi20rocsparse_direction_NS_24const_host_device_scalarIT2_EEPKiS8_PKS5_SA_S6_PS5_21rocsparse_index_base_b,"axG",@progbits,_ZN9rocsparseL19gebsrmvn_3xn_kernelILj128ELj7ELj64E21rocsparse_complex_numIdEEEvi20rocsparse_direction_NS_24const_host_device_scalarIT2_EEPKiS8_PKS5_SA_S6_PS5_21rocsparse_index_base_b,comdat
	.globl	_ZN9rocsparseL19gebsrmvn_3xn_kernelILj128ELj7ELj64E21rocsparse_complex_numIdEEEvi20rocsparse_direction_NS_24const_host_device_scalarIT2_EEPKiS8_PKS5_SA_S6_PS5_21rocsparse_index_base_b ; -- Begin function _ZN9rocsparseL19gebsrmvn_3xn_kernelILj128ELj7ELj64E21rocsparse_complex_numIdEEEvi20rocsparse_direction_NS_24const_host_device_scalarIT2_EEPKiS8_PKS5_SA_S6_PS5_21rocsparse_index_base_b
	.p2align	8
	.type	_ZN9rocsparseL19gebsrmvn_3xn_kernelILj128ELj7ELj64E21rocsparse_complex_numIdEEEvi20rocsparse_direction_NS_24const_host_device_scalarIT2_EEPKiS8_PKS5_SA_S6_PS5_21rocsparse_index_base_b,@function
_ZN9rocsparseL19gebsrmvn_3xn_kernelILj128ELj7ELj64E21rocsparse_complex_numIdEEEvi20rocsparse_direction_NS_24const_host_device_scalarIT2_EEPKiS8_PKS5_SA_S6_PS5_21rocsparse_index_base_b: ; @_ZN9rocsparseL19gebsrmvn_3xn_kernelILj128ELj7ELj64E21rocsparse_complex_numIdEEEvi20rocsparse_direction_NS_24const_host_device_scalarIT2_EEPKiS8_PKS5_SA_S6_PS5_21rocsparse_index_base_b
; %bb.0:
	s_load_dwordx2 s[16:17], s[2:3], 0x50
	s_load_dwordx4 s[12:15], s[2:3], 0x8
	s_load_dwordx4 s[8:11], s[2:3], 0x38
	s_load_dwordx2 s[18:19], s[0:1], 0x4
	s_mov_b64 s[6:7], src_shared_base
	s_waitcnt lgkmcnt(0)
	s_bitcmp1_b32 s17, 0
	s_cselect_b64 s[0:1], -1, 0
	s_and_b64 vcc, s[0:1], exec
	s_cselect_b32 s5, s7, s13
	s_lshr_b32 s6, s18, 16
	v_bfe_u32 v1, v0, 10, 10
	v_and_b32_e32 v10, 0x3ff, v0
	s_mul_i32 s6, s6, s19
	v_mul_u32_u24_e32 v1, s19, v1
	v_mad_u32_u24 v1, s6, v10, v1
	v_bfe_u32 v0, v0, 20, 10
	v_add_lshl_u32 v4, v1, v0, 3
	v_mov_b32_e32 v5, s12
	v_add_u32_e32 v6, 0x400, v4
	v_mov_b64_e32 v[0:1], s[12:13]
	v_mov_b64_e32 v[2:3], s[8:9]
	ds_write2st64_b64 v4, v[2:3], v[0:1] offset1:2
	v_cndmask_b32_e64 v0, v5, v6, s[0:1]
	v_mov_b32_e32 v1, s5
	flat_load_dwordx2 v[0:1], v[0:1]
	s_xor_b64 s[18:19], s[0:1], -1
	v_mov_b64_e32 v[2:3], s[14:15]
	s_cbranch_vccnz .LBB140_2
; %bb.1:
	v_mov_b64_e32 v[2:3], s[12:13]
	flat_load_dwordx2 v[2:3], v[2:3] offset:8
.LBB140_2:
	s_and_b64 s[12:13], s[0:1], exec
	s_cselect_b32 s5, s7, s9
	v_mov_b32_e32 v5, s8
	v_cndmask_b32_e64 v4, v5, v4, s[0:1]
	v_mov_b32_e32 v5, s5
	flat_load_dwordx2 v[4:5], v[4:5]
	s_andn2_b64 vcc, exec, s[18:19]
	v_mov_b64_e32 v[6:7], s[10:11]
	s_cbranch_vccnz .LBB140_4
; %bb.3:
	v_mov_b64_e32 v[6:7], s[8:9]
	flat_load_dwordx2 v[6:7], v[6:7] offset:8
.LBB140_4:
	s_waitcnt vmcnt(0) lgkmcnt(0)
	v_cmp_eq_f64_e32 vcc, 0, v[0:1]
	v_cmp_eq_f64_e64 s[0:1], 0, v[2:3]
	s_and_b64 s[8:9], vcc, s[0:1]
	s_mov_b64 s[0:1], -1
	s_and_saveexec_b64 s[6:7], s[8:9]
; %bb.5:
	v_cmp_neq_f64_e32 vcc, 1.0, v[4:5]
	v_cmp_neq_f64_e64 s[0:1], 0, v[6:7]
	s_or_b64 s[0:1], vcc, s[0:1]
	s_orn2_b64 s[0:1], s[0:1], exec
; %bb.6:
	s_or_b64 exec, exec, s[6:7]
	s_and_saveexec_b64 s[6:7], s[0:1]
	s_cbranch_execz .LBB140_25
; %bb.7:
	s_load_dwordx2 s[0:1], s[2:3], 0x0
	v_lshrrev_b32_e32 v8, 6, v10
	v_lshl_or_b32 v8, s4, 1, v8
	s_waitcnt lgkmcnt(0)
	v_cmp_gt_i32_e32 vcc, s0, v8
	s_and_b64 exec, exec, vcc
	s_cbranch_execz .LBB140_25
; %bb.8:
	s_load_dwordx8 s[4:11], s[2:3], 0x18
	v_ashrrev_i32_e32 v9, 31, v8
	s_cmp_lg_u32 s1, 0
	s_waitcnt lgkmcnt(0)
	v_lshl_add_u64 v[12:13], v[8:9], 2, s[4:5]
	global_load_dwordx2 v[12:13], v[12:13], off
	v_and_b32_e32 v9, 63, v10
	s_waitcnt vmcnt(0)
	v_subrev_u32_e32 v10, s16, v12
	v_subrev_u32_e32 v34, s16, v13
	v_add_u32_e32 v16, v10, v9
	v_cmp_lt_i32_e64 s[0:1], v16, v34
	s_cbranch_scc0 .LBB140_14
; %bb.9:
	v_mov_b64_e32 v[14:15], 0
	s_mov_b64 s[4:5], 0
	v_mov_b64_e32 v[22:23], v[14:15]
	v_mov_b64_e32 v[18:19], v[14:15]
	;; [unrolled: 1-line block ×5, first 2 shown]
	s_and_saveexec_b64 s[12:13], s[0:1]
	s_cbranch_execz .LBB140_13
; %bb.10:
	v_mad_u64_u32 v[24:25], s[14:15], v16, 21, 20
	v_mov_b64_e32 v[14:15], 0
	s_mov_b64 s[14:15], 0
	v_mov_b32_e32 v27, 0
	v_mov_b32_e32 v28, v16
	v_mov_b64_e32 v[22:23], v[14:15]
	v_mov_b64_e32 v[18:19], v[14:15]
	;; [unrolled: 1-line block ×5, first 2 shown]
.LBB140_11:                             ; =>This Inner Loop Header: Depth=1
	v_ashrrev_i32_e32 v29, 31, v28
	v_subrev_u32_e32 v26, 20, v24
	v_lshl_add_u64 v[32:33], v[28:29], 2, s[6:7]
	v_lshl_add_u64 v[40:41], v[26:27], 4, s[8:9]
	global_load_dword v17, v[32:33], off
	global_load_dwordx4 v[36:39], v[40:41], off
	v_subrev_u32_e32 v26, 19, v24
	v_mov_b32_e32 v25, v27
	v_lshl_add_u64 v[32:33], v[26:27], 4, s[8:9]
	v_subrev_u32_e32 v26, 18, v24
	v_lshl_add_u64 v[42:43], v[24:25], 4, s[8:9]
	v_lshl_add_u64 v[52:53], v[26:27], 4, s[8:9]
	v_subrev_u32_e32 v26, 17, v24
	v_mov_b32_e32 v31, v27
	global_load_dwordx4 v[40:43], v[42:43], off
	s_nop 0
	global_load_dwordx4 v[44:47], v[32:33], off
	global_load_dwordx4 v[48:51], v[52:53], off
	v_lshl_add_u64 v[32:33], v[26:27], 4, s[8:9]
	global_load_dwordx4 v[52:55], v[32:33], off
	v_add_u32_e32 v28, 64, v28
	v_cmp_ge_i32_e32 vcc, v28, v34
	s_or_b64 s[14:15], vcc, s[14:15]
	s_waitcnt vmcnt(5)
	v_subrev_u32_e32 v17, s16, v17
	v_mul_lo_u32 v30, v17, 7
	v_lshl_add_u64 v[32:33], v[30:31], 4, s[10:11]
	global_load_dwordx4 v[56:59], v[32:33], off
	v_add_u32_e32 v26, 1, v30
	v_lshl_add_u64 v[32:33], v[26:27], 4, s[10:11]
	v_add_u32_e32 v26, -16, v24
	global_load_dwordx4 v[60:63], v[32:33], off
	v_lshl_add_u64 v[32:33], v[26:27], 4, s[8:9]
	v_add_u32_e32 v26, -15, v24
	global_load_dwordx4 v[64:67], v[32:33], off
	;; [unrolled: 3-line block ×3, first 2 shown]
	v_lshl_add_u64 v[32:33], v[26:27], 4, s[8:9]
	v_add_u32_e32 v26, 2, v30
	global_load_dwordx4 v[72:75], v[32:33], off
	v_lshl_add_u64 v[32:33], v[26:27], 4, s[10:11]
	v_add_u32_e32 v26, -13, v24
	global_load_dwordx4 v[76:79], v[32:33], off
	v_lshl_add_u64 v[32:33], v[26:27], 4, s[8:9]
	v_add_u32_e32 v26, -12, v24
	;; [unrolled: 3-line block ×3, first 2 shown]
	global_load_dwordx4 v[84:87], v[32:33], off
	v_lshl_add_u64 v[32:33], v[26:27], 4, s[8:9]
	v_add_u32_e32 v26, 3, v30
	s_waitcnt vmcnt(7)
	v_fmac_f64_e32 v[22:23], v[36:37], v[56:57]
	v_fma_f64 v[88:89], -v[38:39], v[58:59], v[22:23]
	v_lshl_add_u64 v[22:23], v[26:27], 4, s[10:11]
	v_add_u32_e32 v26, -10, v24
	v_fmac_f64_e32 v[12:13], v[46:47], v[56:57]
	v_fmac_f64_e32 v[20:21], v[44:45], v[56:57]
	;; [unrolled: 1-line block ×3, first 2 shown]
	v_lshl_add_u64 v[44:45], v[26:27], 4, s[8:9]
	v_add_u32_e32 v26, -9, v24
	v_fmac_f64_e32 v[10:11], v[50:51], v[56:57]
	v_fmac_f64_e32 v[14:15], v[38:39], v[56:57]
	;; [unrolled: 1-line block ×4, first 2 shown]
	v_lshl_add_u64 v[48:49], v[26:27], 4, s[8:9]
	v_fmac_f64_e32 v[14:15], v[36:37], v[58:59]
	global_load_dwordx4 v[36:39], v[32:33], off
	v_fma_f64 v[18:19], -v[50:51], v[58:59], v[18:19]
	global_load_dwordx4 v[48:51], v[48:49], off
	v_fma_f64 v[32:33], -v[46:47], v[58:59], v[20:21]
	global_load_dwordx4 v[20:23], v[22:23], off
	v_add_u32_e32 v26, -8, v24
	global_load_dwordx4 v[44:47], v[44:45], off
	v_lshl_add_u64 v[56:57], v[26:27], 4, s[8:9]
	v_add_u32_e32 v26, 4, v30
	s_waitcnt vmcnt(10)
	v_fmac_f64_e32 v[88:89], v[52:53], v[60:61]
	v_fmac_f64_e32 v[14:15], v[54:55], v[60:61]
	v_fma_f64 v[88:89], -v[54:55], v[62:63], v[88:89]
	v_fmac_f64_e32 v[14:15], v[52:53], v[62:63]
	global_load_dwordx4 v[52:55], v[56:57], off
	v_lshl_add_u64 v[56:57], v[26:27], 4, s[10:11]
	v_add_u32_e32 v26, -7, v24
	v_lshl_add_u64 v[90:91], v[26:27], 4, s[8:9]
	v_add_u32_e32 v26, -6, v24
	s_waitcnt vmcnt(9)
	v_fmac_f64_e32 v[10:11], v[70:71], v[60:61]
	v_fmac_f64_e32 v[32:33], v[64:65], v[60:61]
	v_fmac_f64_e32 v[12:13], v[66:67], v[60:61]
	v_fmac_f64_e32 v[18:19], v[68:69], v[60:61]
	v_fmac_f64_e32 v[10:11], v[68:69], v[62:63]
	v_lshl_add_u64 v[68:69], v[26:27], 4, s[8:9]
	v_add_u32_e32 v26, -5, v24
	v_fma_f64 v[32:33], -v[66:67], v[62:63], v[32:33]
	v_fmac_f64_e32 v[12:13], v[64:65], v[62:63]
	global_load_dwordx4 v[56:59], v[56:57], off
	v_fma_f64 v[18:19], -v[70:71], v[62:63], v[18:19]
	global_load_dwordx4 v[60:63], v[90:91], off
	global_load_dwordx4 v[64:67], v[68:69], off
	v_lshl_add_u64 v[68:69], v[26:27], 4, s[8:9]
	v_add_u32_e32 v26, 5, v30
	s_waitcnt vmcnt(10)
	v_fmac_f64_e32 v[14:15], v[74:75], v[76:77]
	v_fmac_f64_e32 v[88:89], v[72:73], v[76:77]
	;; [unrolled: 1-line block ×3, first 2 shown]
	v_lshl_add_u64 v[72:73], v[26:27], 4, s[10:11]
	v_add_u32_e32 v26, -4, v24
	s_waitcnt vmcnt(9)
	v_fmac_f64_e32 v[32:33], v[80:81], v[76:77]
	v_fma_f64 v[90:91], -v[82:83], v[78:79], v[32:33]
	v_lshl_add_u64 v[32:33], v[26:27], 4, s[8:9]
	v_add_u32_e32 v26, -3, v24
	s_waitcnt vmcnt(8)
	v_fmac_f64_e32 v[10:11], v[86:87], v[76:77]
	v_fmac_f64_e32 v[12:13], v[82:83], v[76:77]
	;; [unrolled: 1-line block ×4, first 2 shown]
	v_lshl_add_u64 v[84:85], v[26:27], 4, s[8:9]
	v_add_u32_e32 v26, -2, v24
	v_fma_f64 v[88:89], -v[74:75], v[78:79], v[88:89]
	v_fmac_f64_e32 v[12:13], v[80:81], v[78:79]
	v_fma_f64 v[18:19], -v[86:87], v[78:79], v[18:19]
	v_lshl_add_u64 v[86:87], v[26:27], 4, s[8:9]
	v_add_u32_e32 v26, 6, v30
	global_load_dwordx4 v[68:71], v[68:69], off
	s_waitcnt vmcnt(6)
	v_fmac_f64_e32 v[14:15], v[38:39], v[20:21]
	global_load_dwordx4 v[76:79], v[32:33], off
	v_fmac_f64_e32 v[88:89], v[36:37], v[20:21]
	global_load_dwordx4 v[72:75], v[72:73], off
	v_fmac_f64_e32 v[14:15], v[36:37], v[22:23]
	v_lshl_add_u64 v[36:37], v[26:27], 4, s[10:11]
	v_add_u32_e32 v26, -1, v24
	s_waitcnt vmcnt(7)
	v_fmac_f64_e32 v[12:13], v[46:47], v[20:21]
	global_load_dwordx4 v[30:33], v[84:85], off
	global_load_dwordx4 v[80:83], v[86:87], off
	v_fmac_f64_e32 v[90:91], v[44:45], v[20:21]
	v_fmac_f64_e32 v[12:13], v[44:45], v[22:23]
	v_lshl_add_u64 v[44:45], v[26:27], 4, s[8:9]
	v_fma_f64 v[84:85], -v[38:39], v[22:23], v[88:89]
	global_load_dwordx4 v[36:39], v[36:37], off
	v_fma_f64 v[86:87], -v[46:47], v[22:23], v[90:91]
	global_load_dwordx4 v[44:47], v[44:45], off
	v_fmac_f64_e32 v[18:19], v[48:49], v[20:21]
	v_fmac_f64_e32 v[10:11], v[50:51], v[20:21]
	v_fma_f64 v[18:19], -v[50:51], v[22:23], v[18:19]
	v_fmac_f64_e32 v[10:11], v[48:49], v[22:23]
	v_add_u32_e32 v24, 0x540, v24
	s_waitcnt vmcnt(9)
	v_fmac_f64_e32 v[84:85], v[52:53], v[56:57]
	v_fmac_f64_e32 v[14:15], v[54:55], v[56:57]
	s_waitcnt vmcnt(8)
	v_fmac_f64_e32 v[86:87], v[60:61], v[56:57]
	v_fmac_f64_e32 v[12:13], v[62:63], v[56:57]
	;; [unrolled: 3-line block ×3, first 2 shown]
	v_fma_f64 v[20:21], -v[54:55], v[58:59], v[84:85]
	v_fmac_f64_e32 v[14:15], v[52:53], v[58:59]
	v_fma_f64 v[22:23], -v[62:63], v[58:59], v[86:87]
	v_fmac_f64_e32 v[12:13], v[60:61], v[58:59]
	;; [unrolled: 2-line block ×3, first 2 shown]
	s_waitcnt vmcnt(4)
	v_fmac_f64_e32 v[20:21], v[68:69], v[72:73]
	v_fmac_f64_e32 v[14:15], v[70:71], v[72:73]
	;; [unrolled: 1-line block ×4, first 2 shown]
	s_waitcnt vmcnt(3)
	v_fmac_f64_e32 v[18:19], v[30:31], v[72:73]
	v_fmac_f64_e32 v[10:11], v[32:33], v[72:73]
	v_fma_f64 v[20:21], -v[70:71], v[74:75], v[20:21]
	v_fmac_f64_e32 v[14:15], v[68:69], v[74:75]
	v_fma_f64 v[48:49], -v[78:79], v[74:75], v[22:23]
	;; [unrolled: 2-line block ×3, first 2 shown]
	v_fmac_f64_e32 v[10:11], v[30:31], v[74:75]
	s_waitcnt vmcnt(1)
	v_fmac_f64_e32 v[20:21], v[80:81], v[36:37]
	v_fmac_f64_e32 v[14:15], v[82:83], v[36:37]
	;; [unrolled: 1-line block ×4, first 2 shown]
	s_waitcnt vmcnt(0)
	v_fmac_f64_e32 v[48:49], v[44:45], v[36:37]
	v_fmac_f64_e32 v[12:13], v[46:47], v[36:37]
	v_fma_f64 v[22:23], -v[82:83], v[38:39], v[20:21]
	v_fmac_f64_e32 v[14:15], v[80:81], v[38:39]
	v_fma_f64 v[18:19], -v[42:43], v[38:39], v[18:19]
	;; [unrolled: 2-line block ×3, first 2 shown]
	v_fmac_f64_e32 v[12:13], v[44:45], v[38:39]
	s_andn2_b64 exec, exec, s[14:15]
	s_cbranch_execnz .LBB140_11
; %bb.12:
	s_or_b64 exec, exec, s[14:15]
.LBB140_13:
	s_or_b64 exec, exec, s[12:13]
	s_andn2_b64 vcc, exec, s[4:5]
	s_cbranch_vccz .LBB140_15
	s_branch .LBB140_20
.LBB140_14:
                                        ; implicit-def: $vgpr14_vgpr15
                                        ; implicit-def: $vgpr22_vgpr23
                                        ; implicit-def: $vgpr18_vgpr19
                                        ; implicit-def: $vgpr10_vgpr11
                                        ; implicit-def: $vgpr20_vgpr21
                                        ; implicit-def: $vgpr12_vgpr13
.LBB140_15:
	v_mov_b64_e32 v[14:15], 0
	v_mov_b64_e32 v[22:23], v[14:15]
	v_mov_b64_e32 v[18:19], v[14:15]
	v_mov_b64_e32 v[10:11], v[14:15]
	v_mov_b64_e32 v[20:21], v[14:15]
	v_mov_b64_e32 v[12:13], v[14:15]
	s_and_saveexec_b64 s[4:5], s[0:1]
	s_cbranch_execz .LBB140_19
; %bb.16:
	v_mad_u64_u32 v[24:25], s[0:1], v16, 21, 20
	v_mov_b64_e32 v[14:15], 0
	s_mov_b64 s[0:1], 0
	v_mov_b32_e32 v27, 0
	v_mov_b64_e32 v[22:23], v[14:15]
	v_mov_b64_e32 v[18:19], v[14:15]
	;; [unrolled: 1-line block ×5, first 2 shown]
.LBB140_17:                             ; =>This Inner Loop Header: Depth=1
	v_ashrrev_i32_e32 v17, 31, v16
	v_subrev_u32_e32 v26, 20, v24
	v_add_u32_e32 v32, -13, v24
	v_add_u32_e32 v30, -6, v24
	v_mov_b32_e32 v33, v27
	v_mov_b32_e32 v31, v27
	v_lshl_add_u64 v[44:45], v[16:17], 2, s[6:7]
	v_lshl_add_u64 v[46:47], v[26:27], 4, s[8:9]
	;; [unrolled: 1-line block ×4, first 2 shown]
	global_load_dword v17, v[44:45], off
	global_load_dwordx4 v[30:33], v[46:47], off
	global_load_dwordx4 v[36:39], v[48:49], off
	;; [unrolled: 1-line block ×3, first 2 shown]
	v_mov_b32_e32 v29, v27
	v_subrev_u32_e32 v26, 19, v24
	v_lshl_add_u64 v[44:45], v[26:27], 4, s[8:9]
	global_load_dwordx4 v[44:47], v[44:45], off
	v_mov_b32_e32 v25, v27
	v_lshl_add_u64 v[76:77], v[24:25], 4, s[8:9]
	v_add_u32_e32 v16, 64, v16
	v_cmp_ge_i32_e32 vcc, v16, v34
	s_or_b64 s[0:1], vcc, s[0:1]
	s_waitcnt vmcnt(4)
	v_subrev_u32_e32 v17, s16, v17
	v_mul_lo_u32 v28, v17, 7
	v_lshl_add_u64 v[48:49], v[28:29], 4, s[10:11]
	global_load_dwordx4 v[48:51], v[48:49], off
	v_add_u32_e32 v26, 1, v28
	v_lshl_add_u64 v[52:53], v[26:27], 4, s[10:11]
	global_load_dwordx4 v[52:55], v[52:53], off
	v_add_u32_e32 v26, -12, v24
	v_lshl_add_u64 v[56:57], v[26:27], 4, s[8:9]
	v_add_u32_e32 v26, -5, v24
	v_lshl_add_u64 v[60:61], v[26:27], 4, s[8:9]
	v_subrev_u32_e32 v26, 18, v24
	v_lshl_add_u64 v[64:65], v[26:27], 4, s[8:9]
	v_add_u32_e32 v26, 2, v28
	global_load_dwordx4 v[56:59], v[56:57], off
	v_lshl_add_u64 v[68:69], v[26:27], 4, s[10:11]
	global_load_dwordx4 v[60:63], v[60:61], off
	v_add_u32_e32 v26, -11, v24
	v_lshl_add_u64 v[72:73], v[26:27], 4, s[8:9]
	v_add_u32_e32 v26, -4, v24
	global_load_dwordx4 v[64:67], v[64:65], off
	s_waitcnt vmcnt(4)
	v_fmac_f64_e32 v[22:23], v[30:31], v[48:49]
	global_load_dwordx4 v[68:71], v[68:69], off
	v_fmac_f64_e32 v[14:15], v[32:33], v[48:49]
	v_fma_f64 v[78:79], -v[32:33], v[50:51], v[22:23]
	v_lshl_add_u64 v[22:23], v[26:27], 4, s[8:9]
	global_load_dwordx4 v[72:75], v[72:73], off
	v_fmac_f64_e32 v[14:15], v[30:31], v[50:51]
	v_subrev_u32_e32 v26, 17, v24
	global_load_dwordx4 v[30:33], v[22:23], off
	v_fmac_f64_e32 v[20:21], v[36:37], v[48:49]
	v_fmac_f64_e32 v[12:13], v[38:39], v[48:49]
	v_fma_f64 v[80:81], -v[38:39], v[50:51], v[20:21]
	v_lshl_add_u64 v[20:21], v[26:27], 4, s[8:9]
	v_add_u32_e32 v26, 3, v28
	v_fmac_f64_e32 v[12:13], v[36:37], v[50:51]
	v_fmac_f64_e32 v[10:11], v[42:43], v[48:49]
	v_lshl_add_u64 v[36:37], v[26:27], 4, s[10:11]
	v_add_u32_e32 v26, -10, v24
	global_load_dwordx4 v[20:23], v[20:21], off
	v_fmac_f64_e32 v[18:19], v[40:41], v[48:49]
	v_fmac_f64_e32 v[10:11], v[40:41], v[50:51]
	global_load_dwordx4 v[36:39], v[36:37], off
	v_lshl_add_u64 v[40:41], v[26:27], 4, s[8:9]
	v_fma_f64 v[18:19], -v[42:43], v[50:51], v[18:19]
	v_add_u32_e32 v26, -3, v24
	global_load_dwordx4 v[40:43], v[40:41], off
	s_waitcnt vmcnt(9)
	v_fmac_f64_e32 v[14:15], v[46:47], v[52:53]
	v_fmac_f64_e32 v[78:79], v[44:45], v[52:53]
	;; [unrolled: 1-line block ×3, first 2 shown]
	v_lshl_add_u64 v[44:45], v[26:27], 4, s[8:9]
	v_fma_f64 v[78:79], -v[46:47], v[54:55], v[78:79]
	global_load_dwordx4 v[44:47], v[44:45], off
	v_add_u32_e32 v26, -16, v24
	v_lshl_add_u64 v[48:49], v[26:27], 4, s[8:9]
	global_load_dwordx4 v[48:51], v[48:49], off
	v_add_u32_e32 v26, 4, v28
	s_waitcnt vmcnt(10)
	v_fmac_f64_e32 v[80:81], v[56:57], v[52:53]
	v_fmac_f64_e32 v[12:13], v[58:59], v[52:53]
	s_waitcnt vmcnt(9)
	v_fmac_f64_e32 v[18:19], v[60:61], v[52:53]
	v_fmac_f64_e32 v[10:11], v[62:63], v[52:53]
	v_lshl_add_u64 v[52:53], v[26:27], 4, s[10:11]
	v_add_u32_e32 v26, -9, v24
	v_lshl_add_u64 v[82:83], v[26:27], 4, s[8:9]
	v_add_u32_e32 v26, -2, v24
	v_fmac_f64_e32 v[12:13], v[56:57], v[54:55]
	v_fma_f64 v[18:19], -v[62:63], v[54:55], v[18:19]
	v_lshl_add_u64 v[84:85], v[26:27], 4, s[8:9]
	v_add_u32_e32 v26, -15, v24
	v_fma_f64 v[80:81], -v[58:59], v[54:55], v[80:81]
	v_fmac_f64_e32 v[10:11], v[60:61], v[54:55]
	global_load_dwordx4 v[52:55], v[52:53], off
	s_nop 0
	global_load_dwordx4 v[56:59], v[82:83], off
	global_load_dwordx4 v[60:63], v[84:85], off
	s_waitcnt vmcnt(10)
	v_fmac_f64_e32 v[14:15], v[66:67], v[68:69]
	v_fmac_f64_e32 v[78:79], v[64:65], v[68:69]
	;; [unrolled: 1-line block ×3, first 2 shown]
	v_lshl_add_u64 v[64:65], v[26:27], 4, s[8:9]
	s_waitcnt vmcnt(9)
	v_fmac_f64_e32 v[12:13], v[74:75], v[68:69]
	v_add_u32_e32 v26, 5, v28
	v_fmac_f64_e32 v[80:81], v[72:73], v[68:69]
	s_waitcnt vmcnt(8)
	v_fmac_f64_e32 v[18:19], v[30:31], v[68:69]
	v_fmac_f64_e32 v[12:13], v[72:73], v[70:71]
	;; [unrolled: 1-line block ×3, first 2 shown]
	v_fma_f64 v[72:73], -v[32:33], v[70:71], v[18:19]
	v_lshl_add_u64 v[18:19], v[26:27], 4, s[10:11]
	v_add_u32_e32 v26, -8, v24
	v_fma_f64 v[78:79], -v[66:67], v[70:71], v[78:79]
	v_fmac_f64_e32 v[10:11], v[30:31], v[70:71]
	global_load_dwordx4 v[30:33], v[18:19], off
	v_lshl_add_u64 v[18:19], v[26:27], 4, s[8:9]
	v_add_u32_e32 v26, -1, v24
	v_fma_f64 v[74:75], -v[74:75], v[70:71], v[80:81]
	v_lshl_add_u64 v[68:69], v[26:27], 4, s[8:9]
	v_add_u32_e32 v26, -14, v24
	s_waitcnt vmcnt(7)
	v_fmac_f64_e32 v[78:79], v[20:21], v[36:37]
	v_fmac_f64_e32 v[14:15], v[22:23], v[36:37]
	v_fma_f64 v[22:23], -v[22:23], v[38:39], v[78:79]
	v_lshl_add_u64 v[78:79], v[26:27], 4, s[8:9]
	v_add_u32_e32 v26, 6, v28
	s_waitcnt vmcnt(6)
	v_fmac_f64_e32 v[74:75], v[40:41], v[36:37]
	global_load_dwordx4 v[64:67], v[64:65], off
	v_fmac_f64_e32 v[14:15], v[20:21], v[38:39]
	global_load_dwordx4 v[18:21], v[18:19], off
	v_fma_f64 v[28:29], -v[42:43], v[38:39], v[74:75]
	global_load_dwordx4 v[68:71], v[68:69], off
	v_lshl_add_u64 v[74:75], v[26:27], 4, s[10:11]
	v_add_u32_e32 v26, -7, v24
	v_fmac_f64_e32 v[12:13], v[42:43], v[36:37]
	s_waitcnt vmcnt(8)
	v_fmac_f64_e32 v[72:73], v[44:45], v[36:37]
	v_fmac_f64_e32 v[10:11], v[46:47], v[36:37]
	v_lshl_add_u64 v[80:81], v[26:27], 4, s[8:9]
	v_fmac_f64_e32 v[12:13], v[40:41], v[38:39]
	global_load_dwordx4 v[40:43], v[78:79], off
	v_fma_f64 v[78:79], -v[46:47], v[38:39], v[72:73]
	v_fmac_f64_e32 v[10:11], v[44:45], v[38:39]
	global_load_dwordx4 v[36:39], v[74:75], off
	global_load_dwordx4 v[44:47], v[80:81], off
	s_nop 0
	global_load_dwordx4 v[72:75], v[76:77], off
	v_add_u32_e32 v24, 0x540, v24
	s_waitcnt vmcnt(10)
	v_fmac_f64_e32 v[22:23], v[48:49], v[52:53]
	v_fmac_f64_e32 v[14:15], v[50:51], v[52:53]
	s_waitcnt vmcnt(9)
	v_fmac_f64_e32 v[28:29], v[56:57], v[52:53]
	v_fmac_f64_e32 v[12:13], v[58:59], v[52:53]
	s_waitcnt vmcnt(8)
	v_fmac_f64_e32 v[78:79], v[60:61], v[52:53]
	v_fmac_f64_e32 v[10:11], v[62:63], v[52:53]
	v_fma_f64 v[22:23], -v[50:51], v[54:55], v[22:23]
	v_fmac_f64_e32 v[14:15], v[48:49], v[54:55]
	v_fma_f64 v[28:29], -v[58:59], v[54:55], v[28:29]
	v_fmac_f64_e32 v[12:13], v[56:57], v[54:55]
	v_fma_f64 v[48:49], -v[62:63], v[54:55], v[78:79]
	v_fmac_f64_e32 v[10:11], v[60:61], v[54:55]
	s_waitcnt vmcnt(6)
	v_fmac_f64_e32 v[22:23], v[64:65], v[30:31]
	v_fmac_f64_e32 v[14:15], v[66:67], v[30:31]
	s_waitcnt vmcnt(5)
	v_fmac_f64_e32 v[28:29], v[18:19], v[30:31]
	v_fmac_f64_e32 v[12:13], v[20:21], v[30:31]
	s_waitcnt vmcnt(4)
	v_fmac_f64_e32 v[48:49], v[68:69], v[30:31]
	v_fmac_f64_e32 v[10:11], v[70:71], v[30:31]
	v_fma_f64 v[22:23], -v[66:67], v[32:33], v[22:23]
	v_fmac_f64_e32 v[14:15], v[64:65], v[32:33]
	v_fma_f64 v[20:21], -v[20:21], v[32:33], v[28:29]
	v_fmac_f64_e32 v[12:13], v[18:19], v[32:33]
	v_fma_f64 v[18:19], -v[70:71], v[32:33], v[48:49]
	v_fmac_f64_e32 v[10:11], v[68:69], v[32:33]
	;; [unrolled: 15-line block ×3, first 2 shown]
	s_andn2_b64 exec, exec, s[0:1]
	s_cbranch_execnz .LBB140_17
; %bb.18:
	s_or_b64 exec, exec, s[0:1]
.LBB140_19:
	s_or_b64 exec, exec, s[4:5]
.LBB140_20:
	v_mov_b32_dpp v28, v12 row_shr:1 row_mask:0xf bank_mask:0xf
	v_mov_b32_dpp v29, v13 row_shr:1 row_mask:0xf bank_mask:0xf
	v_add_f64 v[12:13], v[12:13], v[28:29]
	v_mov_b32_dpp v16, v22 row_shr:1 row_mask:0xf bank_mask:0xf
	v_mov_b32_dpp v17, v23 row_shr:1 row_mask:0xf bank_mask:0xf
	v_mov_b32_dpp v28, v12 row_shr:2 row_mask:0xf bank_mask:0xf
	v_mov_b32_dpp v29, v13 row_shr:2 row_mask:0xf bank_mask:0xf
	v_add_f64 v[12:13], v[12:13], v[28:29]
	v_mov_b32_dpp v24, v14 row_shr:1 row_mask:0xf bank_mask:0xf
	v_mov_b32_dpp v25, v15 row_shr:1 row_mask:0xf bank_mask:0xf
	;; [unrolled: 5-line block ×3, first 2 shown]
	v_mov_b32_dpp v28, v12 row_shr:8 row_mask:0xf bank_mask:0xc
	v_mov_b32_dpp v29, v13 row_shr:8 row_mask:0xf bank_mask:0xc
	v_add_f64 v[12:13], v[12:13], v[28:29]
	v_add_f64 v[16:17], v[22:23], v[16:17]
	;; [unrolled: 1-line block ×3, first 2 shown]
	v_mov_b32_dpp v28, v12 row_bcast:15 row_mask:0xa bank_mask:0xf
	v_mov_b32_dpp v29, v13 row_bcast:15 row_mask:0xa bank_mask:0xf
	v_add_f64 v[28:29], v[12:13], v[28:29]
	v_mov_b32_dpp v12, v18 row_shr:1 row_mask:0xf bank_mask:0xf
	v_mov_b32_dpp v13, v19 row_shr:1 row_mask:0xf bank_mask:0xf
	v_add_f64 v[12:13], v[18:19], v[12:13]
	v_add_f64 v[20:21], v[20:21], v[26:27]
	v_mov_b32_dpp v22, v16 row_shr:2 row_mask:0xf bank_mask:0xf
	v_mov_b32_dpp v18, v12 row_shr:2 row_mask:0xf bank_mask:0xf
	v_mov_b32_dpp v19, v13 row_shr:2 row_mask:0xf bank_mask:0xf
	v_add_f64 v[12:13], v[12:13], v[18:19]
	v_mov_b32_dpp v23, v17 row_shr:2 row_mask:0xf bank_mask:0xf
	v_mov_b32_dpp v24, v14 row_shr:2 row_mask:0xf bank_mask:0xf
	v_mov_b32_dpp v18, v12 row_shr:4 row_mask:0xf bank_mask:0xe
	v_mov_b32_dpp v19, v13 row_shr:4 row_mask:0xf bank_mask:0xe
	v_add_f64 v[12:13], v[12:13], v[18:19]
	v_mov_b32_dpp v25, v15 row_shr:2 row_mask:0xf bank_mask:0xf
	v_mov_b32_dpp v26, v20 row_shr:2 row_mask:0xf bank_mask:0xf
	v_mov_b32_dpp v18, v12 row_shr:8 row_mask:0xf bank_mask:0xc
	v_mov_b32_dpp v19, v13 row_shr:8 row_mask:0xf bank_mask:0xc
	v_add_f64 v[12:13], v[12:13], v[18:19]
	v_mov_b32_dpp v27, v21 row_shr:2 row_mask:0xf bank_mask:0xf
	v_add_f64 v[16:17], v[16:17], v[22:23]
	v_mov_b32_dpp v18, v12 row_bcast:15 row_mask:0xa bank_mask:0xf
	v_mov_b32_dpp v19, v13 row_bcast:15 row_mask:0xa bank_mask:0xf
	v_add_f64 v[32:33], v[12:13], v[18:19]
	v_mov_b32_dpp v12, v10 row_shr:1 row_mask:0xf bank_mask:0xf
	v_mov_b32_dpp v13, v11 row_shr:1 row_mask:0xf bank_mask:0xf
	v_add_f64 v[10:11], v[10:11], v[12:13]
	v_add_f64 v[14:15], v[14:15], v[24:25]
	;; [unrolled: 1-line block ×3, first 2 shown]
	v_mov_b32_dpp v12, v10 row_shr:2 row_mask:0xf bank_mask:0xf
	v_mov_b32_dpp v13, v11 row_shr:2 row_mask:0xf bank_mask:0xf
	v_add_f64 v[10:11], v[10:11], v[12:13]
	v_mov_b32_dpp v22, v16 row_shr:4 row_mask:0xf bank_mask:0xe
	v_mov_b32_dpp v23, v17 row_shr:4 row_mask:0xf bank_mask:0xe
	;; [unrolled: 1-line block ×8, first 2 shown]
	v_add_f64 v[16:17], v[16:17], v[22:23]
	v_add_f64 v[14:15], v[14:15], v[24:25]
	;; [unrolled: 1-line block ×4, first 2 shown]
	v_mov_b32_dpp v22, v16 row_shr:8 row_mask:0xf bank_mask:0xc
	v_mov_b32_dpp v23, v17 row_shr:8 row_mask:0xf bank_mask:0xc
	;; [unrolled: 1-line block ×8, first 2 shown]
	v_add_f64 v[16:17], v[16:17], v[22:23]
	v_add_f64 v[14:15], v[14:15], v[24:25]
	;; [unrolled: 1-line block ×4, first 2 shown]
	v_mov_b32_dpp v22, v16 row_bcast:15 row_mask:0xa bank_mask:0xf
	v_mov_b32_dpp v23, v17 row_bcast:15 row_mask:0xa bank_mask:0xf
	v_mov_b32_dpp v24, v14 row_bcast:15 row_mask:0xa bank_mask:0xf
	v_mov_b32_dpp v25, v15 row_bcast:15 row_mask:0xa bank_mask:0xf
	v_mov_b32_dpp v26, v20 row_bcast:15 row_mask:0xa bank_mask:0xf
	v_mov_b32_dpp v27, v21 row_bcast:15 row_mask:0xa bank_mask:0xf
	v_mov_b32_dpp v12, v10 row_bcast:15 row_mask:0xa bank_mask:0xf
	v_mov_b32_dpp v13, v11 row_bcast:15 row_mask:0xa bank_mask:0xf
	v_add_f64 v[16:17], v[16:17], v[22:23]
	v_add_f64 v[14:15], v[14:15], v[24:25]
	;; [unrolled: 1-line block ×4, first 2 shown]
	v_mov_b32_dpp v22, v16 row_bcast:31 row_mask:0xc bank_mask:0xf
	v_mov_b32_dpp v23, v17 row_bcast:31 row_mask:0xc bank_mask:0xf
	;; [unrolled: 1-line block ×12, first 2 shown]
	v_cmp_eq_u32_e32 vcc, 63, v9
	s_and_b64 exec, exec, vcc
	s_cbranch_execz .LBB140_25
; %bb.21:
	s_load_dwordx2 s[2:3], s[2:3], 0x48
	v_cmp_eq_f64_e32 vcc, 0, v[4:5]
	v_cmp_eq_f64_e64 s[0:1], 0, v[6:7]
	v_add_f64 v[16:17], v[16:17], v[22:23]
	v_add_f64 v[22:23], v[14:15], v[24:25]
	;; [unrolled: 1-line block ×6, first 2 shown]
	s_and_b64 s[0:1], vcc, s[0:1]
	s_and_saveexec_b64 s[4:5], s[0:1]
	s_xor_b64 s[0:1], exec, s[4:5]
	s_cbranch_execz .LBB140_23
; %bb.22:
	v_lshl_add_u32 v8, v8, 1, v8
	v_mul_f64 v[4:5], v[22:23], -v[2:3]
	v_mul_f64 v[6:7], v[0:1], v[22:23]
	v_ashrrev_i32_e32 v9, 31, v8
	v_fmac_f64_e32 v[4:5], v[0:1], v[16:17]
	v_fmac_f64_e32 v[6:7], v[2:3], v[16:17]
	s_waitcnt lgkmcnt(0)
	v_lshl_add_u64 v[8:9], v[8:9], 4, s[2:3]
	global_store_dwordx4 v[8:9], v[4:7], off
                                        ; implicit-def: $vgpr16_vgpr17
                                        ; implicit-def: $vgpr22_vgpr23
	s_nop 1
	v_mul_f64 v[4:5], v[18:19], -v[2:3]
	v_mul_f64 v[6:7], v[0:1], v[18:19]
	v_fmac_f64_e32 v[4:5], v[0:1], v[12:13]
	v_fmac_f64_e32 v[6:7], v[2:3], v[12:13]
	global_store_dwordx4 v[8:9], v[4:7], off offset:16
                                        ; implicit-def: $vgpr12_vgpr13
                                        ; implicit-def: $vgpr18_vgpr19
	s_nop 1
	v_mul_f64 v[4:5], v[14:15], -v[2:3]
	v_mul_f64 v[6:7], v[0:1], v[14:15]
	v_fmac_f64_e32 v[4:5], v[0:1], v[10:11]
	v_fmac_f64_e32 v[6:7], v[2:3], v[10:11]
	global_store_dwordx4 v[8:9], v[4:7], off offset:32
                                        ; implicit-def: $vgpr0_vgpr1
                                        ; implicit-def: $vgpr2_vgpr3
                                        ; implicit-def: $vgpr4_vgpr5
                                        ; implicit-def: $vgpr6_vgpr7
                                        ; implicit-def: $vgpr8
                                        ; implicit-def: $vgpr10_vgpr11
                                        ; implicit-def: $vgpr14_vgpr15
.LBB140_23:
	s_andn2_saveexec_b64 s[0:1], s[0:1]
	s_cbranch_execz .LBB140_25
; %bb.24:
	v_lshl_add_u32 v8, v8, 1, v8
	v_ashrrev_i32_e32 v9, 31, v8
	s_waitcnt lgkmcnt(0)
	v_lshl_add_u64 v[40:41], v[8:9], 4, s[2:3]
	global_load_dwordx4 v[24:27], v[40:41], off
	global_load_dwordx4 v[28:31], v[40:41], off offset:16
	global_load_dwordx4 v[32:35], v[40:41], off offset:32
	v_mul_f64 v[36:37], v[22:23], -v[2:3]
	v_mul_f64 v[20:21], v[0:1], v[22:23]
	v_mul_f64 v[22:23], v[18:19], -v[2:3]
	v_mul_f64 v[38:39], v[0:1], v[18:19]
	;; [unrolled: 2-line block ×3, first 2 shown]
	v_fmac_f64_e32 v[36:37], v[0:1], v[16:17]
	v_fmac_f64_e32 v[20:21], v[2:3], v[16:17]
	;; [unrolled: 1-line block ×6, first 2 shown]
	s_waitcnt vmcnt(2)
	v_fmac_f64_e32 v[36:37], v[4:5], v[24:25]
	v_fmac_f64_e32 v[20:21], v[6:7], v[24:25]
	s_waitcnt vmcnt(1)
	v_fmac_f64_e32 v[22:23], v[4:5], v[28:29]
	v_fmac_f64_e32 v[38:39], v[6:7], v[28:29]
	;; [unrolled: 3-line block ×3, first 2 shown]
	v_fma_f64 v[18:19], -v[6:7], v[26:27], v[36:37]
	v_fmac_f64_e32 v[20:21], v[4:5], v[26:27]
	v_fma_f64 v[36:37], -v[6:7], v[30:31], v[22:23]
	v_fmac_f64_e32 v[38:39], v[4:5], v[30:31]
	v_fma_f64 v[6:7], -v[6:7], v[34:35], v[42:43]
	v_fmac_f64_e32 v[8:9], v[4:5], v[34:35]
	global_store_dwordx4 v[40:41], v[18:21], off
	global_store_dwordx4 v[40:41], v[36:39], off offset:16
	global_store_dwordx4 v[40:41], v[6:9], off offset:32
.LBB140_25:
	s_endpgm
	.section	.rodata,"a",@progbits
	.p2align	6, 0x0
	.amdhsa_kernel _ZN9rocsparseL19gebsrmvn_3xn_kernelILj128ELj7ELj64E21rocsparse_complex_numIdEEEvi20rocsparse_direction_NS_24const_host_device_scalarIT2_EEPKiS8_PKS5_SA_S6_PS5_21rocsparse_index_base_b
		.amdhsa_group_segment_fixed_size 2048
		.amdhsa_private_segment_fixed_size 0
		.amdhsa_kernarg_size 88
		.amdhsa_user_sgpr_count 4
		.amdhsa_user_sgpr_dispatch_ptr 1
		.amdhsa_user_sgpr_queue_ptr 0
		.amdhsa_user_sgpr_kernarg_segment_ptr 1
		.amdhsa_user_sgpr_dispatch_id 0
		.amdhsa_user_sgpr_kernarg_preload_length 0
		.amdhsa_user_sgpr_kernarg_preload_offset 0
		.amdhsa_user_sgpr_private_segment_size 0
		.amdhsa_uses_dynamic_stack 0
		.amdhsa_enable_private_segment 0
		.amdhsa_system_sgpr_workgroup_id_x 1
		.amdhsa_system_sgpr_workgroup_id_y 0
		.amdhsa_system_sgpr_workgroup_id_z 0
		.amdhsa_system_sgpr_workgroup_info 0
		.amdhsa_system_vgpr_workitem_id 2
		.amdhsa_next_free_vgpr 92
		.amdhsa_next_free_sgpr 20
		.amdhsa_accum_offset 92
		.amdhsa_reserve_vcc 1
		.amdhsa_float_round_mode_32 0
		.amdhsa_float_round_mode_16_64 0
		.amdhsa_float_denorm_mode_32 3
		.amdhsa_float_denorm_mode_16_64 3
		.amdhsa_dx10_clamp 1
		.amdhsa_ieee_mode 1
		.amdhsa_fp16_overflow 0
		.amdhsa_tg_split 0
		.amdhsa_exception_fp_ieee_invalid_op 0
		.amdhsa_exception_fp_denorm_src 0
		.amdhsa_exception_fp_ieee_div_zero 0
		.amdhsa_exception_fp_ieee_overflow 0
		.amdhsa_exception_fp_ieee_underflow 0
		.amdhsa_exception_fp_ieee_inexact 0
		.amdhsa_exception_int_div_zero 0
	.end_amdhsa_kernel
	.section	.text._ZN9rocsparseL19gebsrmvn_3xn_kernelILj128ELj7ELj64E21rocsparse_complex_numIdEEEvi20rocsparse_direction_NS_24const_host_device_scalarIT2_EEPKiS8_PKS5_SA_S6_PS5_21rocsparse_index_base_b,"axG",@progbits,_ZN9rocsparseL19gebsrmvn_3xn_kernelILj128ELj7ELj64E21rocsparse_complex_numIdEEEvi20rocsparse_direction_NS_24const_host_device_scalarIT2_EEPKiS8_PKS5_SA_S6_PS5_21rocsparse_index_base_b,comdat
.Lfunc_end140:
	.size	_ZN9rocsparseL19gebsrmvn_3xn_kernelILj128ELj7ELj64E21rocsparse_complex_numIdEEEvi20rocsparse_direction_NS_24const_host_device_scalarIT2_EEPKiS8_PKS5_SA_S6_PS5_21rocsparse_index_base_b, .Lfunc_end140-_ZN9rocsparseL19gebsrmvn_3xn_kernelILj128ELj7ELj64E21rocsparse_complex_numIdEEEvi20rocsparse_direction_NS_24const_host_device_scalarIT2_EEPKiS8_PKS5_SA_S6_PS5_21rocsparse_index_base_b
                                        ; -- End function
	.section	.AMDGPU.csdata,"",@progbits
; Kernel info:
; codeLenInByte = 4092
; NumSgprs: 26
; NumVgprs: 92
; NumAgprs: 0
; TotalNumVgprs: 92
; ScratchSize: 0
; MemoryBound: 0
; FloatMode: 240
; IeeeMode: 1
; LDSByteSize: 2048 bytes/workgroup (compile time only)
; SGPRBlocks: 3
; VGPRBlocks: 11
; NumSGPRsForWavesPerEU: 26
; NumVGPRsForWavesPerEU: 92
; AccumOffset: 92
; Occupancy: 5
; WaveLimiterHint : 1
; COMPUTE_PGM_RSRC2:SCRATCH_EN: 0
; COMPUTE_PGM_RSRC2:USER_SGPR: 4
; COMPUTE_PGM_RSRC2:TRAP_HANDLER: 0
; COMPUTE_PGM_RSRC2:TGID_X_EN: 1
; COMPUTE_PGM_RSRC2:TGID_Y_EN: 0
; COMPUTE_PGM_RSRC2:TGID_Z_EN: 0
; COMPUTE_PGM_RSRC2:TIDIG_COMP_CNT: 2
; COMPUTE_PGM_RSRC3_GFX90A:ACCUM_OFFSET: 22
; COMPUTE_PGM_RSRC3_GFX90A:TG_SPLIT: 0
	.section	.text._ZN9rocsparseL19gebsrmvn_3xn_kernelILj128ELj8ELj4E21rocsparse_complex_numIdEEEvi20rocsparse_direction_NS_24const_host_device_scalarIT2_EEPKiS8_PKS5_SA_S6_PS5_21rocsparse_index_base_b,"axG",@progbits,_ZN9rocsparseL19gebsrmvn_3xn_kernelILj128ELj8ELj4E21rocsparse_complex_numIdEEEvi20rocsparse_direction_NS_24const_host_device_scalarIT2_EEPKiS8_PKS5_SA_S6_PS5_21rocsparse_index_base_b,comdat
	.globl	_ZN9rocsparseL19gebsrmvn_3xn_kernelILj128ELj8ELj4E21rocsparse_complex_numIdEEEvi20rocsparse_direction_NS_24const_host_device_scalarIT2_EEPKiS8_PKS5_SA_S6_PS5_21rocsparse_index_base_b ; -- Begin function _ZN9rocsparseL19gebsrmvn_3xn_kernelILj128ELj8ELj4E21rocsparse_complex_numIdEEEvi20rocsparse_direction_NS_24const_host_device_scalarIT2_EEPKiS8_PKS5_SA_S6_PS5_21rocsparse_index_base_b
	.p2align	8
	.type	_ZN9rocsparseL19gebsrmvn_3xn_kernelILj128ELj8ELj4E21rocsparse_complex_numIdEEEvi20rocsparse_direction_NS_24const_host_device_scalarIT2_EEPKiS8_PKS5_SA_S6_PS5_21rocsparse_index_base_b,@function
_ZN9rocsparseL19gebsrmvn_3xn_kernelILj128ELj8ELj4E21rocsparse_complex_numIdEEEvi20rocsparse_direction_NS_24const_host_device_scalarIT2_EEPKiS8_PKS5_SA_S6_PS5_21rocsparse_index_base_b: ; @_ZN9rocsparseL19gebsrmvn_3xn_kernelILj128ELj8ELj4E21rocsparse_complex_numIdEEEvi20rocsparse_direction_NS_24const_host_device_scalarIT2_EEPKiS8_PKS5_SA_S6_PS5_21rocsparse_index_base_b
; %bb.0:
	s_load_dwordx2 s[16:17], s[2:3], 0x50
	s_load_dwordx4 s[12:15], s[2:3], 0x8
	s_load_dwordx4 s[8:11], s[2:3], 0x38
	s_load_dwordx2 s[18:19], s[0:1], 0x4
	s_mov_b64 s[6:7], src_shared_base
	s_waitcnt lgkmcnt(0)
	s_bitcmp1_b32 s17, 0
	s_cselect_b64 s[0:1], -1, 0
	s_and_b64 vcc, s[0:1], exec
	s_cselect_b32 s5, s7, s13
	s_lshr_b32 s6, s18, 16
	v_bfe_u32 v2, v0, 10, 10
	v_and_b32_e32 v1, 0x3ff, v0
	s_mul_i32 s6, s6, s19
	v_mul_u32_u24_e32 v2, s19, v2
	v_mad_u32_u24 v2, s6, v1, v2
	v_bfe_u32 v0, v0, 20, 10
	v_add_lshl_u32 v0, v2, v0, 3
	v_mov_b32_e32 v6, s12
	v_add_u32_e32 v7, 0x400, v0
	v_mov_b64_e32 v[2:3], s[12:13]
	v_mov_b64_e32 v[4:5], s[8:9]
	ds_write2st64_b64 v0, v[4:5], v[2:3] offset1:2
	v_cndmask_b32_e64 v2, v6, v7, s[0:1]
	v_mov_b32_e32 v3, s5
	flat_load_dwordx2 v[4:5], v[2:3]
	s_xor_b64 s[18:19], s[0:1], -1
	v_mov_b64_e32 v[6:7], s[14:15]
	s_cbranch_vccnz .LBB141_2
; %bb.1:
	v_mov_b64_e32 v[2:3], s[12:13]
	flat_load_dwordx2 v[6:7], v[2:3] offset:8
.LBB141_2:
	s_and_b64 s[12:13], s[0:1], exec
	s_cselect_b32 s5, s7, s9
	v_mov_b32_e32 v2, s8
	v_cndmask_b32_e64 v2, v2, v0, s[0:1]
	v_mov_b32_e32 v3, s5
	flat_load_dwordx2 v[8:9], v[2:3]
	s_andn2_b64 vcc, exec, s[18:19]
	v_mov_b64_e32 v[10:11], s[10:11]
	s_cbranch_vccnz .LBB141_4
; %bb.3:
	v_mov_b64_e32 v[2:3], s[8:9]
	flat_load_dwordx2 v[10:11], v[2:3] offset:8
.LBB141_4:
	s_waitcnt vmcnt(0) lgkmcnt(0)
	v_cmp_eq_f64_e32 vcc, 0, v[4:5]
	v_cmp_eq_f64_e64 s[0:1], 0, v[6:7]
	s_and_b64 s[8:9], vcc, s[0:1]
	s_mov_b64 s[0:1], -1
	s_and_saveexec_b64 s[6:7], s[8:9]
; %bb.5:
	v_cmp_neq_f64_e32 vcc, 1.0, v[8:9]
	v_cmp_neq_f64_e64 s[0:1], 0, v[10:11]
	s_or_b64 s[0:1], vcc, s[0:1]
	s_orn2_b64 s[0:1], s[0:1], exec
; %bb.6:
	s_or_b64 exec, exec, s[6:7]
	s_and_saveexec_b64 s[6:7], s[0:1]
	s_cbranch_execz .LBB141_25
; %bb.7:
	s_load_dwordx2 s[0:1], s[2:3], 0x0
	v_lshrrev_b32_e32 v0, 2, v1
	v_lshl_or_b32 v12, s4, 5, v0
	s_waitcnt lgkmcnt(0)
	v_cmp_gt_i32_e32 vcc, s0, v12
	s_and_b64 exec, exec, vcc
	s_cbranch_execz .LBB141_25
; %bb.8:
	s_load_dwordx8 s[4:11], s[2:3], 0x18
	v_ashrrev_i32_e32 v13, 31, v12
	s_cmp_lg_u32 s1, 0
	s_waitcnt lgkmcnt(0)
	v_lshl_add_u64 v[2:3], v[12:13], 2, s[4:5]
	global_load_dwordx2 v[2:3], v[2:3], off
	v_and_b32_e32 v13, 3, v1
	s_waitcnt vmcnt(0)
	v_subrev_u32_e32 v0, s16, v2
	v_subrev_u32_e32 v36, s16, v3
	v_add_u32_e32 v20, v0, v13
	v_cmp_lt_i32_e64 s[0:1], v20, v36
	s_cbranch_scc0 .LBB141_14
; %bb.9:
	v_mov_b64_e32 v[16:17], 0
	s_mov_b64 s[4:5], 0
	v_mov_b64_e32 v[26:27], v[16:17]
	v_mov_b64_e32 v[22:23], v[16:17]
	;; [unrolled: 1-line block ×5, first 2 shown]
	s_and_saveexec_b64 s[12:13], s[0:1]
	s_cbranch_execz .LBB141_13
; %bb.10:
	v_mad_u64_u32 v[28:29], s[14:15], v20, 24, 23
	v_mov_b64_e32 v[16:17], 0
	s_mov_b64 s[14:15], 0
	v_mov_b32_e32 v31, 0
	v_mov_b32_e32 v32, v20
	v_mov_b64_e32 v[26:27], v[16:17]
	v_mov_b64_e32 v[22:23], v[16:17]
	;; [unrolled: 1-line block ×5, first 2 shown]
.LBB141_11:                             ; =>This Inner Loop Header: Depth=1
	v_ashrrev_i32_e32 v33, 31, v32
	v_subrev_u32_e32 v30, 23, v28
	v_lshl_add_u64 v[0:1], v[32:33], 2, s[6:7]
	v_lshl_add_u64 v[2:3], v[30:31], 4, s[8:9]
	global_load_dword v21, v[0:1], off
	global_load_dwordx4 v[38:41], v[2:3], off offset:48
	global_load_dwordx4 v[42:45], v[2:3], off offset:32
	;; [unrolled: 1-line block ×3, first 2 shown]
	global_load_dwordx4 v[50:53], v[2:3], off
	global_load_dwordx4 v[54:57], v[2:3], off offset:112
	global_load_dwordx4 v[58:61], v[2:3], off offset:96
	;; [unrolled: 1-line block ×4, first 2 shown]
	v_add_u32_e32 v30, -15, v28
	v_mov_b32_e32 v35, v31
	v_mov_b32_e32 v29, v31
	v_lshl_add_u64 v[78:79], v[30:31], 4, s[8:9]
	v_add_u32_e32 v30, -14, v28
	v_lshl_add_u64 v[70:71], v[28:29], 4, s[8:9]
	v_lshl_add_u64 v[80:81], v[30:31], 4, s[8:9]
	global_load_dwordx4 v[0:3], v[70:71], off
	s_nop 0
	global_load_dwordx4 v[70:73], v[78:79], off
	global_load_dwordx4 v[74:77], v[80:81], off
	v_add_u32_e32 v30, -13, v28
	v_lshl_add_u64 v[86:87], v[30:31], 4, s[8:9]
	v_add_u32_e32 v30, -12, v28
	v_add_u32_e32 v32, 4, v32
	v_cmp_ge_i32_e32 vcc, v32, v36
	s_or_b64 s[14:15], vcc, s[14:15]
	s_waitcnt vmcnt(11)
	v_subrev_u32_e32 v21, s16, v21
	v_lshlrev_b32_e32 v34, 3, v21
	v_lshl_add_u64 v[34:35], v[34:35], 4, s[10:11]
	global_load_dwordx4 v[78:81], v[34:35], off
	global_load_dwordx4 v[82:85], v[34:35], off offset:16
	s_waitcnt vmcnt(1)
	v_fmac_f64_e32 v[26:27], v[50:51], v[78:79]
	v_fma_f64 v[88:89], -v[52:53], v[80:81], v[26:27]
	v_lshl_add_u64 v[26:27], v[30:31], 4, s[8:9]
	v_add_u32_e32 v30, -11, v28
	v_lshl_add_u64 v[90:91], v[30:31], 4, s[8:9]
	v_add_u32_e32 v30, -10, v28
	v_fmac_f64_e32 v[16:17], v[52:53], v[78:79]
	v_fmac_f64_e32 v[24:25], v[46:47], v[78:79]
	;; [unrolled: 1-line block ×5, first 2 shown]
	v_lshl_add_u64 v[78:79], v[30:31], 4, s[8:9]
	v_add_u32_e32 v30, -9, v28
	v_fmac_f64_e32 v[16:17], v[50:51], v[80:81]
	global_load_dwordx4 v[50:53], v[86:87], off
	v_fma_f64 v[86:87], -v[48:49], v[80:81], v[24:25]
	v_fmac_f64_e32 v[18:19], v[46:47], v[80:81]
	global_load_dwordx4 v[24:27], v[26:27], off
	v_fma_f64 v[22:23], -v[44:45], v[80:81], v[22:23]
	v_fmac_f64_e32 v[14:15], v[42:43], v[80:81]
	global_load_dwordx4 v[42:45], v[90:91], off
	global_load_dwordx4 v[46:49], v[78:79], off
	v_lshl_add_u64 v[78:79], v[30:31], 4, s[8:9]
	v_add_u32_e32 v30, -8, v28
	s_waitcnt vmcnt(4)
	v_fmac_f64_e32 v[88:89], v[38:39], v[82:83]
	v_fmac_f64_e32 v[16:17], v[40:41], v[82:83]
	v_lshl_add_u64 v[80:81], v[30:31], 4, s[8:9]
	v_fmac_f64_e32 v[86:87], v[66:67], v[82:83]
	v_fmac_f64_e32 v[18:19], v[68:69], v[82:83]
	;; [unrolled: 1-line block ×4, first 2 shown]
	v_fma_f64 v[88:89], -v[40:41], v[84:85], v[88:89]
	v_fmac_f64_e32 v[16:17], v[38:39], v[84:85]
	global_load_dwordx4 v[38:41], v[78:79], off
	v_fma_f64 v[86:87], -v[68:69], v[84:85], v[86:87]
	v_fmac_f64_e32 v[18:19], v[66:67], v[84:85]
	global_load_dwordx4 v[66:69], v[80:81], off
	v_fma_f64 v[22:23], -v[64:65], v[84:85], v[22:23]
	v_fmac_f64_e32 v[14:15], v[62:63], v[84:85]
	global_load_dwordx4 v[62:65], v[34:35], off offset:32
	global_load_dwordx4 v[78:81], v[34:35], off offset:48
	v_add_u32_e32 v30, -7, v28
	v_lshl_add_u64 v[90:91], v[30:31], 4, s[8:9]
	v_add_u32_e32 v30, -6, v28
	v_lshl_add_u64 v[84:85], v[30:31], 4, s[8:9]
	v_add_u32_e32 v30, -5, v28
	s_waitcnt vmcnt(1)
	v_fmac_f64_e32 v[88:89], v[58:59], v[62:63]
	v_fmac_f64_e32 v[16:17], v[60:61], v[62:63]
	;; [unrolled: 1-line block ×4, first 2 shown]
	v_fma_f64 v[82:83], -v[60:61], v[64:65], v[88:89]
	v_fmac_f64_e32 v[16:17], v[58:59], v[64:65]
	global_load_dwordx4 v[58:61], v[90:91], off
	v_fma_f64 v[86:87], -v[56:57], v[64:65], v[86:87]
	v_fmac_f64_e32 v[18:19], v[54:55], v[64:65]
	global_load_dwordx4 v[54:57], v[84:85], off
	v_lshl_add_u64 v[84:85], v[30:31], 4, s[8:9]
	v_add_u32_e32 v30, -4, v28
	v_fmac_f64_e32 v[22:23], v[70:71], v[62:63]
	v_fmac_f64_e32 v[14:15], v[72:73], v[62:63]
	v_lshl_add_u64 v[88:89], v[30:31], 4, s[8:9]
	v_add_u32_e32 v30, -3, v28
	v_fma_f64 v[22:23], -v[72:73], v[64:65], v[22:23]
	v_fmac_f64_e32 v[14:15], v[70:71], v[64:65]
	global_load_dwordx4 v[62:65], v[84:85], off
	global_load_dwordx4 v[70:73], v[88:89], off
	v_lshl_add_u64 v[84:85], v[30:31], 4, s[8:9]
	v_add_u32_e32 v30, -2, v28
	s_waitcnt vmcnt(4)
	v_fmac_f64_e32 v[82:83], v[74:75], v[78:79]
	v_fmac_f64_e32 v[16:17], v[76:77], v[78:79]
	v_lshl_add_u64 v[88:89], v[30:31], 4, s[8:9]
	v_fmac_f64_e32 v[86:87], v[50:51], v[78:79]
	v_fmac_f64_e32 v[18:19], v[52:53], v[78:79]
	;; [unrolled: 1-line block ×4, first 2 shown]
	v_fma_f64 v[82:83], -v[76:77], v[80:81], v[82:83]
	v_fmac_f64_e32 v[16:17], v[74:75], v[80:81]
	global_load_dwordx4 v[74:77], v[84:85], off
	v_fma_f64 v[84:85], -v[52:53], v[80:81], v[86:87]
	v_fmac_f64_e32 v[18:19], v[50:51], v[80:81]
	global_load_dwordx4 v[50:53], v[88:89], off
	v_fma_f64 v[26:27], -v[26:27], v[80:81], v[22:23]
	v_fmac_f64_e32 v[14:15], v[24:25], v[80:81]
	global_load_dwordx4 v[22:25], v[34:35], off offset:64
	global_load_dwordx4 v[78:81], v[34:35], off offset:80
	v_add_u32_e32 v30, -1, v28
	v_lshl_add_u64 v[86:87], v[30:31], 4, s[8:9]
	v_add_u32_e32 v28, 0x60, v28
	s_waitcnt vmcnt(1)
	v_fmac_f64_e32 v[82:83], v[42:43], v[22:23]
	v_fmac_f64_e32 v[16:17], v[44:45], v[22:23]
	;; [unrolled: 1-line block ×4, first 2 shown]
	v_fma_f64 v[88:89], -v[44:45], v[24:25], v[82:83]
	v_fmac_f64_e32 v[16:17], v[42:43], v[24:25]
	global_load_dwordx4 v[42:45], v[86:87], off
	v_fma_f64 v[86:87], -v[48:49], v[24:25], v[84:85]
	v_fmac_f64_e32 v[18:19], v[46:47], v[24:25]
	global_load_dwordx4 v[46:49], v[34:35], off offset:96
	global_load_dwordx4 v[82:85], v[34:35], off offset:112
	v_fmac_f64_e32 v[26:27], v[38:39], v[22:23]
	v_fmac_f64_e32 v[14:15], v[40:41], v[22:23]
	v_fma_f64 v[22:23], -v[40:41], v[24:25], v[26:27]
	v_fmac_f64_e32 v[14:15], v[38:39], v[24:25]
	s_waitcnt vmcnt(3)
	v_fmac_f64_e32 v[88:89], v[66:67], v[78:79]
	v_fmac_f64_e32 v[16:17], v[68:69], v[78:79]
	v_fmac_f64_e32 v[86:87], v[58:59], v[78:79]
	v_fmac_f64_e32 v[18:19], v[60:61], v[78:79]
	v_fmac_f64_e32 v[22:23], v[54:55], v[78:79]
	v_fmac_f64_e32 v[14:15], v[56:57], v[78:79]
	v_fma_f64 v[24:25], -v[68:69], v[80:81], v[88:89]
	v_fmac_f64_e32 v[16:17], v[66:67], v[80:81]
	v_fma_f64 v[26:27], -v[60:61], v[80:81], v[86:87]
	v_fmac_f64_e32 v[18:19], v[58:59], v[80:81]
	v_fma_f64 v[22:23], -v[56:57], v[80:81], v[22:23]
	v_fmac_f64_e32 v[14:15], v[54:55], v[80:81]
	s_waitcnt vmcnt(1)
	v_fmac_f64_e32 v[24:25], v[62:63], v[46:47]
	v_fmac_f64_e32 v[16:17], v[64:65], v[46:47]
	v_fmac_f64_e32 v[26:27], v[70:71], v[46:47]
	v_fmac_f64_e32 v[18:19], v[72:73], v[46:47]
	v_fmac_f64_e32 v[22:23], v[74:75], v[46:47]
	v_fmac_f64_e32 v[14:15], v[76:77], v[46:47]
	v_fma_f64 v[24:25], -v[64:65], v[48:49], v[24:25]
	v_fmac_f64_e32 v[16:17], v[62:63], v[48:49]
	v_fma_f64 v[34:35], -v[72:73], v[48:49], v[26:27]
	;; [unrolled: 13-line block ×3, first 2 shown]
	v_fmac_f64_e32 v[18:19], v[42:43], v[84:85]
	v_fma_f64 v[22:23], -v[2:3], v[84:85], v[22:23]
	v_fmac_f64_e32 v[14:15], v[0:1], v[84:85]
	s_andn2_b64 exec, exec, s[14:15]
	s_cbranch_execnz .LBB141_11
; %bb.12:
	s_or_b64 exec, exec, s[14:15]
.LBB141_13:
	s_or_b64 exec, exec, s[12:13]
	s_andn2_b64 vcc, exec, s[4:5]
	s_cbranch_vccz .LBB141_15
	s_branch .LBB141_20
.LBB141_14:
                                        ; implicit-def: $vgpr16_vgpr17
                                        ; implicit-def: $vgpr26_vgpr27
                                        ; implicit-def: $vgpr22_vgpr23
                                        ; implicit-def: $vgpr14_vgpr15
                                        ; implicit-def: $vgpr24_vgpr25
                                        ; implicit-def: $vgpr18_vgpr19
.LBB141_15:
	v_mov_b64_e32 v[16:17], 0
	v_mov_b64_e32 v[26:27], v[16:17]
	;; [unrolled: 1-line block ×6, first 2 shown]
	s_and_saveexec_b64 s[4:5], s[0:1]
	s_cbranch_execz .LBB141_19
; %bb.16:
	v_mad_u64_u32 v[28:29], s[0:1], v20, 24, 23
	v_mov_b64_e32 v[16:17], 0
	s_mov_b64 s[0:1], 0
	v_mov_b32_e32 v31, 0
	v_mov_b64_e32 v[26:27], v[16:17]
	v_mov_b64_e32 v[22:23], v[16:17]
	;; [unrolled: 1-line block ×5, first 2 shown]
.LBB141_17:                             ; =>This Inner Loop Header: Depth=1
	v_ashrrev_i32_e32 v21, 31, v20
	v_subrev_u32_e32 v30, 23, v28
	v_add_u32_e32 v2, -15, v28
	v_add_u32_e32 v0, -7, v28
	v_mov_b32_e32 v3, v31
	v_mov_b32_e32 v1, v31
	v_lshl_add_u64 v[34:35], v[20:21], 2, s[6:7]
	v_lshl_add_u64 v[70:71], v[30:31], 4, s[8:9]
	;; [unrolled: 1-line block ×4, first 2 shown]
	global_load_dword v21, v[34:35], off
	global_load_dwordx4 v[38:41], v[70:71], off offset:48
	global_load_dwordx4 v[42:45], v[70:71], off offset:32
	global_load_dwordx4 v[46:49], v[70:71], off offset:16
	global_load_dwordx4 v[50:53], v[70:71], off
	global_load_dwordx4 v[54:57], v[2:3], off
	;; [unrolled: 1-line block ×3, first 2 shown]
	v_mov_b32_e32 v33, v31
	global_load_dwordx4 v[0:3], v[70:71], off offset:112
	global_load_dwordx4 v[62:65], v[70:71], off offset:96
	v_add_u32_e32 v30, -14, v28
	v_lshl_add_u64 v[72:73], v[30:31], 4, s[8:9]
	v_add_u32_e32 v30, -6, v28
	v_mov_b32_e32 v29, v31
	v_lshl_add_u64 v[74:75], v[28:29], 4, s[8:9]
	v_add_u32_e32 v20, 4, v20
	v_cmp_ge_i32_e32 vcc, v20, v36
	s_or_b64 s[0:1], vcc, s[0:1]
	s_waitcnt vmcnt(8)
	v_subrev_u32_e32 v21, s16, v21
	v_lshlrev_b32_e32 v32, 3, v21
	v_lshl_add_u64 v[76:77], v[32:33], 4, s[10:11]
	global_load_dwordx4 v[32:35], v[76:77], off
	global_load_dwordx4 v[66:69], v[76:77], off offset:16
	s_waitcnt vmcnt(1)
	v_fmac_f64_e32 v[26:27], v[50:51], v[32:33]
	v_fmac_f64_e32 v[16:17], v[52:53], v[32:33]
	;; [unrolled: 1-line block ×4, first 2 shown]
	v_fma_f64 v[78:79], -v[52:53], v[34:35], v[26:27]
	v_fmac_f64_e32 v[16:17], v[50:51], v[34:35]
	global_load_dwordx4 v[50:53], v[70:71], off offset:80
	v_fma_f64 v[80:81], -v[56:57], v[34:35], v[24:25]
	v_fmac_f64_e32 v[18:19], v[54:55], v[34:35]
	global_load_dwordx4 v[24:27], v[70:71], off offset:64
	global_load_dwordx4 v[54:57], v[72:73], off
	v_fmac_f64_e32 v[22:23], v[58:59], v[32:33]
	v_fmac_f64_e32 v[14:15], v[60:61], v[32:33]
	v_lshl_add_u64 v[32:33], v[30:31], 4, s[8:9]
	v_fma_f64 v[22:23], -v[60:61], v[34:35], v[22:23]
	v_fmac_f64_e32 v[14:15], v[58:59], v[34:35]
	global_load_dwordx4 v[32:35], v[32:33], off
	v_add_u32_e32 v30, -13, v28
	v_lshl_add_u64 v[70:71], v[30:31], 4, s[8:9]
	v_add_u32_e32 v30, -5, v28
	v_lshl_add_u64 v[72:73], v[30:31], 4, s[8:9]
	v_add_u32_e32 v30, -12, v28
	s_waitcnt vmcnt(4)
	v_fmac_f64_e32 v[78:79], v[46:47], v[66:67]
	v_fmac_f64_e32 v[16:17], v[48:49], v[66:67]
	v_fma_f64 v[78:79], -v[48:49], v[68:69], v[78:79]
	v_fmac_f64_e32 v[16:17], v[46:47], v[68:69]
	global_load_dwordx4 v[46:49], v[70:71], off
	global_load_dwordx4 v[58:61], v[72:73], off
	s_waitcnt vmcnt(3)
	v_fmac_f64_e32 v[18:19], v[56:57], v[66:67]
	v_fmac_f64_e32 v[80:81], v[54:55], v[66:67]
	;; [unrolled: 1-line block ×3, first 2 shown]
	v_lshl_add_u64 v[54:55], v[30:31], 4, s[8:9]
	v_fma_f64 v[70:71], -v[56:57], v[68:69], v[80:81]
	global_load_dwordx4 v[54:57], v[54:55], off
	s_waitcnt vmcnt(3)
	v_fmac_f64_e32 v[22:23], v[32:33], v[66:67]
	v_fmac_f64_e32 v[14:15], v[34:35], v[66:67]
	v_fma_f64 v[22:23], -v[34:35], v[68:69], v[22:23]
	v_fmac_f64_e32 v[14:15], v[32:33], v[68:69]
	global_load_dwordx4 v[32:35], v[76:77], off offset:32
	global_load_dwordx4 v[66:69], v[76:77], off offset:48
	v_add_u32_e32 v30, -4, v28
	s_waitcnt vmcnt(1)
	v_fmac_f64_e32 v[16:17], v[44:45], v[32:33]
	v_fmac_f64_e32 v[78:79], v[42:43], v[32:33]
	;; [unrolled: 1-line block ×3, first 2 shown]
	v_lshl_add_u64 v[42:43], v[30:31], 4, s[8:9]
	v_fma_f64 v[72:73], -v[44:45], v[34:35], v[78:79]
	global_load_dwordx4 v[42:45], v[42:43], off
	v_add_u32_e32 v30, -11, v28
	v_fmac_f64_e32 v[70:71], v[46:47], v[32:33]
	v_fmac_f64_e32 v[18:19], v[48:49], v[32:33]
	v_lshl_add_u64 v[78:79], v[30:31], 4, s[8:9]
	v_add_u32_e32 v30, -3, v28
	v_fmac_f64_e32 v[22:23], v[58:59], v[32:33]
	v_fmac_f64_e32 v[14:15], v[60:61], v[32:33]
	v_fma_f64 v[70:71], -v[48:49], v[34:35], v[70:71]
	v_fmac_f64_e32 v[18:19], v[46:47], v[34:35]
	v_lshl_add_u64 v[80:81], v[30:31], 4, s[8:9]
	v_add_u32_e32 v30, -10, v28
	v_fma_f64 v[22:23], -v[60:61], v[34:35], v[22:23]
	v_fmac_f64_e32 v[14:15], v[58:59], v[34:35]
	global_load_dwordx4 v[32:35], v[78:79], off
	global_load_dwordx4 v[46:49], v[80:81], off
	v_lshl_add_u64 v[78:79], v[30:31], 4, s[8:9]
	v_add_u32_e32 v30, -2, v28
	s_waitcnt vmcnt(3)
	v_fmac_f64_e32 v[72:73], v[38:39], v[66:67]
	v_fmac_f64_e32 v[16:17], v[40:41], v[66:67]
	;; [unrolled: 1-line block ×4, first 2 shown]
	v_lshl_add_u64 v[80:81], v[30:31], 4, s[8:9]
	v_fma_f64 v[72:73], -v[40:41], v[68:69], v[72:73]
	v_fmac_f64_e32 v[16:17], v[38:39], v[68:69]
	global_load_dwordx4 v[38:41], v[78:79], off
	global_load_dwordx4 v[58:61], v[80:81], off
	v_fma_f64 v[70:71], -v[56:57], v[68:69], v[70:71]
	v_fmac_f64_e32 v[18:19], v[54:55], v[68:69]
	v_add_u32_e32 v30, -9, v28
	v_lshl_add_u64 v[78:79], v[30:31], 4, s[8:9]
	v_add_u32_e32 v30, -1, v28
	v_lshl_add_u64 v[80:81], v[30:31], 4, s[8:9]
	v_add_u32_e32 v30, -8, v28
	v_add_u32_e32 v28, 0x60, v28
	s_waitcnt vmcnt(4)
	v_fmac_f64_e32 v[22:23], v[42:43], v[66:67]
	v_fmac_f64_e32 v[14:15], v[44:45], v[66:67]
	v_fma_f64 v[82:83], -v[44:45], v[68:69], v[22:23]
	v_fmac_f64_e32 v[14:15], v[42:43], v[68:69]
	global_load_dwordx4 v[42:45], v[76:77], off offset:64
	global_load_dwordx4 v[54:57], v[76:77], off offset:80
	s_waitcnt vmcnt(1)
	v_fmac_f64_e32 v[16:17], v[26:27], v[42:43]
	v_fmac_f64_e32 v[18:19], v[34:35], v[42:43]
	;; [unrolled: 1-line block ×4, first 2 shown]
	global_load_dwordx4 v[22:25], v[78:79], off
	global_load_dwordx4 v[66:69], v[80:81], off
	v_fmac_f64_e32 v[70:71], v[32:33], v[42:43]
	v_fmac_f64_e32 v[18:19], v[32:33], v[44:45]
	v_lshl_add_u64 v[32:33], v[30:31], 4, s[8:9]
	v_fmac_f64_e32 v[82:83], v[46:47], v[42:43]
	v_fmac_f64_e32 v[14:15], v[48:49], v[42:43]
	v_fma_f64 v[26:27], -v[26:27], v[44:45], v[72:73]
	v_fma_f64 v[78:79], -v[34:35], v[44:45], v[70:71]
	global_load_dwordx4 v[32:35], v[32:33], off
	v_fma_f64 v[80:81], -v[48:49], v[44:45], v[82:83]
	v_fmac_f64_e32 v[14:15], v[46:47], v[44:45]
	global_load_dwordx4 v[42:45], v[74:75], off
	global_load_dwordx4 v[46:49], v[76:77], off offset:96
	global_load_dwordx4 v[70:73], v[76:77], off offset:112
	s_waitcnt vmcnt(6)
	v_fmac_f64_e32 v[26:27], v[50:51], v[54:55]
	v_fmac_f64_e32 v[16:17], v[52:53], v[54:55]
	v_fmac_f64_e32 v[78:79], v[38:39], v[54:55]
	v_fmac_f64_e32 v[18:19], v[40:41], v[54:55]
	v_fmac_f64_e32 v[80:81], v[58:59], v[54:55]
	v_fmac_f64_e32 v[14:15], v[60:61], v[54:55]
	v_fma_f64 v[26:27], -v[52:53], v[56:57], v[26:27]
	v_fmac_f64_e32 v[16:17], v[50:51], v[56:57]
	v_fma_f64 v[40:41], -v[40:41], v[56:57], v[78:79]
	v_fmac_f64_e32 v[18:19], v[38:39], v[56:57]
	v_fma_f64 v[38:39], -v[60:61], v[56:57], v[80:81]
	v_fmac_f64_e32 v[14:15], v[58:59], v[56:57]
	s_waitcnt vmcnt(1)
	v_fmac_f64_e32 v[26:27], v[62:63], v[46:47]
	v_fmac_f64_e32 v[16:17], v[64:65], v[46:47]
	v_fmac_f64_e32 v[40:41], v[22:23], v[46:47]
	v_fmac_f64_e32 v[18:19], v[24:25], v[46:47]
	v_fmac_f64_e32 v[38:39], v[66:67], v[46:47]
	v_fmac_f64_e32 v[14:15], v[68:69], v[46:47]
	v_fma_f64 v[26:27], -v[64:65], v[48:49], v[26:27]
	v_fmac_f64_e32 v[16:17], v[62:63], v[48:49]
	v_fma_f64 v[24:25], -v[24:25], v[48:49], v[40:41]
	v_fmac_f64_e32 v[18:19], v[22:23], v[48:49]
	v_fma_f64 v[22:23], -v[68:69], v[48:49], v[38:39]
	v_fmac_f64_e32 v[14:15], v[66:67], v[48:49]
	;; [unrolled: 13-line block ×3, first 2 shown]
	s_andn2_b64 exec, exec, s[0:1]
	s_cbranch_execnz .LBB141_17
; %bb.18:
	s_or_b64 exec, exec, s[0:1]
.LBB141_19:
	s_or_b64 exec, exec, s[4:5]
.LBB141_20:
	v_mov_b32_dpp v20, v16 row_shr:1 row_mask:0xf bank_mask:0xf
	v_mov_b32_dpp v21, v17 row_shr:1 row_mask:0xf bank_mask:0xf
	v_add_f64 v[20:21], v[16:17], v[20:21]
	v_mov_b32_dpp v16, v24 row_shr:1 row_mask:0xf bank_mask:0xf
	v_mov_b32_dpp v17, v25 row_shr:1 row_mask:0xf bank_mask:0xf
	v_add_f64 v[24:25], v[24:25], v[16:17]
	;; [unrolled: 3-line block ×3, first 2 shown]
	v_mov_b32_dpp v16, v22 row_shr:1 row_mask:0xf bank_mask:0xf
	v_mov_b32_dpp v17, v23 row_shr:1 row_mask:0xf bank_mask:0xf
	;; [unrolled: 1-line block ×4, first 2 shown]
	v_add_f64 v[22:23], v[22:23], v[16:17]
	v_mov_b32_dpp v16, v14 row_shr:1 row_mask:0xf bank_mask:0xf
	v_mov_b32_dpp v17, v15 row_shr:1 row_mask:0xf bank_mask:0xf
	v_add_f64 v[0:1], v[26:27], v[0:1]
	v_add_f64 v[14:15], v[14:15], v[16:17]
	v_mov_b32_dpp v26, v20 row_shr:2 row_mask:0xf bank_mask:0xf
	v_mov_b32_dpp v2, v0 row_shr:2 row_mask:0xf bank_mask:0xf
	;; [unrolled: 1-line block ×12, first 2 shown]
	v_cmp_eq_u32_e32 vcc, 3, v13
	s_and_b64 exec, exec, vcc
	s_cbranch_execz .LBB141_25
; %bb.21:
	s_load_dwordx2 s[2:3], s[2:3], 0x48
	v_cmp_eq_f64_e32 vcc, 0, v[8:9]
	v_cmp_eq_f64_e64 s[0:1], 0, v[10:11]
	v_add_f64 v[16:17], v[0:1], v[2:3]
	v_add_f64 v[20:21], v[20:21], v[26:27]
	;; [unrolled: 1-line block ×6, first 2 shown]
	s_and_b64 s[0:1], vcc, s[0:1]
	s_and_saveexec_b64 s[4:5], s[0:1]
	s_xor_b64 s[0:1], exec, s[4:5]
	s_cbranch_execz .LBB141_23
; %bb.22:
	v_lshl_add_u32 v12, v12, 1, v12
	v_mul_f64 v[8:9], v[20:21], -v[6:7]
	v_mul_f64 v[10:11], v[4:5], v[20:21]
	v_ashrrev_i32_e32 v13, 31, v12
	v_fmac_f64_e32 v[8:9], v[4:5], v[16:17]
	v_fmac_f64_e32 v[10:11], v[6:7], v[16:17]
	s_waitcnt lgkmcnt(0)
	v_lshl_add_u64 v[12:13], v[12:13], 4, s[2:3]
	global_store_dwordx4 v[12:13], v[8:11], off
                                        ; implicit-def: $vgpr16_vgpr17
                                        ; implicit-def: $vgpr20_vgpr21
	s_nop 1
	v_mul_f64 v[8:9], v[18:19], -v[6:7]
	v_mul_f64 v[10:11], v[4:5], v[18:19]
	v_fmac_f64_e32 v[8:9], v[4:5], v[2:3]
	v_fmac_f64_e32 v[10:11], v[6:7], v[2:3]
	v_mul_f64 v[2:3], v[14:15], -v[6:7]
	v_fmac_f64_e32 v[2:3], v[4:5], v[0:1]
	v_mul_f64 v[4:5], v[4:5], v[14:15]
	v_fmac_f64_e32 v[4:5], v[6:7], v[0:1]
	global_store_dwordx4 v[12:13], v[8:11], off offset:16
	global_store_dwordx4 v[12:13], v[2:5], off offset:32
                                        ; implicit-def: $vgpr4_vgpr5
                                        ; implicit-def: $vgpr6_vgpr7
                                        ; implicit-def: $vgpr8_vgpr9
                                        ; implicit-def: $vgpr10_vgpr11
                                        ; implicit-def: $vgpr12
                                        ; implicit-def: $vgpr2_vgpr3
                                        ; implicit-def: $vgpr18_vgpr19
                                        ; implicit-def: $vgpr0_vgpr1
                                        ; implicit-def: $vgpr14_vgpr15
.LBB141_23:
	s_andn2_saveexec_b64 s[0:1], s[0:1]
	s_cbranch_execz .LBB141_25
; %bb.24:
	v_lshl_add_u32 v12, v12, 1, v12
	v_ashrrev_i32_e32 v13, 31, v12
	s_waitcnt lgkmcnt(0)
	v_lshl_add_u64 v[38:39], v[12:13], 4, s[2:3]
	global_load_dwordx4 v[22:25], v[38:39], off
	global_load_dwordx4 v[26:29], v[38:39], off offset:16
	global_load_dwordx4 v[30:33], v[38:39], off offset:32
	v_mul_f64 v[34:35], v[20:21], -v[6:7]
	v_mul_f64 v[20:21], v[4:5], v[20:21]
	v_mul_f64 v[40:41], v[18:19], -v[6:7]
	v_mul_f64 v[36:37], v[4:5], v[18:19]
	v_mul_f64 v[42:43], v[14:15], -v[6:7]
	v_mul_f64 v[12:13], v[4:5], v[14:15]
	v_fmac_f64_e32 v[34:35], v[4:5], v[16:17]
	v_fmac_f64_e32 v[20:21], v[6:7], v[16:17]
	;; [unrolled: 1-line block ×6, first 2 shown]
	s_waitcnt vmcnt(2)
	v_fmac_f64_e32 v[34:35], v[8:9], v[22:23]
	v_fmac_f64_e32 v[20:21], v[10:11], v[22:23]
	s_waitcnt vmcnt(1)
	v_fmac_f64_e32 v[40:41], v[8:9], v[26:27]
	v_fmac_f64_e32 v[36:37], v[10:11], v[26:27]
	;; [unrolled: 3-line block ×3, first 2 shown]
	v_fma_f64 v[18:19], -v[10:11], v[24:25], v[34:35]
	v_fmac_f64_e32 v[20:21], v[8:9], v[24:25]
	v_fma_f64 v[34:35], -v[10:11], v[28:29], v[40:41]
	v_fmac_f64_e32 v[36:37], v[8:9], v[28:29]
	;; [unrolled: 2-line block ×3, first 2 shown]
	global_store_dwordx4 v[38:39], v[18:21], off
	global_store_dwordx4 v[38:39], v[34:37], off offset:16
	global_store_dwordx4 v[38:39], v[10:13], off offset:32
.LBB141_25:
	s_endpgm
	.section	.rodata,"a",@progbits
	.p2align	6, 0x0
	.amdhsa_kernel _ZN9rocsparseL19gebsrmvn_3xn_kernelILj128ELj8ELj4E21rocsparse_complex_numIdEEEvi20rocsparse_direction_NS_24const_host_device_scalarIT2_EEPKiS8_PKS5_SA_S6_PS5_21rocsparse_index_base_b
		.amdhsa_group_segment_fixed_size 2048
		.amdhsa_private_segment_fixed_size 0
		.amdhsa_kernarg_size 88
		.amdhsa_user_sgpr_count 4
		.amdhsa_user_sgpr_dispatch_ptr 1
		.amdhsa_user_sgpr_queue_ptr 0
		.amdhsa_user_sgpr_kernarg_segment_ptr 1
		.amdhsa_user_sgpr_dispatch_id 0
		.amdhsa_user_sgpr_kernarg_preload_length 0
		.amdhsa_user_sgpr_kernarg_preload_offset 0
		.amdhsa_user_sgpr_private_segment_size 0
		.amdhsa_uses_dynamic_stack 0
		.amdhsa_enable_private_segment 0
		.amdhsa_system_sgpr_workgroup_id_x 1
		.amdhsa_system_sgpr_workgroup_id_y 0
		.amdhsa_system_sgpr_workgroup_id_z 0
		.amdhsa_system_sgpr_workgroup_info 0
		.amdhsa_system_vgpr_workitem_id 2
		.amdhsa_next_free_vgpr 92
		.amdhsa_next_free_sgpr 20
		.amdhsa_accum_offset 92
		.amdhsa_reserve_vcc 1
		.amdhsa_float_round_mode_32 0
		.amdhsa_float_round_mode_16_64 0
		.amdhsa_float_denorm_mode_32 3
		.amdhsa_float_denorm_mode_16_64 3
		.amdhsa_dx10_clamp 1
		.amdhsa_ieee_mode 1
		.amdhsa_fp16_overflow 0
		.amdhsa_tg_split 0
		.amdhsa_exception_fp_ieee_invalid_op 0
		.amdhsa_exception_fp_denorm_src 0
		.amdhsa_exception_fp_ieee_div_zero 0
		.amdhsa_exception_fp_ieee_overflow 0
		.amdhsa_exception_fp_ieee_underflow 0
		.amdhsa_exception_fp_ieee_inexact 0
		.amdhsa_exception_int_div_zero 0
	.end_amdhsa_kernel
	.section	.text._ZN9rocsparseL19gebsrmvn_3xn_kernelILj128ELj8ELj4E21rocsparse_complex_numIdEEEvi20rocsparse_direction_NS_24const_host_device_scalarIT2_EEPKiS8_PKS5_SA_S6_PS5_21rocsparse_index_base_b,"axG",@progbits,_ZN9rocsparseL19gebsrmvn_3xn_kernelILj128ELj8ELj4E21rocsparse_complex_numIdEEEvi20rocsparse_direction_NS_24const_host_device_scalarIT2_EEPKiS8_PKS5_SA_S6_PS5_21rocsparse_index_base_b,comdat
.Lfunc_end141:
	.size	_ZN9rocsparseL19gebsrmvn_3xn_kernelILj128ELj8ELj4E21rocsparse_complex_numIdEEEvi20rocsparse_direction_NS_24const_host_device_scalarIT2_EEPKiS8_PKS5_SA_S6_PS5_21rocsparse_index_base_b, .Lfunc_end141-_ZN9rocsparseL19gebsrmvn_3xn_kernelILj128ELj8ELj4E21rocsparse_complex_numIdEEEvi20rocsparse_direction_NS_24const_host_device_scalarIT2_EEPKiS8_PKS5_SA_S6_PS5_21rocsparse_index_base_b
                                        ; -- End function
	.section	.AMDGPU.csdata,"",@progbits
; Kernel info:
; codeLenInByte = 3380
; NumSgprs: 26
; NumVgprs: 92
; NumAgprs: 0
; TotalNumVgprs: 92
; ScratchSize: 0
; MemoryBound: 0
; FloatMode: 240
; IeeeMode: 1
; LDSByteSize: 2048 bytes/workgroup (compile time only)
; SGPRBlocks: 3
; VGPRBlocks: 11
; NumSGPRsForWavesPerEU: 26
; NumVGPRsForWavesPerEU: 92
; AccumOffset: 92
; Occupancy: 5
; WaveLimiterHint : 1
; COMPUTE_PGM_RSRC2:SCRATCH_EN: 0
; COMPUTE_PGM_RSRC2:USER_SGPR: 4
; COMPUTE_PGM_RSRC2:TRAP_HANDLER: 0
; COMPUTE_PGM_RSRC2:TGID_X_EN: 1
; COMPUTE_PGM_RSRC2:TGID_Y_EN: 0
; COMPUTE_PGM_RSRC2:TGID_Z_EN: 0
; COMPUTE_PGM_RSRC2:TIDIG_COMP_CNT: 2
; COMPUTE_PGM_RSRC3_GFX90A:ACCUM_OFFSET: 22
; COMPUTE_PGM_RSRC3_GFX90A:TG_SPLIT: 0
	.section	.text._ZN9rocsparseL19gebsrmvn_3xn_kernelILj128ELj8ELj8E21rocsparse_complex_numIdEEEvi20rocsparse_direction_NS_24const_host_device_scalarIT2_EEPKiS8_PKS5_SA_S6_PS5_21rocsparse_index_base_b,"axG",@progbits,_ZN9rocsparseL19gebsrmvn_3xn_kernelILj128ELj8ELj8E21rocsparse_complex_numIdEEEvi20rocsparse_direction_NS_24const_host_device_scalarIT2_EEPKiS8_PKS5_SA_S6_PS5_21rocsparse_index_base_b,comdat
	.globl	_ZN9rocsparseL19gebsrmvn_3xn_kernelILj128ELj8ELj8E21rocsparse_complex_numIdEEEvi20rocsparse_direction_NS_24const_host_device_scalarIT2_EEPKiS8_PKS5_SA_S6_PS5_21rocsparse_index_base_b ; -- Begin function _ZN9rocsparseL19gebsrmvn_3xn_kernelILj128ELj8ELj8E21rocsparse_complex_numIdEEEvi20rocsparse_direction_NS_24const_host_device_scalarIT2_EEPKiS8_PKS5_SA_S6_PS5_21rocsparse_index_base_b
	.p2align	8
	.type	_ZN9rocsparseL19gebsrmvn_3xn_kernelILj128ELj8ELj8E21rocsparse_complex_numIdEEEvi20rocsparse_direction_NS_24const_host_device_scalarIT2_EEPKiS8_PKS5_SA_S6_PS5_21rocsparse_index_base_b,@function
_ZN9rocsparseL19gebsrmvn_3xn_kernelILj128ELj8ELj8E21rocsparse_complex_numIdEEEvi20rocsparse_direction_NS_24const_host_device_scalarIT2_EEPKiS8_PKS5_SA_S6_PS5_21rocsparse_index_base_b: ; @_ZN9rocsparseL19gebsrmvn_3xn_kernelILj128ELj8ELj8E21rocsparse_complex_numIdEEEvi20rocsparse_direction_NS_24const_host_device_scalarIT2_EEPKiS8_PKS5_SA_S6_PS5_21rocsparse_index_base_b
; %bb.0:
	s_load_dwordx2 s[16:17], s[2:3], 0x50
	s_load_dwordx4 s[12:15], s[2:3], 0x8
	s_load_dwordx4 s[8:11], s[2:3], 0x38
	s_load_dwordx2 s[18:19], s[0:1], 0x4
	s_mov_b64 s[6:7], src_shared_base
	s_waitcnt lgkmcnt(0)
	s_bitcmp1_b32 s17, 0
	s_cselect_b64 s[0:1], -1, 0
	s_and_b64 vcc, s[0:1], exec
	s_cselect_b32 s5, s7, s13
	s_lshr_b32 s6, s18, 16
	v_bfe_u32 v2, v0, 10, 10
	v_and_b32_e32 v1, 0x3ff, v0
	s_mul_i32 s6, s6, s19
	v_mul_u32_u24_e32 v2, s19, v2
	v_mad_u32_u24 v2, s6, v1, v2
	v_bfe_u32 v0, v0, 20, 10
	v_add_lshl_u32 v0, v2, v0, 3
	v_mov_b32_e32 v6, s12
	v_add_u32_e32 v7, 0x400, v0
	v_mov_b64_e32 v[2:3], s[12:13]
	v_mov_b64_e32 v[4:5], s[8:9]
	ds_write2st64_b64 v0, v[4:5], v[2:3] offset1:2
	v_cndmask_b32_e64 v2, v6, v7, s[0:1]
	v_mov_b32_e32 v3, s5
	flat_load_dwordx2 v[4:5], v[2:3]
	s_xor_b64 s[18:19], s[0:1], -1
	v_mov_b64_e32 v[6:7], s[14:15]
	s_cbranch_vccnz .LBB142_2
; %bb.1:
	v_mov_b64_e32 v[2:3], s[12:13]
	flat_load_dwordx2 v[6:7], v[2:3] offset:8
.LBB142_2:
	s_and_b64 s[12:13], s[0:1], exec
	s_cselect_b32 s5, s7, s9
	v_mov_b32_e32 v2, s8
	v_cndmask_b32_e64 v2, v2, v0, s[0:1]
	v_mov_b32_e32 v3, s5
	flat_load_dwordx2 v[8:9], v[2:3]
	s_andn2_b64 vcc, exec, s[18:19]
	v_mov_b64_e32 v[10:11], s[10:11]
	s_cbranch_vccnz .LBB142_4
; %bb.3:
	v_mov_b64_e32 v[2:3], s[8:9]
	flat_load_dwordx2 v[10:11], v[2:3] offset:8
.LBB142_4:
	s_waitcnt vmcnt(0) lgkmcnt(0)
	v_cmp_eq_f64_e32 vcc, 0, v[4:5]
	v_cmp_eq_f64_e64 s[0:1], 0, v[6:7]
	s_and_b64 s[8:9], vcc, s[0:1]
	s_mov_b64 s[0:1], -1
	s_and_saveexec_b64 s[6:7], s[8:9]
; %bb.5:
	v_cmp_neq_f64_e32 vcc, 1.0, v[8:9]
	v_cmp_neq_f64_e64 s[0:1], 0, v[10:11]
	s_or_b64 s[0:1], vcc, s[0:1]
	s_orn2_b64 s[0:1], s[0:1], exec
; %bb.6:
	s_or_b64 exec, exec, s[6:7]
	s_and_saveexec_b64 s[6:7], s[0:1]
	s_cbranch_execz .LBB142_25
; %bb.7:
	s_load_dwordx2 s[0:1], s[2:3], 0x0
	v_lshrrev_b32_e32 v0, 3, v1
	v_lshl_or_b32 v12, s4, 4, v0
	s_waitcnt lgkmcnt(0)
	v_cmp_gt_i32_e32 vcc, s0, v12
	s_and_b64 exec, exec, vcc
	s_cbranch_execz .LBB142_25
; %bb.8:
	s_load_dwordx8 s[4:11], s[2:3], 0x18
	v_ashrrev_i32_e32 v13, 31, v12
	s_cmp_lg_u32 s1, 0
	s_waitcnt lgkmcnt(0)
	v_lshl_add_u64 v[2:3], v[12:13], 2, s[4:5]
	global_load_dwordx2 v[2:3], v[2:3], off
	v_and_b32_e32 v13, 7, v1
	s_waitcnt vmcnt(0)
	v_subrev_u32_e32 v0, s16, v2
	v_subrev_u32_e32 v36, s16, v3
	v_add_u32_e32 v20, v0, v13
	v_cmp_lt_i32_e64 s[0:1], v20, v36
	s_cbranch_scc0 .LBB142_14
; %bb.9:
	v_mov_b64_e32 v[16:17], 0
	s_mov_b64 s[4:5], 0
	v_mov_b64_e32 v[26:27], v[16:17]
	v_mov_b64_e32 v[22:23], v[16:17]
	;; [unrolled: 1-line block ×5, first 2 shown]
	s_and_saveexec_b64 s[12:13], s[0:1]
	s_cbranch_execz .LBB142_13
; %bb.10:
	v_mad_u64_u32 v[28:29], s[14:15], v20, 24, 23
	v_mov_b64_e32 v[16:17], 0
	s_mov_b64 s[14:15], 0
	v_mov_b32_e32 v31, 0
	v_mov_b32_e32 v32, v20
	v_mov_b64_e32 v[26:27], v[16:17]
	v_mov_b64_e32 v[22:23], v[16:17]
	;; [unrolled: 1-line block ×5, first 2 shown]
.LBB142_11:                             ; =>This Inner Loop Header: Depth=1
	v_ashrrev_i32_e32 v33, 31, v32
	v_subrev_u32_e32 v30, 23, v28
	v_lshl_add_u64 v[0:1], v[32:33], 2, s[6:7]
	v_lshl_add_u64 v[2:3], v[30:31], 4, s[8:9]
	global_load_dword v21, v[0:1], off
	global_load_dwordx4 v[38:41], v[2:3], off offset:48
	global_load_dwordx4 v[42:45], v[2:3], off offset:32
	;; [unrolled: 1-line block ×3, first 2 shown]
	global_load_dwordx4 v[50:53], v[2:3], off
	global_load_dwordx4 v[54:57], v[2:3], off offset:112
	global_load_dwordx4 v[58:61], v[2:3], off offset:96
	;; [unrolled: 1-line block ×4, first 2 shown]
	v_add_u32_e32 v30, -15, v28
	v_mov_b32_e32 v35, v31
	v_mov_b32_e32 v29, v31
	v_lshl_add_u64 v[78:79], v[30:31], 4, s[8:9]
	v_add_u32_e32 v30, -14, v28
	v_lshl_add_u64 v[70:71], v[28:29], 4, s[8:9]
	v_lshl_add_u64 v[80:81], v[30:31], 4, s[8:9]
	global_load_dwordx4 v[0:3], v[70:71], off
	s_nop 0
	global_load_dwordx4 v[70:73], v[78:79], off
	global_load_dwordx4 v[74:77], v[80:81], off
	v_add_u32_e32 v30, -13, v28
	v_lshl_add_u64 v[86:87], v[30:31], 4, s[8:9]
	v_add_u32_e32 v30, -12, v28
	v_add_u32_e32 v32, 8, v32
	v_cmp_ge_i32_e32 vcc, v32, v36
	s_or_b64 s[14:15], vcc, s[14:15]
	s_waitcnt vmcnt(11)
	v_subrev_u32_e32 v21, s16, v21
	v_lshlrev_b32_e32 v34, 3, v21
	v_lshl_add_u64 v[34:35], v[34:35], 4, s[10:11]
	global_load_dwordx4 v[78:81], v[34:35], off
	global_load_dwordx4 v[82:85], v[34:35], off offset:16
	s_waitcnt vmcnt(1)
	v_fmac_f64_e32 v[26:27], v[50:51], v[78:79]
	v_fma_f64 v[88:89], -v[52:53], v[80:81], v[26:27]
	v_lshl_add_u64 v[26:27], v[30:31], 4, s[8:9]
	v_add_u32_e32 v30, -11, v28
	v_lshl_add_u64 v[90:91], v[30:31], 4, s[8:9]
	v_add_u32_e32 v30, -10, v28
	v_fmac_f64_e32 v[16:17], v[52:53], v[78:79]
	v_fmac_f64_e32 v[24:25], v[46:47], v[78:79]
	;; [unrolled: 1-line block ×5, first 2 shown]
	v_lshl_add_u64 v[78:79], v[30:31], 4, s[8:9]
	v_add_u32_e32 v30, -9, v28
	v_fmac_f64_e32 v[16:17], v[50:51], v[80:81]
	global_load_dwordx4 v[50:53], v[86:87], off
	v_fma_f64 v[86:87], -v[48:49], v[80:81], v[24:25]
	v_fmac_f64_e32 v[18:19], v[46:47], v[80:81]
	global_load_dwordx4 v[24:27], v[26:27], off
	v_fma_f64 v[22:23], -v[44:45], v[80:81], v[22:23]
	v_fmac_f64_e32 v[14:15], v[42:43], v[80:81]
	global_load_dwordx4 v[42:45], v[90:91], off
	global_load_dwordx4 v[46:49], v[78:79], off
	v_lshl_add_u64 v[78:79], v[30:31], 4, s[8:9]
	v_add_u32_e32 v30, -8, v28
	s_waitcnt vmcnt(4)
	v_fmac_f64_e32 v[88:89], v[38:39], v[82:83]
	v_fmac_f64_e32 v[16:17], v[40:41], v[82:83]
	v_lshl_add_u64 v[80:81], v[30:31], 4, s[8:9]
	v_fmac_f64_e32 v[86:87], v[66:67], v[82:83]
	v_fmac_f64_e32 v[18:19], v[68:69], v[82:83]
	;; [unrolled: 1-line block ×4, first 2 shown]
	v_fma_f64 v[88:89], -v[40:41], v[84:85], v[88:89]
	v_fmac_f64_e32 v[16:17], v[38:39], v[84:85]
	global_load_dwordx4 v[38:41], v[78:79], off
	v_fma_f64 v[86:87], -v[68:69], v[84:85], v[86:87]
	v_fmac_f64_e32 v[18:19], v[66:67], v[84:85]
	global_load_dwordx4 v[66:69], v[80:81], off
	v_fma_f64 v[22:23], -v[64:65], v[84:85], v[22:23]
	v_fmac_f64_e32 v[14:15], v[62:63], v[84:85]
	global_load_dwordx4 v[62:65], v[34:35], off offset:32
	global_load_dwordx4 v[78:81], v[34:35], off offset:48
	v_add_u32_e32 v30, -7, v28
	v_lshl_add_u64 v[90:91], v[30:31], 4, s[8:9]
	v_add_u32_e32 v30, -6, v28
	v_lshl_add_u64 v[84:85], v[30:31], 4, s[8:9]
	v_add_u32_e32 v30, -5, v28
	s_waitcnt vmcnt(1)
	v_fmac_f64_e32 v[88:89], v[58:59], v[62:63]
	v_fmac_f64_e32 v[16:17], v[60:61], v[62:63]
	v_fmac_f64_e32 v[86:87], v[54:55], v[62:63]
	v_fmac_f64_e32 v[18:19], v[56:57], v[62:63]
	v_fma_f64 v[82:83], -v[60:61], v[64:65], v[88:89]
	v_fmac_f64_e32 v[16:17], v[58:59], v[64:65]
	global_load_dwordx4 v[58:61], v[90:91], off
	v_fma_f64 v[86:87], -v[56:57], v[64:65], v[86:87]
	v_fmac_f64_e32 v[18:19], v[54:55], v[64:65]
	global_load_dwordx4 v[54:57], v[84:85], off
	v_lshl_add_u64 v[84:85], v[30:31], 4, s[8:9]
	v_add_u32_e32 v30, -4, v28
	v_fmac_f64_e32 v[22:23], v[70:71], v[62:63]
	v_fmac_f64_e32 v[14:15], v[72:73], v[62:63]
	v_lshl_add_u64 v[88:89], v[30:31], 4, s[8:9]
	v_add_u32_e32 v30, -3, v28
	v_fma_f64 v[22:23], -v[72:73], v[64:65], v[22:23]
	v_fmac_f64_e32 v[14:15], v[70:71], v[64:65]
	global_load_dwordx4 v[62:65], v[84:85], off
	global_load_dwordx4 v[70:73], v[88:89], off
	v_lshl_add_u64 v[84:85], v[30:31], 4, s[8:9]
	v_add_u32_e32 v30, -2, v28
	s_waitcnt vmcnt(4)
	v_fmac_f64_e32 v[82:83], v[74:75], v[78:79]
	v_fmac_f64_e32 v[16:17], v[76:77], v[78:79]
	v_lshl_add_u64 v[88:89], v[30:31], 4, s[8:9]
	v_fmac_f64_e32 v[86:87], v[50:51], v[78:79]
	v_fmac_f64_e32 v[18:19], v[52:53], v[78:79]
	;; [unrolled: 1-line block ×4, first 2 shown]
	v_fma_f64 v[82:83], -v[76:77], v[80:81], v[82:83]
	v_fmac_f64_e32 v[16:17], v[74:75], v[80:81]
	global_load_dwordx4 v[74:77], v[84:85], off
	v_fma_f64 v[84:85], -v[52:53], v[80:81], v[86:87]
	v_fmac_f64_e32 v[18:19], v[50:51], v[80:81]
	global_load_dwordx4 v[50:53], v[88:89], off
	v_fma_f64 v[26:27], -v[26:27], v[80:81], v[22:23]
	v_fmac_f64_e32 v[14:15], v[24:25], v[80:81]
	global_load_dwordx4 v[22:25], v[34:35], off offset:64
	global_load_dwordx4 v[78:81], v[34:35], off offset:80
	v_add_u32_e32 v30, -1, v28
	v_lshl_add_u64 v[86:87], v[30:31], 4, s[8:9]
	v_add_u32_e32 v28, 0xc0, v28
	s_waitcnt vmcnt(1)
	v_fmac_f64_e32 v[82:83], v[42:43], v[22:23]
	v_fmac_f64_e32 v[16:17], v[44:45], v[22:23]
	;; [unrolled: 1-line block ×4, first 2 shown]
	v_fma_f64 v[88:89], -v[44:45], v[24:25], v[82:83]
	v_fmac_f64_e32 v[16:17], v[42:43], v[24:25]
	global_load_dwordx4 v[42:45], v[86:87], off
	v_fma_f64 v[86:87], -v[48:49], v[24:25], v[84:85]
	v_fmac_f64_e32 v[18:19], v[46:47], v[24:25]
	global_load_dwordx4 v[46:49], v[34:35], off offset:96
	global_load_dwordx4 v[82:85], v[34:35], off offset:112
	v_fmac_f64_e32 v[26:27], v[38:39], v[22:23]
	v_fmac_f64_e32 v[14:15], v[40:41], v[22:23]
	v_fma_f64 v[22:23], -v[40:41], v[24:25], v[26:27]
	v_fmac_f64_e32 v[14:15], v[38:39], v[24:25]
	s_waitcnt vmcnt(3)
	v_fmac_f64_e32 v[88:89], v[66:67], v[78:79]
	v_fmac_f64_e32 v[16:17], v[68:69], v[78:79]
	v_fmac_f64_e32 v[86:87], v[58:59], v[78:79]
	v_fmac_f64_e32 v[18:19], v[60:61], v[78:79]
	v_fmac_f64_e32 v[22:23], v[54:55], v[78:79]
	v_fmac_f64_e32 v[14:15], v[56:57], v[78:79]
	v_fma_f64 v[24:25], -v[68:69], v[80:81], v[88:89]
	v_fmac_f64_e32 v[16:17], v[66:67], v[80:81]
	v_fma_f64 v[26:27], -v[60:61], v[80:81], v[86:87]
	v_fmac_f64_e32 v[18:19], v[58:59], v[80:81]
	v_fma_f64 v[22:23], -v[56:57], v[80:81], v[22:23]
	v_fmac_f64_e32 v[14:15], v[54:55], v[80:81]
	s_waitcnt vmcnt(1)
	v_fmac_f64_e32 v[24:25], v[62:63], v[46:47]
	v_fmac_f64_e32 v[16:17], v[64:65], v[46:47]
	v_fmac_f64_e32 v[26:27], v[70:71], v[46:47]
	v_fmac_f64_e32 v[18:19], v[72:73], v[46:47]
	v_fmac_f64_e32 v[22:23], v[74:75], v[46:47]
	v_fmac_f64_e32 v[14:15], v[76:77], v[46:47]
	v_fma_f64 v[24:25], -v[64:65], v[48:49], v[24:25]
	v_fmac_f64_e32 v[16:17], v[62:63], v[48:49]
	v_fma_f64 v[34:35], -v[72:73], v[48:49], v[26:27]
	;; [unrolled: 13-line block ×3, first 2 shown]
	v_fmac_f64_e32 v[18:19], v[42:43], v[84:85]
	v_fma_f64 v[22:23], -v[2:3], v[84:85], v[22:23]
	v_fmac_f64_e32 v[14:15], v[0:1], v[84:85]
	s_andn2_b64 exec, exec, s[14:15]
	s_cbranch_execnz .LBB142_11
; %bb.12:
	s_or_b64 exec, exec, s[14:15]
.LBB142_13:
	s_or_b64 exec, exec, s[12:13]
	s_andn2_b64 vcc, exec, s[4:5]
	s_cbranch_vccz .LBB142_15
	s_branch .LBB142_20
.LBB142_14:
                                        ; implicit-def: $vgpr16_vgpr17
                                        ; implicit-def: $vgpr26_vgpr27
                                        ; implicit-def: $vgpr22_vgpr23
                                        ; implicit-def: $vgpr14_vgpr15
                                        ; implicit-def: $vgpr24_vgpr25
                                        ; implicit-def: $vgpr18_vgpr19
.LBB142_15:
	v_mov_b64_e32 v[16:17], 0
	v_mov_b64_e32 v[26:27], v[16:17]
	;; [unrolled: 1-line block ×6, first 2 shown]
	s_and_saveexec_b64 s[4:5], s[0:1]
	s_cbranch_execz .LBB142_19
; %bb.16:
	v_mad_u64_u32 v[28:29], s[0:1], v20, 24, 23
	v_mov_b64_e32 v[16:17], 0
	s_mov_b64 s[0:1], 0
	v_mov_b32_e32 v31, 0
	v_mov_b64_e32 v[26:27], v[16:17]
	v_mov_b64_e32 v[22:23], v[16:17]
	;; [unrolled: 1-line block ×5, first 2 shown]
.LBB142_17:                             ; =>This Inner Loop Header: Depth=1
	v_ashrrev_i32_e32 v21, 31, v20
	v_subrev_u32_e32 v30, 23, v28
	v_add_u32_e32 v2, -15, v28
	v_add_u32_e32 v0, -7, v28
	v_mov_b32_e32 v3, v31
	v_mov_b32_e32 v1, v31
	v_lshl_add_u64 v[34:35], v[20:21], 2, s[6:7]
	v_lshl_add_u64 v[70:71], v[30:31], 4, s[8:9]
	;; [unrolled: 1-line block ×4, first 2 shown]
	global_load_dword v21, v[34:35], off
	global_load_dwordx4 v[38:41], v[70:71], off offset:48
	global_load_dwordx4 v[42:45], v[70:71], off offset:32
	;; [unrolled: 1-line block ×3, first 2 shown]
	global_load_dwordx4 v[50:53], v[70:71], off
	global_load_dwordx4 v[54:57], v[2:3], off
	;; [unrolled: 1-line block ×3, first 2 shown]
	v_mov_b32_e32 v33, v31
	global_load_dwordx4 v[0:3], v[70:71], off offset:112
	global_load_dwordx4 v[62:65], v[70:71], off offset:96
	v_add_u32_e32 v30, -14, v28
	v_lshl_add_u64 v[72:73], v[30:31], 4, s[8:9]
	v_add_u32_e32 v30, -6, v28
	v_mov_b32_e32 v29, v31
	v_lshl_add_u64 v[74:75], v[28:29], 4, s[8:9]
	v_add_u32_e32 v20, 8, v20
	v_cmp_ge_i32_e32 vcc, v20, v36
	s_or_b64 s[0:1], vcc, s[0:1]
	s_waitcnt vmcnt(8)
	v_subrev_u32_e32 v21, s16, v21
	v_lshlrev_b32_e32 v32, 3, v21
	v_lshl_add_u64 v[76:77], v[32:33], 4, s[10:11]
	global_load_dwordx4 v[32:35], v[76:77], off
	global_load_dwordx4 v[66:69], v[76:77], off offset:16
	s_waitcnt vmcnt(1)
	v_fmac_f64_e32 v[26:27], v[50:51], v[32:33]
	v_fmac_f64_e32 v[16:17], v[52:53], v[32:33]
	;; [unrolled: 1-line block ×4, first 2 shown]
	v_fma_f64 v[78:79], -v[52:53], v[34:35], v[26:27]
	v_fmac_f64_e32 v[16:17], v[50:51], v[34:35]
	global_load_dwordx4 v[50:53], v[70:71], off offset:80
	v_fma_f64 v[80:81], -v[56:57], v[34:35], v[24:25]
	v_fmac_f64_e32 v[18:19], v[54:55], v[34:35]
	global_load_dwordx4 v[24:27], v[70:71], off offset:64
	global_load_dwordx4 v[54:57], v[72:73], off
	v_fmac_f64_e32 v[22:23], v[58:59], v[32:33]
	v_fmac_f64_e32 v[14:15], v[60:61], v[32:33]
	v_lshl_add_u64 v[32:33], v[30:31], 4, s[8:9]
	v_fma_f64 v[22:23], -v[60:61], v[34:35], v[22:23]
	v_fmac_f64_e32 v[14:15], v[58:59], v[34:35]
	global_load_dwordx4 v[32:35], v[32:33], off
	v_add_u32_e32 v30, -13, v28
	v_lshl_add_u64 v[70:71], v[30:31], 4, s[8:9]
	v_add_u32_e32 v30, -5, v28
	v_lshl_add_u64 v[72:73], v[30:31], 4, s[8:9]
	v_add_u32_e32 v30, -12, v28
	s_waitcnt vmcnt(4)
	v_fmac_f64_e32 v[78:79], v[46:47], v[66:67]
	v_fmac_f64_e32 v[16:17], v[48:49], v[66:67]
	v_fma_f64 v[78:79], -v[48:49], v[68:69], v[78:79]
	v_fmac_f64_e32 v[16:17], v[46:47], v[68:69]
	global_load_dwordx4 v[46:49], v[70:71], off
	global_load_dwordx4 v[58:61], v[72:73], off
	s_waitcnt vmcnt(3)
	v_fmac_f64_e32 v[18:19], v[56:57], v[66:67]
	v_fmac_f64_e32 v[80:81], v[54:55], v[66:67]
	;; [unrolled: 1-line block ×3, first 2 shown]
	v_lshl_add_u64 v[54:55], v[30:31], 4, s[8:9]
	v_fma_f64 v[70:71], -v[56:57], v[68:69], v[80:81]
	global_load_dwordx4 v[54:57], v[54:55], off
	s_waitcnt vmcnt(3)
	v_fmac_f64_e32 v[22:23], v[32:33], v[66:67]
	v_fmac_f64_e32 v[14:15], v[34:35], v[66:67]
	v_fma_f64 v[22:23], -v[34:35], v[68:69], v[22:23]
	v_fmac_f64_e32 v[14:15], v[32:33], v[68:69]
	global_load_dwordx4 v[32:35], v[76:77], off offset:32
	global_load_dwordx4 v[66:69], v[76:77], off offset:48
	v_add_u32_e32 v30, -4, v28
	s_waitcnt vmcnt(1)
	v_fmac_f64_e32 v[16:17], v[44:45], v[32:33]
	v_fmac_f64_e32 v[78:79], v[42:43], v[32:33]
	;; [unrolled: 1-line block ×3, first 2 shown]
	v_lshl_add_u64 v[42:43], v[30:31], 4, s[8:9]
	v_fma_f64 v[72:73], -v[44:45], v[34:35], v[78:79]
	global_load_dwordx4 v[42:45], v[42:43], off
	v_add_u32_e32 v30, -11, v28
	v_fmac_f64_e32 v[70:71], v[46:47], v[32:33]
	v_fmac_f64_e32 v[18:19], v[48:49], v[32:33]
	v_lshl_add_u64 v[78:79], v[30:31], 4, s[8:9]
	v_add_u32_e32 v30, -3, v28
	v_fmac_f64_e32 v[22:23], v[58:59], v[32:33]
	v_fmac_f64_e32 v[14:15], v[60:61], v[32:33]
	v_fma_f64 v[70:71], -v[48:49], v[34:35], v[70:71]
	v_fmac_f64_e32 v[18:19], v[46:47], v[34:35]
	v_lshl_add_u64 v[80:81], v[30:31], 4, s[8:9]
	v_add_u32_e32 v30, -10, v28
	v_fma_f64 v[22:23], -v[60:61], v[34:35], v[22:23]
	v_fmac_f64_e32 v[14:15], v[58:59], v[34:35]
	global_load_dwordx4 v[32:35], v[78:79], off
	global_load_dwordx4 v[46:49], v[80:81], off
	v_lshl_add_u64 v[78:79], v[30:31], 4, s[8:9]
	v_add_u32_e32 v30, -2, v28
	s_waitcnt vmcnt(3)
	v_fmac_f64_e32 v[72:73], v[38:39], v[66:67]
	v_fmac_f64_e32 v[16:17], v[40:41], v[66:67]
	;; [unrolled: 1-line block ×4, first 2 shown]
	v_lshl_add_u64 v[80:81], v[30:31], 4, s[8:9]
	v_fma_f64 v[72:73], -v[40:41], v[68:69], v[72:73]
	v_fmac_f64_e32 v[16:17], v[38:39], v[68:69]
	global_load_dwordx4 v[38:41], v[78:79], off
	global_load_dwordx4 v[58:61], v[80:81], off
	v_fma_f64 v[70:71], -v[56:57], v[68:69], v[70:71]
	v_fmac_f64_e32 v[18:19], v[54:55], v[68:69]
	v_add_u32_e32 v30, -9, v28
	v_lshl_add_u64 v[78:79], v[30:31], 4, s[8:9]
	v_add_u32_e32 v30, -1, v28
	v_lshl_add_u64 v[80:81], v[30:31], 4, s[8:9]
	v_add_u32_e32 v30, -8, v28
	v_add_u32_e32 v28, 0xc0, v28
	s_waitcnt vmcnt(4)
	v_fmac_f64_e32 v[22:23], v[42:43], v[66:67]
	v_fmac_f64_e32 v[14:15], v[44:45], v[66:67]
	v_fma_f64 v[82:83], -v[44:45], v[68:69], v[22:23]
	v_fmac_f64_e32 v[14:15], v[42:43], v[68:69]
	global_load_dwordx4 v[42:45], v[76:77], off offset:64
	global_load_dwordx4 v[54:57], v[76:77], off offset:80
	s_waitcnt vmcnt(1)
	v_fmac_f64_e32 v[16:17], v[26:27], v[42:43]
	v_fmac_f64_e32 v[18:19], v[34:35], v[42:43]
	;; [unrolled: 1-line block ×4, first 2 shown]
	global_load_dwordx4 v[22:25], v[78:79], off
	global_load_dwordx4 v[66:69], v[80:81], off
	v_fmac_f64_e32 v[70:71], v[32:33], v[42:43]
	v_fmac_f64_e32 v[18:19], v[32:33], v[44:45]
	v_lshl_add_u64 v[32:33], v[30:31], 4, s[8:9]
	v_fmac_f64_e32 v[82:83], v[46:47], v[42:43]
	v_fmac_f64_e32 v[14:15], v[48:49], v[42:43]
	v_fma_f64 v[26:27], -v[26:27], v[44:45], v[72:73]
	v_fma_f64 v[78:79], -v[34:35], v[44:45], v[70:71]
	global_load_dwordx4 v[32:35], v[32:33], off
	v_fma_f64 v[80:81], -v[48:49], v[44:45], v[82:83]
	v_fmac_f64_e32 v[14:15], v[46:47], v[44:45]
	global_load_dwordx4 v[42:45], v[74:75], off
	global_load_dwordx4 v[46:49], v[76:77], off offset:96
	global_load_dwordx4 v[70:73], v[76:77], off offset:112
	s_waitcnt vmcnt(6)
	v_fmac_f64_e32 v[26:27], v[50:51], v[54:55]
	v_fmac_f64_e32 v[16:17], v[52:53], v[54:55]
	v_fmac_f64_e32 v[78:79], v[38:39], v[54:55]
	v_fmac_f64_e32 v[18:19], v[40:41], v[54:55]
	v_fmac_f64_e32 v[80:81], v[58:59], v[54:55]
	v_fmac_f64_e32 v[14:15], v[60:61], v[54:55]
	v_fma_f64 v[26:27], -v[52:53], v[56:57], v[26:27]
	v_fmac_f64_e32 v[16:17], v[50:51], v[56:57]
	v_fma_f64 v[40:41], -v[40:41], v[56:57], v[78:79]
	v_fmac_f64_e32 v[18:19], v[38:39], v[56:57]
	v_fma_f64 v[38:39], -v[60:61], v[56:57], v[80:81]
	v_fmac_f64_e32 v[14:15], v[58:59], v[56:57]
	s_waitcnt vmcnt(1)
	v_fmac_f64_e32 v[26:27], v[62:63], v[46:47]
	v_fmac_f64_e32 v[16:17], v[64:65], v[46:47]
	v_fmac_f64_e32 v[40:41], v[22:23], v[46:47]
	v_fmac_f64_e32 v[18:19], v[24:25], v[46:47]
	v_fmac_f64_e32 v[38:39], v[66:67], v[46:47]
	v_fmac_f64_e32 v[14:15], v[68:69], v[46:47]
	v_fma_f64 v[26:27], -v[64:65], v[48:49], v[26:27]
	v_fmac_f64_e32 v[16:17], v[62:63], v[48:49]
	v_fma_f64 v[24:25], -v[24:25], v[48:49], v[40:41]
	v_fmac_f64_e32 v[18:19], v[22:23], v[48:49]
	v_fma_f64 v[22:23], -v[68:69], v[48:49], v[38:39]
	v_fmac_f64_e32 v[14:15], v[66:67], v[48:49]
	;; [unrolled: 13-line block ×3, first 2 shown]
	s_andn2_b64 exec, exec, s[0:1]
	s_cbranch_execnz .LBB142_17
; %bb.18:
	s_or_b64 exec, exec, s[0:1]
.LBB142_19:
	s_or_b64 exec, exec, s[4:5]
.LBB142_20:
	v_mov_b32_dpp v20, v16 row_shr:1 row_mask:0xf bank_mask:0xf
	v_mov_b32_dpp v21, v17 row_shr:1 row_mask:0xf bank_mask:0xf
	v_add_f64 v[16:17], v[16:17], v[20:21]
	v_mov_b32_dpp v0, v26 row_shr:1 row_mask:0xf bank_mask:0xf
	v_mov_b32_dpp v1, v27 row_shr:1 row_mask:0xf bank_mask:0xf
	;; [unrolled: 1-line block ×4, first 2 shown]
	v_add_f64 v[20:21], v[16:17], v[20:21]
	v_mov_b32_dpp v16, v24 row_shr:1 row_mask:0xf bank_mask:0xf
	v_mov_b32_dpp v17, v25 row_shr:1 row_mask:0xf bank_mask:0xf
	v_add_f64 v[16:17], v[24:25], v[16:17]
	v_add_f64 v[0:1], v[26:27], v[0:1]
	v_mov_b32_dpp v26, v20 row_shr:4 row_mask:0xf bank_mask:0xe
	v_mov_b32_dpp v24, v16 row_shr:2 row_mask:0xf bank_mask:0xf
	;; [unrolled: 1-line block ×3, first 2 shown]
	v_add_f64 v[24:25], v[16:17], v[24:25]
	v_mov_b32_dpp v16, v18 row_shr:1 row_mask:0xf bank_mask:0xf
	v_mov_b32_dpp v17, v19 row_shr:1 row_mask:0xf bank_mask:0xf
	v_add_f64 v[16:17], v[18:19], v[16:17]
	v_mov_b32_dpp v2, v0 row_shr:2 row_mask:0xf bank_mask:0xf
	v_mov_b32_dpp v3, v1 row_shr:2 row_mask:0xf bank_mask:0xf
	v_mov_b32_dpp v18, v16 row_shr:2 row_mask:0xf bank_mask:0xf
	v_mov_b32_dpp v19, v17 row_shr:2 row_mask:0xf bank_mask:0xf
	v_add_f64 v[18:19], v[16:17], v[18:19]
	v_mov_b32_dpp v16, v22 row_shr:1 row_mask:0xf bank_mask:0xf
	v_mov_b32_dpp v17, v23 row_shr:1 row_mask:0xf bank_mask:0xf
	v_add_f64 v[16:17], v[22:23], v[16:17]
	v_add_f64 v[0:1], v[0:1], v[2:3]
	v_mov_b32_dpp v27, v21 row_shr:4 row_mask:0xf bank_mask:0xe
	v_mov_b32_dpp v22, v16 row_shr:2 row_mask:0xf bank_mask:0xf
	;; [unrolled: 1-line block ×3, first 2 shown]
	v_add_f64 v[22:23], v[16:17], v[22:23]
	v_mov_b32_dpp v16, v14 row_shr:1 row_mask:0xf bank_mask:0xf
	v_mov_b32_dpp v17, v15 row_shr:1 row_mask:0xf bank_mask:0xf
	v_add_f64 v[14:15], v[14:15], v[16:17]
	v_mov_b32_dpp v2, v0 row_shr:4 row_mask:0xf bank_mask:0xe
	v_mov_b32_dpp v3, v1 row_shr:4 row_mask:0xf bank_mask:0xe
	;; [unrolled: 1-line block ×4, first 2 shown]
	v_add_f64 v[14:15], v[14:15], v[16:17]
	v_mov_b32_dpp v28, v24 row_shr:4 row_mask:0xf bank_mask:0xe
	v_mov_b32_dpp v29, v25 row_shr:4 row_mask:0xf bank_mask:0xe
	;; [unrolled: 1-line block ×8, first 2 shown]
	v_cmp_eq_u32_e32 vcc, 7, v13
	s_and_b64 exec, exec, vcc
	s_cbranch_execz .LBB142_25
; %bb.21:
	s_load_dwordx2 s[2:3], s[2:3], 0x48
	v_cmp_eq_f64_e32 vcc, 0, v[8:9]
	v_cmp_eq_f64_e64 s[0:1], 0, v[10:11]
	v_add_f64 v[16:17], v[0:1], v[2:3]
	v_add_f64 v[20:21], v[20:21], v[26:27]
	;; [unrolled: 1-line block ×6, first 2 shown]
	s_and_b64 s[0:1], vcc, s[0:1]
	s_and_saveexec_b64 s[4:5], s[0:1]
	s_xor_b64 s[0:1], exec, s[4:5]
	s_cbranch_execz .LBB142_23
; %bb.22:
	v_lshl_add_u32 v12, v12, 1, v12
	v_mul_f64 v[8:9], v[20:21], -v[6:7]
	v_mul_f64 v[10:11], v[4:5], v[20:21]
	v_ashrrev_i32_e32 v13, 31, v12
	v_fmac_f64_e32 v[8:9], v[4:5], v[16:17]
	v_fmac_f64_e32 v[10:11], v[6:7], v[16:17]
	s_waitcnt lgkmcnt(0)
	v_lshl_add_u64 v[12:13], v[12:13], 4, s[2:3]
	global_store_dwordx4 v[12:13], v[8:11], off
                                        ; implicit-def: $vgpr16_vgpr17
                                        ; implicit-def: $vgpr20_vgpr21
	s_nop 1
	v_mul_f64 v[8:9], v[18:19], -v[6:7]
	v_mul_f64 v[10:11], v[4:5], v[18:19]
	v_fmac_f64_e32 v[8:9], v[4:5], v[2:3]
	v_fmac_f64_e32 v[10:11], v[6:7], v[2:3]
	v_mul_f64 v[2:3], v[14:15], -v[6:7]
	v_fmac_f64_e32 v[2:3], v[4:5], v[0:1]
	v_mul_f64 v[4:5], v[4:5], v[14:15]
	v_fmac_f64_e32 v[4:5], v[6:7], v[0:1]
	global_store_dwordx4 v[12:13], v[8:11], off offset:16
	global_store_dwordx4 v[12:13], v[2:5], off offset:32
                                        ; implicit-def: $vgpr4_vgpr5
                                        ; implicit-def: $vgpr6_vgpr7
                                        ; implicit-def: $vgpr8_vgpr9
                                        ; implicit-def: $vgpr10_vgpr11
                                        ; implicit-def: $vgpr12
                                        ; implicit-def: $vgpr2_vgpr3
                                        ; implicit-def: $vgpr18_vgpr19
                                        ; implicit-def: $vgpr0_vgpr1
                                        ; implicit-def: $vgpr14_vgpr15
.LBB142_23:
	s_andn2_saveexec_b64 s[0:1], s[0:1]
	s_cbranch_execz .LBB142_25
; %bb.24:
	v_lshl_add_u32 v12, v12, 1, v12
	v_ashrrev_i32_e32 v13, 31, v12
	s_waitcnt lgkmcnt(0)
	v_lshl_add_u64 v[38:39], v[12:13], 4, s[2:3]
	global_load_dwordx4 v[22:25], v[38:39], off
	global_load_dwordx4 v[26:29], v[38:39], off offset:16
	global_load_dwordx4 v[30:33], v[38:39], off offset:32
	v_mul_f64 v[34:35], v[20:21], -v[6:7]
	v_mul_f64 v[20:21], v[4:5], v[20:21]
	v_mul_f64 v[40:41], v[18:19], -v[6:7]
	v_mul_f64 v[36:37], v[4:5], v[18:19]
	;; [unrolled: 2-line block ×3, first 2 shown]
	v_fmac_f64_e32 v[34:35], v[4:5], v[16:17]
	v_fmac_f64_e32 v[20:21], v[6:7], v[16:17]
	;; [unrolled: 1-line block ×6, first 2 shown]
	s_waitcnt vmcnt(2)
	v_fmac_f64_e32 v[34:35], v[8:9], v[22:23]
	v_fmac_f64_e32 v[20:21], v[10:11], v[22:23]
	s_waitcnt vmcnt(1)
	v_fmac_f64_e32 v[40:41], v[8:9], v[26:27]
	v_fmac_f64_e32 v[36:37], v[10:11], v[26:27]
	;; [unrolled: 3-line block ×3, first 2 shown]
	v_fma_f64 v[18:19], -v[10:11], v[24:25], v[34:35]
	v_fmac_f64_e32 v[20:21], v[8:9], v[24:25]
	v_fma_f64 v[34:35], -v[10:11], v[28:29], v[40:41]
	v_fmac_f64_e32 v[36:37], v[8:9], v[28:29]
	;; [unrolled: 2-line block ×3, first 2 shown]
	global_store_dwordx4 v[38:39], v[18:21], off
	global_store_dwordx4 v[38:39], v[34:37], off offset:16
	global_store_dwordx4 v[38:39], v[10:13], off offset:32
.LBB142_25:
	s_endpgm
	.section	.rodata,"a",@progbits
	.p2align	6, 0x0
	.amdhsa_kernel _ZN9rocsparseL19gebsrmvn_3xn_kernelILj128ELj8ELj8E21rocsparse_complex_numIdEEEvi20rocsparse_direction_NS_24const_host_device_scalarIT2_EEPKiS8_PKS5_SA_S6_PS5_21rocsparse_index_base_b
		.amdhsa_group_segment_fixed_size 2048
		.amdhsa_private_segment_fixed_size 0
		.amdhsa_kernarg_size 88
		.amdhsa_user_sgpr_count 4
		.amdhsa_user_sgpr_dispatch_ptr 1
		.amdhsa_user_sgpr_queue_ptr 0
		.amdhsa_user_sgpr_kernarg_segment_ptr 1
		.amdhsa_user_sgpr_dispatch_id 0
		.amdhsa_user_sgpr_kernarg_preload_length 0
		.amdhsa_user_sgpr_kernarg_preload_offset 0
		.amdhsa_user_sgpr_private_segment_size 0
		.amdhsa_uses_dynamic_stack 0
		.amdhsa_enable_private_segment 0
		.amdhsa_system_sgpr_workgroup_id_x 1
		.amdhsa_system_sgpr_workgroup_id_y 0
		.amdhsa_system_sgpr_workgroup_id_z 0
		.amdhsa_system_sgpr_workgroup_info 0
		.amdhsa_system_vgpr_workitem_id 2
		.amdhsa_next_free_vgpr 92
		.amdhsa_next_free_sgpr 20
		.amdhsa_accum_offset 92
		.amdhsa_reserve_vcc 1
		.amdhsa_float_round_mode_32 0
		.amdhsa_float_round_mode_16_64 0
		.amdhsa_float_denorm_mode_32 3
		.amdhsa_float_denorm_mode_16_64 3
		.amdhsa_dx10_clamp 1
		.amdhsa_ieee_mode 1
		.amdhsa_fp16_overflow 0
		.amdhsa_tg_split 0
		.amdhsa_exception_fp_ieee_invalid_op 0
		.amdhsa_exception_fp_denorm_src 0
		.amdhsa_exception_fp_ieee_div_zero 0
		.amdhsa_exception_fp_ieee_overflow 0
		.amdhsa_exception_fp_ieee_underflow 0
		.amdhsa_exception_fp_ieee_inexact 0
		.amdhsa_exception_int_div_zero 0
	.end_amdhsa_kernel
	.section	.text._ZN9rocsparseL19gebsrmvn_3xn_kernelILj128ELj8ELj8E21rocsparse_complex_numIdEEEvi20rocsparse_direction_NS_24const_host_device_scalarIT2_EEPKiS8_PKS5_SA_S6_PS5_21rocsparse_index_base_b,"axG",@progbits,_ZN9rocsparseL19gebsrmvn_3xn_kernelILj128ELj8ELj8E21rocsparse_complex_numIdEEEvi20rocsparse_direction_NS_24const_host_device_scalarIT2_EEPKiS8_PKS5_SA_S6_PS5_21rocsparse_index_base_b,comdat
.Lfunc_end142:
	.size	_ZN9rocsparseL19gebsrmvn_3xn_kernelILj128ELj8ELj8E21rocsparse_complex_numIdEEEvi20rocsparse_direction_NS_24const_host_device_scalarIT2_EEPKiS8_PKS5_SA_S6_PS5_21rocsparse_index_base_b, .Lfunc_end142-_ZN9rocsparseL19gebsrmvn_3xn_kernelILj128ELj8ELj8E21rocsparse_complex_numIdEEEvi20rocsparse_direction_NS_24const_host_device_scalarIT2_EEPKiS8_PKS5_SA_S6_PS5_21rocsparse_index_base_b
                                        ; -- End function
	.section	.AMDGPU.csdata,"",@progbits
; Kernel info:
; codeLenInByte = 3524
; NumSgprs: 26
; NumVgprs: 92
; NumAgprs: 0
; TotalNumVgprs: 92
; ScratchSize: 0
; MemoryBound: 0
; FloatMode: 240
; IeeeMode: 1
; LDSByteSize: 2048 bytes/workgroup (compile time only)
; SGPRBlocks: 3
; VGPRBlocks: 11
; NumSGPRsForWavesPerEU: 26
; NumVGPRsForWavesPerEU: 92
; AccumOffset: 92
; Occupancy: 5
; WaveLimiterHint : 1
; COMPUTE_PGM_RSRC2:SCRATCH_EN: 0
; COMPUTE_PGM_RSRC2:USER_SGPR: 4
; COMPUTE_PGM_RSRC2:TRAP_HANDLER: 0
; COMPUTE_PGM_RSRC2:TGID_X_EN: 1
; COMPUTE_PGM_RSRC2:TGID_Y_EN: 0
; COMPUTE_PGM_RSRC2:TGID_Z_EN: 0
; COMPUTE_PGM_RSRC2:TIDIG_COMP_CNT: 2
; COMPUTE_PGM_RSRC3_GFX90A:ACCUM_OFFSET: 22
; COMPUTE_PGM_RSRC3_GFX90A:TG_SPLIT: 0
	.section	.text._ZN9rocsparseL19gebsrmvn_3xn_kernelILj128ELj8ELj16E21rocsparse_complex_numIdEEEvi20rocsparse_direction_NS_24const_host_device_scalarIT2_EEPKiS8_PKS5_SA_S6_PS5_21rocsparse_index_base_b,"axG",@progbits,_ZN9rocsparseL19gebsrmvn_3xn_kernelILj128ELj8ELj16E21rocsparse_complex_numIdEEEvi20rocsparse_direction_NS_24const_host_device_scalarIT2_EEPKiS8_PKS5_SA_S6_PS5_21rocsparse_index_base_b,comdat
	.globl	_ZN9rocsparseL19gebsrmvn_3xn_kernelILj128ELj8ELj16E21rocsparse_complex_numIdEEEvi20rocsparse_direction_NS_24const_host_device_scalarIT2_EEPKiS8_PKS5_SA_S6_PS5_21rocsparse_index_base_b ; -- Begin function _ZN9rocsparseL19gebsrmvn_3xn_kernelILj128ELj8ELj16E21rocsparse_complex_numIdEEEvi20rocsparse_direction_NS_24const_host_device_scalarIT2_EEPKiS8_PKS5_SA_S6_PS5_21rocsparse_index_base_b
	.p2align	8
	.type	_ZN9rocsparseL19gebsrmvn_3xn_kernelILj128ELj8ELj16E21rocsparse_complex_numIdEEEvi20rocsparse_direction_NS_24const_host_device_scalarIT2_EEPKiS8_PKS5_SA_S6_PS5_21rocsparse_index_base_b,@function
_ZN9rocsparseL19gebsrmvn_3xn_kernelILj128ELj8ELj16E21rocsparse_complex_numIdEEEvi20rocsparse_direction_NS_24const_host_device_scalarIT2_EEPKiS8_PKS5_SA_S6_PS5_21rocsparse_index_base_b: ; @_ZN9rocsparseL19gebsrmvn_3xn_kernelILj128ELj8ELj16E21rocsparse_complex_numIdEEEvi20rocsparse_direction_NS_24const_host_device_scalarIT2_EEPKiS8_PKS5_SA_S6_PS5_21rocsparse_index_base_b
; %bb.0:
	s_load_dwordx2 s[16:17], s[2:3], 0x50
	s_load_dwordx4 s[12:15], s[2:3], 0x8
	s_load_dwordx4 s[8:11], s[2:3], 0x38
	s_load_dwordx2 s[18:19], s[0:1], 0x4
	s_mov_b64 s[6:7], src_shared_base
	s_waitcnt lgkmcnt(0)
	s_bitcmp1_b32 s17, 0
	s_cselect_b64 s[0:1], -1, 0
	s_and_b64 vcc, s[0:1], exec
	s_cselect_b32 s5, s7, s13
	s_lshr_b32 s6, s18, 16
	v_bfe_u32 v2, v0, 10, 10
	v_and_b32_e32 v1, 0x3ff, v0
	s_mul_i32 s6, s6, s19
	v_mul_u32_u24_e32 v2, s19, v2
	v_mad_u32_u24 v2, s6, v1, v2
	v_bfe_u32 v0, v0, 20, 10
	v_add_lshl_u32 v0, v2, v0, 3
	v_mov_b32_e32 v6, s12
	v_add_u32_e32 v7, 0x400, v0
	v_mov_b64_e32 v[2:3], s[12:13]
	v_mov_b64_e32 v[4:5], s[8:9]
	ds_write2st64_b64 v0, v[4:5], v[2:3] offset1:2
	v_cndmask_b32_e64 v2, v6, v7, s[0:1]
	v_mov_b32_e32 v3, s5
	flat_load_dwordx2 v[4:5], v[2:3]
	s_xor_b64 s[18:19], s[0:1], -1
	v_mov_b64_e32 v[6:7], s[14:15]
	s_cbranch_vccnz .LBB143_2
; %bb.1:
	v_mov_b64_e32 v[2:3], s[12:13]
	flat_load_dwordx2 v[6:7], v[2:3] offset:8
.LBB143_2:
	s_and_b64 s[12:13], s[0:1], exec
	s_cselect_b32 s5, s7, s9
	v_mov_b32_e32 v2, s8
	v_cndmask_b32_e64 v2, v2, v0, s[0:1]
	v_mov_b32_e32 v3, s5
	flat_load_dwordx2 v[8:9], v[2:3]
	s_andn2_b64 vcc, exec, s[18:19]
	v_mov_b64_e32 v[10:11], s[10:11]
	s_cbranch_vccnz .LBB143_4
; %bb.3:
	v_mov_b64_e32 v[2:3], s[8:9]
	flat_load_dwordx2 v[10:11], v[2:3] offset:8
.LBB143_4:
	s_waitcnt vmcnt(0) lgkmcnt(0)
	v_cmp_eq_f64_e32 vcc, 0, v[4:5]
	v_cmp_eq_f64_e64 s[0:1], 0, v[6:7]
	s_and_b64 s[8:9], vcc, s[0:1]
	s_mov_b64 s[0:1], -1
	s_and_saveexec_b64 s[6:7], s[8:9]
; %bb.5:
	v_cmp_neq_f64_e32 vcc, 1.0, v[8:9]
	v_cmp_neq_f64_e64 s[0:1], 0, v[10:11]
	s_or_b64 s[0:1], vcc, s[0:1]
	s_orn2_b64 s[0:1], s[0:1], exec
; %bb.6:
	s_or_b64 exec, exec, s[6:7]
	s_and_saveexec_b64 s[6:7], s[0:1]
	s_cbranch_execz .LBB143_25
; %bb.7:
	s_load_dwordx2 s[0:1], s[2:3], 0x0
	v_lshrrev_b32_e32 v0, 4, v1
	v_lshl_or_b32 v12, s4, 3, v0
	s_waitcnt lgkmcnt(0)
	v_cmp_gt_i32_e32 vcc, s0, v12
	s_and_b64 exec, exec, vcc
	s_cbranch_execz .LBB143_25
; %bb.8:
	s_load_dwordx8 s[4:11], s[2:3], 0x18
	v_ashrrev_i32_e32 v13, 31, v12
	s_cmp_lg_u32 s1, 0
	s_waitcnt lgkmcnt(0)
	v_lshl_add_u64 v[2:3], v[12:13], 2, s[4:5]
	global_load_dwordx2 v[2:3], v[2:3], off
	v_and_b32_e32 v13, 15, v1
	s_waitcnt vmcnt(0)
	v_subrev_u32_e32 v0, s16, v2
	v_subrev_u32_e32 v36, s16, v3
	v_add_u32_e32 v20, v0, v13
	v_cmp_lt_i32_e64 s[0:1], v20, v36
	s_cbranch_scc0 .LBB143_14
; %bb.9:
	v_mov_b64_e32 v[16:17], 0
	s_mov_b64 s[4:5], 0
	v_mov_b64_e32 v[26:27], v[16:17]
	v_mov_b64_e32 v[22:23], v[16:17]
	;; [unrolled: 1-line block ×5, first 2 shown]
	s_and_saveexec_b64 s[12:13], s[0:1]
	s_cbranch_execz .LBB143_13
; %bb.10:
	v_mad_u64_u32 v[28:29], s[14:15], v20, 24, 23
	v_mov_b64_e32 v[16:17], 0
	s_mov_b64 s[14:15], 0
	v_mov_b32_e32 v31, 0
	v_mov_b32_e32 v32, v20
	v_mov_b64_e32 v[26:27], v[16:17]
	v_mov_b64_e32 v[22:23], v[16:17]
	v_mov_b64_e32 v[14:15], v[16:17]
	v_mov_b64_e32 v[24:25], v[16:17]
	v_mov_b64_e32 v[18:19], v[16:17]
.LBB143_11:                             ; =>This Inner Loop Header: Depth=1
	v_ashrrev_i32_e32 v33, 31, v32
	v_subrev_u32_e32 v30, 23, v28
	v_lshl_add_u64 v[0:1], v[32:33], 2, s[6:7]
	v_lshl_add_u64 v[2:3], v[30:31], 4, s[8:9]
	global_load_dword v21, v[0:1], off
	global_load_dwordx4 v[38:41], v[2:3], off offset:48
	global_load_dwordx4 v[42:45], v[2:3], off offset:32
	;; [unrolled: 1-line block ×3, first 2 shown]
	global_load_dwordx4 v[50:53], v[2:3], off
	global_load_dwordx4 v[54:57], v[2:3], off offset:112
	global_load_dwordx4 v[58:61], v[2:3], off offset:96
	;; [unrolled: 1-line block ×4, first 2 shown]
	v_add_u32_e32 v30, -15, v28
	v_mov_b32_e32 v35, v31
	v_mov_b32_e32 v29, v31
	v_lshl_add_u64 v[78:79], v[30:31], 4, s[8:9]
	v_add_u32_e32 v30, -14, v28
	v_lshl_add_u64 v[70:71], v[28:29], 4, s[8:9]
	v_lshl_add_u64 v[80:81], v[30:31], 4, s[8:9]
	global_load_dwordx4 v[0:3], v[70:71], off
	s_nop 0
	global_load_dwordx4 v[70:73], v[78:79], off
	global_load_dwordx4 v[74:77], v[80:81], off
	v_add_u32_e32 v30, -13, v28
	v_lshl_add_u64 v[86:87], v[30:31], 4, s[8:9]
	v_add_u32_e32 v30, -12, v28
	v_add_u32_e32 v32, 16, v32
	v_cmp_ge_i32_e32 vcc, v32, v36
	s_or_b64 s[14:15], vcc, s[14:15]
	s_waitcnt vmcnt(11)
	v_subrev_u32_e32 v21, s16, v21
	v_lshlrev_b32_e32 v34, 3, v21
	v_lshl_add_u64 v[34:35], v[34:35], 4, s[10:11]
	global_load_dwordx4 v[78:81], v[34:35], off
	global_load_dwordx4 v[82:85], v[34:35], off offset:16
	s_waitcnt vmcnt(1)
	v_fmac_f64_e32 v[26:27], v[50:51], v[78:79]
	v_fma_f64 v[88:89], -v[52:53], v[80:81], v[26:27]
	v_lshl_add_u64 v[26:27], v[30:31], 4, s[8:9]
	v_add_u32_e32 v30, -11, v28
	v_lshl_add_u64 v[90:91], v[30:31], 4, s[8:9]
	v_add_u32_e32 v30, -10, v28
	v_fmac_f64_e32 v[16:17], v[52:53], v[78:79]
	v_fmac_f64_e32 v[24:25], v[46:47], v[78:79]
	;; [unrolled: 1-line block ×5, first 2 shown]
	v_lshl_add_u64 v[78:79], v[30:31], 4, s[8:9]
	v_add_u32_e32 v30, -9, v28
	v_fmac_f64_e32 v[16:17], v[50:51], v[80:81]
	global_load_dwordx4 v[50:53], v[86:87], off
	v_fma_f64 v[86:87], -v[48:49], v[80:81], v[24:25]
	v_fmac_f64_e32 v[18:19], v[46:47], v[80:81]
	global_load_dwordx4 v[24:27], v[26:27], off
	v_fma_f64 v[22:23], -v[44:45], v[80:81], v[22:23]
	v_fmac_f64_e32 v[14:15], v[42:43], v[80:81]
	global_load_dwordx4 v[42:45], v[90:91], off
	global_load_dwordx4 v[46:49], v[78:79], off
	v_lshl_add_u64 v[78:79], v[30:31], 4, s[8:9]
	v_add_u32_e32 v30, -8, v28
	s_waitcnt vmcnt(4)
	v_fmac_f64_e32 v[88:89], v[38:39], v[82:83]
	v_fmac_f64_e32 v[16:17], v[40:41], v[82:83]
	v_lshl_add_u64 v[80:81], v[30:31], 4, s[8:9]
	v_fmac_f64_e32 v[86:87], v[66:67], v[82:83]
	v_fmac_f64_e32 v[18:19], v[68:69], v[82:83]
	;; [unrolled: 1-line block ×4, first 2 shown]
	v_fma_f64 v[88:89], -v[40:41], v[84:85], v[88:89]
	v_fmac_f64_e32 v[16:17], v[38:39], v[84:85]
	global_load_dwordx4 v[38:41], v[78:79], off
	v_fma_f64 v[86:87], -v[68:69], v[84:85], v[86:87]
	v_fmac_f64_e32 v[18:19], v[66:67], v[84:85]
	global_load_dwordx4 v[66:69], v[80:81], off
	v_fma_f64 v[22:23], -v[64:65], v[84:85], v[22:23]
	v_fmac_f64_e32 v[14:15], v[62:63], v[84:85]
	global_load_dwordx4 v[62:65], v[34:35], off offset:32
	global_load_dwordx4 v[78:81], v[34:35], off offset:48
	v_add_u32_e32 v30, -7, v28
	v_lshl_add_u64 v[90:91], v[30:31], 4, s[8:9]
	v_add_u32_e32 v30, -6, v28
	v_lshl_add_u64 v[84:85], v[30:31], 4, s[8:9]
	v_add_u32_e32 v30, -5, v28
	s_waitcnt vmcnt(1)
	v_fmac_f64_e32 v[88:89], v[58:59], v[62:63]
	v_fmac_f64_e32 v[16:17], v[60:61], v[62:63]
	;; [unrolled: 1-line block ×4, first 2 shown]
	v_fma_f64 v[82:83], -v[60:61], v[64:65], v[88:89]
	v_fmac_f64_e32 v[16:17], v[58:59], v[64:65]
	global_load_dwordx4 v[58:61], v[90:91], off
	v_fma_f64 v[86:87], -v[56:57], v[64:65], v[86:87]
	v_fmac_f64_e32 v[18:19], v[54:55], v[64:65]
	global_load_dwordx4 v[54:57], v[84:85], off
	v_lshl_add_u64 v[84:85], v[30:31], 4, s[8:9]
	v_add_u32_e32 v30, -4, v28
	v_fmac_f64_e32 v[22:23], v[70:71], v[62:63]
	v_fmac_f64_e32 v[14:15], v[72:73], v[62:63]
	v_lshl_add_u64 v[88:89], v[30:31], 4, s[8:9]
	v_add_u32_e32 v30, -3, v28
	v_fma_f64 v[22:23], -v[72:73], v[64:65], v[22:23]
	v_fmac_f64_e32 v[14:15], v[70:71], v[64:65]
	global_load_dwordx4 v[62:65], v[84:85], off
	global_load_dwordx4 v[70:73], v[88:89], off
	v_lshl_add_u64 v[84:85], v[30:31], 4, s[8:9]
	v_add_u32_e32 v30, -2, v28
	s_waitcnt vmcnt(4)
	v_fmac_f64_e32 v[82:83], v[74:75], v[78:79]
	v_fmac_f64_e32 v[16:17], v[76:77], v[78:79]
	v_lshl_add_u64 v[88:89], v[30:31], 4, s[8:9]
	v_fmac_f64_e32 v[86:87], v[50:51], v[78:79]
	v_fmac_f64_e32 v[18:19], v[52:53], v[78:79]
	;; [unrolled: 1-line block ×4, first 2 shown]
	v_fma_f64 v[82:83], -v[76:77], v[80:81], v[82:83]
	v_fmac_f64_e32 v[16:17], v[74:75], v[80:81]
	global_load_dwordx4 v[74:77], v[84:85], off
	v_fma_f64 v[84:85], -v[52:53], v[80:81], v[86:87]
	v_fmac_f64_e32 v[18:19], v[50:51], v[80:81]
	global_load_dwordx4 v[50:53], v[88:89], off
	v_fma_f64 v[26:27], -v[26:27], v[80:81], v[22:23]
	v_fmac_f64_e32 v[14:15], v[24:25], v[80:81]
	global_load_dwordx4 v[22:25], v[34:35], off offset:64
	global_load_dwordx4 v[78:81], v[34:35], off offset:80
	v_add_u32_e32 v30, -1, v28
	v_lshl_add_u64 v[86:87], v[30:31], 4, s[8:9]
	v_add_u32_e32 v28, 0x180, v28
	s_waitcnt vmcnt(1)
	v_fmac_f64_e32 v[82:83], v[42:43], v[22:23]
	v_fmac_f64_e32 v[16:17], v[44:45], v[22:23]
	;; [unrolled: 1-line block ×4, first 2 shown]
	v_fma_f64 v[88:89], -v[44:45], v[24:25], v[82:83]
	v_fmac_f64_e32 v[16:17], v[42:43], v[24:25]
	global_load_dwordx4 v[42:45], v[86:87], off
	v_fma_f64 v[86:87], -v[48:49], v[24:25], v[84:85]
	v_fmac_f64_e32 v[18:19], v[46:47], v[24:25]
	global_load_dwordx4 v[46:49], v[34:35], off offset:96
	global_load_dwordx4 v[82:85], v[34:35], off offset:112
	v_fmac_f64_e32 v[26:27], v[38:39], v[22:23]
	v_fmac_f64_e32 v[14:15], v[40:41], v[22:23]
	v_fma_f64 v[22:23], -v[40:41], v[24:25], v[26:27]
	v_fmac_f64_e32 v[14:15], v[38:39], v[24:25]
	s_waitcnt vmcnt(3)
	v_fmac_f64_e32 v[88:89], v[66:67], v[78:79]
	v_fmac_f64_e32 v[16:17], v[68:69], v[78:79]
	v_fmac_f64_e32 v[86:87], v[58:59], v[78:79]
	v_fmac_f64_e32 v[18:19], v[60:61], v[78:79]
	v_fmac_f64_e32 v[22:23], v[54:55], v[78:79]
	v_fmac_f64_e32 v[14:15], v[56:57], v[78:79]
	v_fma_f64 v[24:25], -v[68:69], v[80:81], v[88:89]
	v_fmac_f64_e32 v[16:17], v[66:67], v[80:81]
	v_fma_f64 v[26:27], -v[60:61], v[80:81], v[86:87]
	v_fmac_f64_e32 v[18:19], v[58:59], v[80:81]
	v_fma_f64 v[22:23], -v[56:57], v[80:81], v[22:23]
	v_fmac_f64_e32 v[14:15], v[54:55], v[80:81]
	s_waitcnt vmcnt(1)
	v_fmac_f64_e32 v[24:25], v[62:63], v[46:47]
	v_fmac_f64_e32 v[16:17], v[64:65], v[46:47]
	v_fmac_f64_e32 v[26:27], v[70:71], v[46:47]
	v_fmac_f64_e32 v[18:19], v[72:73], v[46:47]
	v_fmac_f64_e32 v[22:23], v[74:75], v[46:47]
	v_fmac_f64_e32 v[14:15], v[76:77], v[46:47]
	v_fma_f64 v[24:25], -v[64:65], v[48:49], v[24:25]
	v_fmac_f64_e32 v[16:17], v[62:63], v[48:49]
	v_fma_f64 v[34:35], -v[72:73], v[48:49], v[26:27]
	;; [unrolled: 13-line block ×3, first 2 shown]
	v_fmac_f64_e32 v[18:19], v[42:43], v[84:85]
	v_fma_f64 v[22:23], -v[2:3], v[84:85], v[22:23]
	v_fmac_f64_e32 v[14:15], v[0:1], v[84:85]
	s_andn2_b64 exec, exec, s[14:15]
	s_cbranch_execnz .LBB143_11
; %bb.12:
	s_or_b64 exec, exec, s[14:15]
.LBB143_13:
	s_or_b64 exec, exec, s[12:13]
	s_andn2_b64 vcc, exec, s[4:5]
	s_cbranch_vccz .LBB143_15
	s_branch .LBB143_20
.LBB143_14:
                                        ; implicit-def: $vgpr16_vgpr17
                                        ; implicit-def: $vgpr26_vgpr27
                                        ; implicit-def: $vgpr22_vgpr23
                                        ; implicit-def: $vgpr14_vgpr15
                                        ; implicit-def: $vgpr24_vgpr25
                                        ; implicit-def: $vgpr18_vgpr19
.LBB143_15:
	v_mov_b64_e32 v[16:17], 0
	v_mov_b64_e32 v[26:27], v[16:17]
	;; [unrolled: 1-line block ×6, first 2 shown]
	s_and_saveexec_b64 s[4:5], s[0:1]
	s_cbranch_execz .LBB143_19
; %bb.16:
	v_mad_u64_u32 v[28:29], s[0:1], v20, 24, 23
	v_mov_b64_e32 v[16:17], 0
	s_mov_b64 s[0:1], 0
	v_mov_b32_e32 v31, 0
	v_mov_b64_e32 v[26:27], v[16:17]
	v_mov_b64_e32 v[22:23], v[16:17]
	;; [unrolled: 1-line block ×5, first 2 shown]
.LBB143_17:                             ; =>This Inner Loop Header: Depth=1
	v_ashrrev_i32_e32 v21, 31, v20
	v_subrev_u32_e32 v30, 23, v28
	v_add_u32_e32 v2, -15, v28
	v_add_u32_e32 v0, -7, v28
	v_mov_b32_e32 v3, v31
	v_mov_b32_e32 v1, v31
	v_lshl_add_u64 v[34:35], v[20:21], 2, s[6:7]
	v_lshl_add_u64 v[70:71], v[30:31], 4, s[8:9]
	v_lshl_add_u64 v[2:3], v[2:3], 4, s[8:9]
	v_lshl_add_u64 v[0:1], v[0:1], 4, s[8:9]
	global_load_dword v21, v[34:35], off
	global_load_dwordx4 v[38:41], v[70:71], off offset:48
	global_load_dwordx4 v[42:45], v[70:71], off offset:32
	;; [unrolled: 1-line block ×3, first 2 shown]
	global_load_dwordx4 v[50:53], v[70:71], off
	global_load_dwordx4 v[54:57], v[2:3], off
	;; [unrolled: 1-line block ×3, first 2 shown]
	v_mov_b32_e32 v33, v31
	global_load_dwordx4 v[0:3], v[70:71], off offset:112
	global_load_dwordx4 v[62:65], v[70:71], off offset:96
	v_add_u32_e32 v30, -14, v28
	v_lshl_add_u64 v[72:73], v[30:31], 4, s[8:9]
	v_add_u32_e32 v30, -6, v28
	v_mov_b32_e32 v29, v31
	v_lshl_add_u64 v[74:75], v[28:29], 4, s[8:9]
	v_add_u32_e32 v20, 16, v20
	v_cmp_ge_i32_e32 vcc, v20, v36
	s_or_b64 s[0:1], vcc, s[0:1]
	s_waitcnt vmcnt(8)
	v_subrev_u32_e32 v21, s16, v21
	v_lshlrev_b32_e32 v32, 3, v21
	v_lshl_add_u64 v[76:77], v[32:33], 4, s[10:11]
	global_load_dwordx4 v[32:35], v[76:77], off
	global_load_dwordx4 v[66:69], v[76:77], off offset:16
	s_waitcnt vmcnt(1)
	v_fmac_f64_e32 v[26:27], v[50:51], v[32:33]
	v_fmac_f64_e32 v[16:17], v[52:53], v[32:33]
	v_fmac_f64_e32 v[24:25], v[54:55], v[32:33]
	v_fmac_f64_e32 v[18:19], v[56:57], v[32:33]
	v_fma_f64 v[78:79], -v[52:53], v[34:35], v[26:27]
	v_fmac_f64_e32 v[16:17], v[50:51], v[34:35]
	global_load_dwordx4 v[50:53], v[70:71], off offset:80
	v_fma_f64 v[80:81], -v[56:57], v[34:35], v[24:25]
	v_fmac_f64_e32 v[18:19], v[54:55], v[34:35]
	global_load_dwordx4 v[24:27], v[70:71], off offset:64
	global_load_dwordx4 v[54:57], v[72:73], off
	v_fmac_f64_e32 v[22:23], v[58:59], v[32:33]
	v_fmac_f64_e32 v[14:15], v[60:61], v[32:33]
	v_lshl_add_u64 v[32:33], v[30:31], 4, s[8:9]
	v_fma_f64 v[22:23], -v[60:61], v[34:35], v[22:23]
	v_fmac_f64_e32 v[14:15], v[58:59], v[34:35]
	global_load_dwordx4 v[32:35], v[32:33], off
	v_add_u32_e32 v30, -13, v28
	v_lshl_add_u64 v[70:71], v[30:31], 4, s[8:9]
	v_add_u32_e32 v30, -5, v28
	v_lshl_add_u64 v[72:73], v[30:31], 4, s[8:9]
	v_add_u32_e32 v30, -12, v28
	s_waitcnt vmcnt(4)
	v_fmac_f64_e32 v[78:79], v[46:47], v[66:67]
	v_fmac_f64_e32 v[16:17], v[48:49], v[66:67]
	v_fma_f64 v[78:79], -v[48:49], v[68:69], v[78:79]
	v_fmac_f64_e32 v[16:17], v[46:47], v[68:69]
	global_load_dwordx4 v[46:49], v[70:71], off
	global_load_dwordx4 v[58:61], v[72:73], off
	s_waitcnt vmcnt(3)
	v_fmac_f64_e32 v[18:19], v[56:57], v[66:67]
	v_fmac_f64_e32 v[80:81], v[54:55], v[66:67]
	;; [unrolled: 1-line block ×3, first 2 shown]
	v_lshl_add_u64 v[54:55], v[30:31], 4, s[8:9]
	v_fma_f64 v[70:71], -v[56:57], v[68:69], v[80:81]
	global_load_dwordx4 v[54:57], v[54:55], off
	s_waitcnt vmcnt(3)
	v_fmac_f64_e32 v[22:23], v[32:33], v[66:67]
	v_fmac_f64_e32 v[14:15], v[34:35], v[66:67]
	v_fma_f64 v[22:23], -v[34:35], v[68:69], v[22:23]
	v_fmac_f64_e32 v[14:15], v[32:33], v[68:69]
	global_load_dwordx4 v[32:35], v[76:77], off offset:32
	global_load_dwordx4 v[66:69], v[76:77], off offset:48
	v_add_u32_e32 v30, -4, v28
	s_waitcnt vmcnt(1)
	v_fmac_f64_e32 v[16:17], v[44:45], v[32:33]
	v_fmac_f64_e32 v[78:79], v[42:43], v[32:33]
	;; [unrolled: 1-line block ×3, first 2 shown]
	v_lshl_add_u64 v[42:43], v[30:31], 4, s[8:9]
	v_fma_f64 v[72:73], -v[44:45], v[34:35], v[78:79]
	global_load_dwordx4 v[42:45], v[42:43], off
	v_add_u32_e32 v30, -11, v28
	v_fmac_f64_e32 v[70:71], v[46:47], v[32:33]
	v_fmac_f64_e32 v[18:19], v[48:49], v[32:33]
	v_lshl_add_u64 v[78:79], v[30:31], 4, s[8:9]
	v_add_u32_e32 v30, -3, v28
	v_fmac_f64_e32 v[22:23], v[58:59], v[32:33]
	v_fmac_f64_e32 v[14:15], v[60:61], v[32:33]
	v_fma_f64 v[70:71], -v[48:49], v[34:35], v[70:71]
	v_fmac_f64_e32 v[18:19], v[46:47], v[34:35]
	v_lshl_add_u64 v[80:81], v[30:31], 4, s[8:9]
	v_add_u32_e32 v30, -10, v28
	v_fma_f64 v[22:23], -v[60:61], v[34:35], v[22:23]
	v_fmac_f64_e32 v[14:15], v[58:59], v[34:35]
	global_load_dwordx4 v[32:35], v[78:79], off
	global_load_dwordx4 v[46:49], v[80:81], off
	v_lshl_add_u64 v[78:79], v[30:31], 4, s[8:9]
	v_add_u32_e32 v30, -2, v28
	s_waitcnt vmcnt(3)
	v_fmac_f64_e32 v[72:73], v[38:39], v[66:67]
	v_fmac_f64_e32 v[16:17], v[40:41], v[66:67]
	;; [unrolled: 1-line block ×4, first 2 shown]
	v_lshl_add_u64 v[80:81], v[30:31], 4, s[8:9]
	v_fma_f64 v[72:73], -v[40:41], v[68:69], v[72:73]
	v_fmac_f64_e32 v[16:17], v[38:39], v[68:69]
	global_load_dwordx4 v[38:41], v[78:79], off
	global_load_dwordx4 v[58:61], v[80:81], off
	v_fma_f64 v[70:71], -v[56:57], v[68:69], v[70:71]
	v_fmac_f64_e32 v[18:19], v[54:55], v[68:69]
	v_add_u32_e32 v30, -9, v28
	v_lshl_add_u64 v[78:79], v[30:31], 4, s[8:9]
	v_add_u32_e32 v30, -1, v28
	v_lshl_add_u64 v[80:81], v[30:31], 4, s[8:9]
	v_add_u32_e32 v30, -8, v28
	v_add_u32_e32 v28, 0x180, v28
	s_waitcnt vmcnt(4)
	v_fmac_f64_e32 v[22:23], v[42:43], v[66:67]
	v_fmac_f64_e32 v[14:15], v[44:45], v[66:67]
	v_fma_f64 v[82:83], -v[44:45], v[68:69], v[22:23]
	v_fmac_f64_e32 v[14:15], v[42:43], v[68:69]
	global_load_dwordx4 v[42:45], v[76:77], off offset:64
	global_load_dwordx4 v[54:57], v[76:77], off offset:80
	s_waitcnt vmcnt(1)
	v_fmac_f64_e32 v[16:17], v[26:27], v[42:43]
	v_fmac_f64_e32 v[18:19], v[34:35], v[42:43]
	;; [unrolled: 1-line block ×4, first 2 shown]
	global_load_dwordx4 v[22:25], v[78:79], off
	global_load_dwordx4 v[66:69], v[80:81], off
	v_fmac_f64_e32 v[70:71], v[32:33], v[42:43]
	v_fmac_f64_e32 v[18:19], v[32:33], v[44:45]
	v_lshl_add_u64 v[32:33], v[30:31], 4, s[8:9]
	v_fmac_f64_e32 v[82:83], v[46:47], v[42:43]
	v_fmac_f64_e32 v[14:15], v[48:49], v[42:43]
	v_fma_f64 v[26:27], -v[26:27], v[44:45], v[72:73]
	v_fma_f64 v[78:79], -v[34:35], v[44:45], v[70:71]
	global_load_dwordx4 v[32:35], v[32:33], off
	v_fma_f64 v[80:81], -v[48:49], v[44:45], v[82:83]
	v_fmac_f64_e32 v[14:15], v[46:47], v[44:45]
	global_load_dwordx4 v[42:45], v[74:75], off
	global_load_dwordx4 v[46:49], v[76:77], off offset:96
	global_load_dwordx4 v[70:73], v[76:77], off offset:112
	s_waitcnt vmcnt(6)
	v_fmac_f64_e32 v[26:27], v[50:51], v[54:55]
	v_fmac_f64_e32 v[16:17], v[52:53], v[54:55]
	v_fmac_f64_e32 v[78:79], v[38:39], v[54:55]
	v_fmac_f64_e32 v[18:19], v[40:41], v[54:55]
	v_fmac_f64_e32 v[80:81], v[58:59], v[54:55]
	v_fmac_f64_e32 v[14:15], v[60:61], v[54:55]
	v_fma_f64 v[26:27], -v[52:53], v[56:57], v[26:27]
	v_fmac_f64_e32 v[16:17], v[50:51], v[56:57]
	v_fma_f64 v[40:41], -v[40:41], v[56:57], v[78:79]
	v_fmac_f64_e32 v[18:19], v[38:39], v[56:57]
	v_fma_f64 v[38:39], -v[60:61], v[56:57], v[80:81]
	v_fmac_f64_e32 v[14:15], v[58:59], v[56:57]
	s_waitcnt vmcnt(1)
	v_fmac_f64_e32 v[26:27], v[62:63], v[46:47]
	v_fmac_f64_e32 v[16:17], v[64:65], v[46:47]
	v_fmac_f64_e32 v[40:41], v[22:23], v[46:47]
	v_fmac_f64_e32 v[18:19], v[24:25], v[46:47]
	v_fmac_f64_e32 v[38:39], v[66:67], v[46:47]
	v_fmac_f64_e32 v[14:15], v[68:69], v[46:47]
	v_fma_f64 v[26:27], -v[64:65], v[48:49], v[26:27]
	v_fmac_f64_e32 v[16:17], v[62:63], v[48:49]
	v_fma_f64 v[24:25], -v[24:25], v[48:49], v[40:41]
	v_fmac_f64_e32 v[18:19], v[22:23], v[48:49]
	v_fma_f64 v[22:23], -v[68:69], v[48:49], v[38:39]
	v_fmac_f64_e32 v[14:15], v[66:67], v[48:49]
	;; [unrolled: 13-line block ×3, first 2 shown]
	s_andn2_b64 exec, exec, s[0:1]
	s_cbranch_execnz .LBB143_17
; %bb.18:
	s_or_b64 exec, exec, s[0:1]
.LBB143_19:
	s_or_b64 exec, exec, s[4:5]
.LBB143_20:
	v_mov_b32_dpp v20, v16 row_shr:1 row_mask:0xf bank_mask:0xf
	v_mov_b32_dpp v21, v17 row_shr:1 row_mask:0xf bank_mask:0xf
	v_add_f64 v[16:17], v[16:17], v[20:21]
	v_mov_b32_dpp v0, v26 row_shr:1 row_mask:0xf bank_mask:0xf
	v_mov_b32_dpp v1, v27 row_shr:1 row_mask:0xf bank_mask:0xf
	;; [unrolled: 1-line block ×4, first 2 shown]
	v_add_f64 v[16:17], v[16:17], v[20:21]
	v_add_f64 v[0:1], v[26:27], v[0:1]
	v_cmp_eq_u32_e32 vcc, 15, v13
	v_mov_b32_dpp v20, v16 row_shr:4 row_mask:0xf bank_mask:0xe
	v_mov_b32_dpp v21, v17 row_shr:4 row_mask:0xf bank_mask:0xe
	v_add_f64 v[20:21], v[16:17], v[20:21]
	v_mov_b32_dpp v16, v24 row_shr:1 row_mask:0xf bank_mask:0xf
	v_mov_b32_dpp v17, v25 row_shr:1 row_mask:0xf bank_mask:0xf
	v_add_f64 v[16:17], v[24:25], v[16:17]
	v_mov_b32_dpp v2, v0 row_shr:2 row_mask:0xf bank_mask:0xf
	v_mov_b32_dpp v3, v1 row_shr:2 row_mask:0xf bank_mask:0xf
	v_mov_b32_dpp v24, v16 row_shr:2 row_mask:0xf bank_mask:0xf
	v_mov_b32_dpp v25, v17 row_shr:2 row_mask:0xf bank_mask:0xf
	v_add_f64 v[16:17], v[16:17], v[24:25]
	v_add_f64 v[0:1], v[0:1], v[2:3]
	v_mov_b32_dpp v26, v20 row_shr:8 row_mask:0xf bank_mask:0xc
	v_mov_b32_dpp v24, v16 row_shr:4 row_mask:0xf bank_mask:0xe
	;; [unrolled: 1-line block ×3, first 2 shown]
	v_add_f64 v[24:25], v[16:17], v[24:25]
	v_mov_b32_dpp v16, v18 row_shr:1 row_mask:0xf bank_mask:0xf
	v_mov_b32_dpp v17, v19 row_shr:1 row_mask:0xf bank_mask:0xf
	v_add_f64 v[16:17], v[18:19], v[16:17]
	v_mov_b32_dpp v2, v0 row_shr:4 row_mask:0xf bank_mask:0xe
	v_mov_b32_dpp v3, v1 row_shr:4 row_mask:0xf bank_mask:0xe
	;; [unrolled: 1-line block ×4, first 2 shown]
	v_add_f64 v[16:17], v[16:17], v[18:19]
	v_add_f64 v[0:1], v[0:1], v[2:3]
	v_mov_b32_dpp v27, v21 row_shr:8 row_mask:0xf bank_mask:0xc
	v_mov_b32_dpp v18, v16 row_shr:4 row_mask:0xf bank_mask:0xe
	;; [unrolled: 1-line block ×3, first 2 shown]
	v_add_f64 v[18:19], v[16:17], v[18:19]
	v_mov_b32_dpp v16, v22 row_shr:1 row_mask:0xf bank_mask:0xf
	v_mov_b32_dpp v17, v23 row_shr:1 row_mask:0xf bank_mask:0xf
	v_add_f64 v[16:17], v[22:23], v[16:17]
	v_mov_b32_dpp v2, v0 row_shr:8 row_mask:0xf bank_mask:0xc
	v_mov_b32_dpp v3, v1 row_shr:8 row_mask:0xf bank_mask:0xc
	v_mov_b32_dpp v22, v16 row_shr:2 row_mask:0xf bank_mask:0xf
	v_mov_b32_dpp v23, v17 row_shr:2 row_mask:0xf bank_mask:0xf
	v_add_f64 v[16:17], v[16:17], v[22:23]
	v_mov_b32_dpp v28, v24 row_shr:8 row_mask:0xf bank_mask:0xc
	v_mov_b32_dpp v29, v25 row_shr:8 row_mask:0xf bank_mask:0xc
	;; [unrolled: 5-line block ×3, first 2 shown]
	v_add_f64 v[14:15], v[14:15], v[16:17]
	v_mov_b32_dpp v30, v18 row_shr:8 row_mask:0xf bank_mask:0xc
	v_mov_b32_dpp v31, v19 row_shr:8 row_mask:0xf bank_mask:0xc
	;; [unrolled: 1-line block ×4, first 2 shown]
	v_add_f64 v[14:15], v[14:15], v[16:17]
	v_mov_b32_dpp v32, v22 row_shr:8 row_mask:0xf bank_mask:0xc
	v_mov_b32_dpp v33, v23 row_shr:8 row_mask:0xf bank_mask:0xc
	;; [unrolled: 1-line block ×4, first 2 shown]
	v_add_f64 v[14:15], v[14:15], v[16:17]
	s_nop 1
	v_mov_b32_dpp v34, v14 row_shr:8 row_mask:0xf bank_mask:0xc
	v_mov_b32_dpp v35, v15 row_shr:8 row_mask:0xf bank_mask:0xc
	s_and_b64 exec, exec, vcc
	s_cbranch_execz .LBB143_25
; %bb.21:
	s_load_dwordx2 s[2:3], s[2:3], 0x48
	v_cmp_eq_f64_e32 vcc, 0, v[8:9]
	v_cmp_eq_f64_e64 s[0:1], 0, v[10:11]
	v_add_f64 v[16:17], v[0:1], v[2:3]
	v_add_f64 v[20:21], v[20:21], v[26:27]
	;; [unrolled: 1-line block ×6, first 2 shown]
	s_and_b64 s[0:1], vcc, s[0:1]
	s_and_saveexec_b64 s[4:5], s[0:1]
	s_xor_b64 s[0:1], exec, s[4:5]
	s_cbranch_execz .LBB143_23
; %bb.22:
	v_lshl_add_u32 v12, v12, 1, v12
	v_mul_f64 v[8:9], v[20:21], -v[6:7]
	v_mul_f64 v[10:11], v[4:5], v[20:21]
	v_ashrrev_i32_e32 v13, 31, v12
	v_fmac_f64_e32 v[8:9], v[4:5], v[16:17]
	v_fmac_f64_e32 v[10:11], v[6:7], v[16:17]
	s_waitcnt lgkmcnt(0)
	v_lshl_add_u64 v[12:13], v[12:13], 4, s[2:3]
	global_store_dwordx4 v[12:13], v[8:11], off
                                        ; implicit-def: $vgpr16_vgpr17
                                        ; implicit-def: $vgpr20_vgpr21
	s_nop 1
	v_mul_f64 v[8:9], v[18:19], -v[6:7]
	v_mul_f64 v[10:11], v[4:5], v[18:19]
	v_fmac_f64_e32 v[8:9], v[4:5], v[2:3]
	v_fmac_f64_e32 v[10:11], v[6:7], v[2:3]
	v_mul_f64 v[2:3], v[14:15], -v[6:7]
	v_fmac_f64_e32 v[2:3], v[4:5], v[0:1]
	v_mul_f64 v[4:5], v[4:5], v[14:15]
	v_fmac_f64_e32 v[4:5], v[6:7], v[0:1]
	global_store_dwordx4 v[12:13], v[8:11], off offset:16
	global_store_dwordx4 v[12:13], v[2:5], off offset:32
                                        ; implicit-def: $vgpr4_vgpr5
                                        ; implicit-def: $vgpr6_vgpr7
                                        ; implicit-def: $vgpr8_vgpr9
                                        ; implicit-def: $vgpr10_vgpr11
                                        ; implicit-def: $vgpr12
                                        ; implicit-def: $vgpr2_vgpr3
                                        ; implicit-def: $vgpr18_vgpr19
                                        ; implicit-def: $vgpr0_vgpr1
                                        ; implicit-def: $vgpr14_vgpr15
.LBB143_23:
	s_andn2_saveexec_b64 s[0:1], s[0:1]
	s_cbranch_execz .LBB143_25
; %bb.24:
	v_lshl_add_u32 v12, v12, 1, v12
	v_ashrrev_i32_e32 v13, 31, v12
	s_waitcnt lgkmcnt(0)
	v_lshl_add_u64 v[38:39], v[12:13], 4, s[2:3]
	global_load_dwordx4 v[22:25], v[38:39], off
	global_load_dwordx4 v[26:29], v[38:39], off offset:16
	global_load_dwordx4 v[30:33], v[38:39], off offset:32
	v_mul_f64 v[34:35], v[20:21], -v[6:7]
	v_mul_f64 v[20:21], v[4:5], v[20:21]
	v_mul_f64 v[40:41], v[18:19], -v[6:7]
	v_mul_f64 v[36:37], v[4:5], v[18:19]
	;; [unrolled: 2-line block ×3, first 2 shown]
	v_fmac_f64_e32 v[34:35], v[4:5], v[16:17]
	v_fmac_f64_e32 v[20:21], v[6:7], v[16:17]
	;; [unrolled: 1-line block ×6, first 2 shown]
	s_waitcnt vmcnt(2)
	v_fmac_f64_e32 v[34:35], v[8:9], v[22:23]
	v_fmac_f64_e32 v[20:21], v[10:11], v[22:23]
	s_waitcnt vmcnt(1)
	v_fmac_f64_e32 v[40:41], v[8:9], v[26:27]
	v_fmac_f64_e32 v[36:37], v[10:11], v[26:27]
	;; [unrolled: 3-line block ×3, first 2 shown]
	v_fma_f64 v[18:19], -v[10:11], v[24:25], v[34:35]
	v_fmac_f64_e32 v[20:21], v[8:9], v[24:25]
	v_fma_f64 v[34:35], -v[10:11], v[28:29], v[40:41]
	v_fmac_f64_e32 v[36:37], v[8:9], v[28:29]
	;; [unrolled: 2-line block ×3, first 2 shown]
	global_store_dwordx4 v[38:39], v[18:21], off
	global_store_dwordx4 v[38:39], v[34:37], off offset:16
	global_store_dwordx4 v[38:39], v[10:13], off offset:32
.LBB143_25:
	s_endpgm
	.section	.rodata,"a",@progbits
	.p2align	6, 0x0
	.amdhsa_kernel _ZN9rocsparseL19gebsrmvn_3xn_kernelILj128ELj8ELj16E21rocsparse_complex_numIdEEEvi20rocsparse_direction_NS_24const_host_device_scalarIT2_EEPKiS8_PKS5_SA_S6_PS5_21rocsparse_index_base_b
		.amdhsa_group_segment_fixed_size 2048
		.amdhsa_private_segment_fixed_size 0
		.amdhsa_kernarg_size 88
		.amdhsa_user_sgpr_count 4
		.amdhsa_user_sgpr_dispatch_ptr 1
		.amdhsa_user_sgpr_queue_ptr 0
		.amdhsa_user_sgpr_kernarg_segment_ptr 1
		.amdhsa_user_sgpr_dispatch_id 0
		.amdhsa_user_sgpr_kernarg_preload_length 0
		.amdhsa_user_sgpr_kernarg_preload_offset 0
		.amdhsa_user_sgpr_private_segment_size 0
		.amdhsa_uses_dynamic_stack 0
		.amdhsa_enable_private_segment 0
		.amdhsa_system_sgpr_workgroup_id_x 1
		.amdhsa_system_sgpr_workgroup_id_y 0
		.amdhsa_system_sgpr_workgroup_id_z 0
		.amdhsa_system_sgpr_workgroup_info 0
		.amdhsa_system_vgpr_workitem_id 2
		.amdhsa_next_free_vgpr 92
		.amdhsa_next_free_sgpr 20
		.amdhsa_accum_offset 92
		.amdhsa_reserve_vcc 1
		.amdhsa_float_round_mode_32 0
		.amdhsa_float_round_mode_16_64 0
		.amdhsa_float_denorm_mode_32 3
		.amdhsa_float_denorm_mode_16_64 3
		.amdhsa_dx10_clamp 1
		.amdhsa_ieee_mode 1
		.amdhsa_fp16_overflow 0
		.amdhsa_tg_split 0
		.amdhsa_exception_fp_ieee_invalid_op 0
		.amdhsa_exception_fp_denorm_src 0
		.amdhsa_exception_fp_ieee_div_zero 0
		.amdhsa_exception_fp_ieee_overflow 0
		.amdhsa_exception_fp_ieee_underflow 0
		.amdhsa_exception_fp_ieee_inexact 0
		.amdhsa_exception_int_div_zero 0
	.end_amdhsa_kernel
	.section	.text._ZN9rocsparseL19gebsrmvn_3xn_kernelILj128ELj8ELj16E21rocsparse_complex_numIdEEEvi20rocsparse_direction_NS_24const_host_device_scalarIT2_EEPKiS8_PKS5_SA_S6_PS5_21rocsparse_index_base_b,"axG",@progbits,_ZN9rocsparseL19gebsrmvn_3xn_kernelILj128ELj8ELj16E21rocsparse_complex_numIdEEEvi20rocsparse_direction_NS_24const_host_device_scalarIT2_EEPKiS8_PKS5_SA_S6_PS5_21rocsparse_index_base_b,comdat
.Lfunc_end143:
	.size	_ZN9rocsparseL19gebsrmvn_3xn_kernelILj128ELj8ELj16E21rocsparse_complex_numIdEEEvi20rocsparse_direction_NS_24const_host_device_scalarIT2_EEPKiS8_PKS5_SA_S6_PS5_21rocsparse_index_base_b, .Lfunc_end143-_ZN9rocsparseL19gebsrmvn_3xn_kernelILj128ELj8ELj16E21rocsparse_complex_numIdEEEvi20rocsparse_direction_NS_24const_host_device_scalarIT2_EEPKiS8_PKS5_SA_S6_PS5_21rocsparse_index_base_b
                                        ; -- End function
	.section	.AMDGPU.csdata,"",@progbits
; Kernel info:
; codeLenInByte = 3672
; NumSgprs: 26
; NumVgprs: 92
; NumAgprs: 0
; TotalNumVgprs: 92
; ScratchSize: 0
; MemoryBound: 0
; FloatMode: 240
; IeeeMode: 1
; LDSByteSize: 2048 bytes/workgroup (compile time only)
; SGPRBlocks: 3
; VGPRBlocks: 11
; NumSGPRsForWavesPerEU: 26
; NumVGPRsForWavesPerEU: 92
; AccumOffset: 92
; Occupancy: 5
; WaveLimiterHint : 1
; COMPUTE_PGM_RSRC2:SCRATCH_EN: 0
; COMPUTE_PGM_RSRC2:USER_SGPR: 4
; COMPUTE_PGM_RSRC2:TRAP_HANDLER: 0
; COMPUTE_PGM_RSRC2:TGID_X_EN: 1
; COMPUTE_PGM_RSRC2:TGID_Y_EN: 0
; COMPUTE_PGM_RSRC2:TGID_Z_EN: 0
; COMPUTE_PGM_RSRC2:TIDIG_COMP_CNT: 2
; COMPUTE_PGM_RSRC3_GFX90A:ACCUM_OFFSET: 22
; COMPUTE_PGM_RSRC3_GFX90A:TG_SPLIT: 0
	.section	.text._ZN9rocsparseL19gebsrmvn_3xn_kernelILj128ELj8ELj32E21rocsparse_complex_numIdEEEvi20rocsparse_direction_NS_24const_host_device_scalarIT2_EEPKiS8_PKS5_SA_S6_PS5_21rocsparse_index_base_b,"axG",@progbits,_ZN9rocsparseL19gebsrmvn_3xn_kernelILj128ELj8ELj32E21rocsparse_complex_numIdEEEvi20rocsparse_direction_NS_24const_host_device_scalarIT2_EEPKiS8_PKS5_SA_S6_PS5_21rocsparse_index_base_b,comdat
	.globl	_ZN9rocsparseL19gebsrmvn_3xn_kernelILj128ELj8ELj32E21rocsparse_complex_numIdEEEvi20rocsparse_direction_NS_24const_host_device_scalarIT2_EEPKiS8_PKS5_SA_S6_PS5_21rocsparse_index_base_b ; -- Begin function _ZN9rocsparseL19gebsrmvn_3xn_kernelILj128ELj8ELj32E21rocsparse_complex_numIdEEEvi20rocsparse_direction_NS_24const_host_device_scalarIT2_EEPKiS8_PKS5_SA_S6_PS5_21rocsparse_index_base_b
	.p2align	8
	.type	_ZN9rocsparseL19gebsrmvn_3xn_kernelILj128ELj8ELj32E21rocsparse_complex_numIdEEEvi20rocsparse_direction_NS_24const_host_device_scalarIT2_EEPKiS8_PKS5_SA_S6_PS5_21rocsparse_index_base_b,@function
_ZN9rocsparseL19gebsrmvn_3xn_kernelILj128ELj8ELj32E21rocsparse_complex_numIdEEEvi20rocsparse_direction_NS_24const_host_device_scalarIT2_EEPKiS8_PKS5_SA_S6_PS5_21rocsparse_index_base_b: ; @_ZN9rocsparseL19gebsrmvn_3xn_kernelILj128ELj8ELj32E21rocsparse_complex_numIdEEEvi20rocsparse_direction_NS_24const_host_device_scalarIT2_EEPKiS8_PKS5_SA_S6_PS5_21rocsparse_index_base_b
; %bb.0:
	s_load_dwordx2 s[16:17], s[2:3], 0x50
	s_load_dwordx4 s[12:15], s[2:3], 0x8
	s_load_dwordx4 s[8:11], s[2:3], 0x38
	s_load_dwordx2 s[18:19], s[0:1], 0x4
	s_mov_b64 s[6:7], src_shared_base
	s_waitcnt lgkmcnt(0)
	s_bitcmp1_b32 s17, 0
	s_cselect_b64 s[0:1], -1, 0
	s_and_b64 vcc, s[0:1], exec
	s_cselect_b32 s5, s7, s13
	s_lshr_b32 s6, s18, 16
	v_bfe_u32 v2, v0, 10, 10
	v_and_b32_e32 v1, 0x3ff, v0
	s_mul_i32 s6, s6, s19
	v_mul_u32_u24_e32 v2, s19, v2
	v_mad_u32_u24 v2, s6, v1, v2
	v_bfe_u32 v0, v0, 20, 10
	v_add_lshl_u32 v0, v2, v0, 3
	v_mov_b32_e32 v6, s12
	v_add_u32_e32 v7, 0x400, v0
	v_mov_b64_e32 v[2:3], s[12:13]
	v_mov_b64_e32 v[4:5], s[8:9]
	ds_write2st64_b64 v0, v[4:5], v[2:3] offset1:2
	v_cndmask_b32_e64 v2, v6, v7, s[0:1]
	v_mov_b32_e32 v3, s5
	flat_load_dwordx2 v[4:5], v[2:3]
	s_xor_b64 s[18:19], s[0:1], -1
	v_mov_b64_e32 v[6:7], s[14:15]
	s_cbranch_vccnz .LBB144_2
; %bb.1:
	v_mov_b64_e32 v[2:3], s[12:13]
	flat_load_dwordx2 v[6:7], v[2:3] offset:8
.LBB144_2:
	s_and_b64 s[12:13], s[0:1], exec
	s_cselect_b32 s5, s7, s9
	v_mov_b32_e32 v2, s8
	v_cndmask_b32_e64 v2, v2, v0, s[0:1]
	v_mov_b32_e32 v3, s5
	flat_load_dwordx2 v[8:9], v[2:3]
	s_andn2_b64 vcc, exec, s[18:19]
	v_mov_b64_e32 v[10:11], s[10:11]
	s_cbranch_vccnz .LBB144_4
; %bb.3:
	v_mov_b64_e32 v[2:3], s[8:9]
	flat_load_dwordx2 v[10:11], v[2:3] offset:8
.LBB144_4:
	s_waitcnt vmcnt(0) lgkmcnt(0)
	v_cmp_eq_f64_e32 vcc, 0, v[4:5]
	v_cmp_eq_f64_e64 s[0:1], 0, v[6:7]
	s_and_b64 s[8:9], vcc, s[0:1]
	s_mov_b64 s[0:1], -1
	s_and_saveexec_b64 s[6:7], s[8:9]
; %bb.5:
	v_cmp_neq_f64_e32 vcc, 1.0, v[8:9]
	v_cmp_neq_f64_e64 s[0:1], 0, v[10:11]
	s_or_b64 s[0:1], vcc, s[0:1]
	s_orn2_b64 s[0:1], s[0:1], exec
; %bb.6:
	s_or_b64 exec, exec, s[6:7]
	s_and_saveexec_b64 s[6:7], s[0:1]
	s_cbranch_execz .LBB144_25
; %bb.7:
	s_load_dwordx2 s[0:1], s[2:3], 0x0
	v_lshrrev_b32_e32 v0, 5, v1
	v_lshl_or_b32 v12, s4, 2, v0
	s_waitcnt lgkmcnt(0)
	v_cmp_gt_i32_e32 vcc, s0, v12
	s_and_b64 exec, exec, vcc
	s_cbranch_execz .LBB144_25
; %bb.8:
	s_load_dwordx8 s[4:11], s[2:3], 0x18
	v_ashrrev_i32_e32 v13, 31, v12
	s_cmp_lg_u32 s1, 0
	s_waitcnt lgkmcnt(0)
	v_lshl_add_u64 v[2:3], v[12:13], 2, s[4:5]
	global_load_dwordx2 v[2:3], v[2:3], off
	v_and_b32_e32 v13, 31, v1
	s_waitcnt vmcnt(0)
	v_subrev_u32_e32 v0, s16, v2
	v_subrev_u32_e32 v36, s16, v3
	v_add_u32_e32 v20, v0, v13
	v_cmp_lt_i32_e64 s[0:1], v20, v36
	s_cbranch_scc0 .LBB144_14
; %bb.9:
	v_mov_b64_e32 v[18:19], 0
	s_mov_b64 s[4:5], 0
	v_mov_b64_e32 v[26:27], v[18:19]
	v_mov_b64_e32 v[22:23], v[18:19]
	;; [unrolled: 1-line block ×5, first 2 shown]
	s_and_saveexec_b64 s[12:13], s[0:1]
	s_cbranch_execz .LBB144_13
; %bb.10:
	v_mad_u64_u32 v[28:29], s[14:15], v20, 24, 23
	v_mov_b64_e32 v[18:19], 0
	s_mov_b64 s[14:15], 0
	v_mov_b32_e32 v31, 0
	v_mov_b32_e32 v32, v20
	v_mov_b64_e32 v[26:27], v[18:19]
	v_mov_b64_e32 v[22:23], v[18:19]
	;; [unrolled: 1-line block ×5, first 2 shown]
.LBB144_11:                             ; =>This Inner Loop Header: Depth=1
	v_ashrrev_i32_e32 v33, 31, v32
	v_subrev_u32_e32 v30, 23, v28
	v_lshl_add_u64 v[0:1], v[32:33], 2, s[6:7]
	v_lshl_add_u64 v[2:3], v[30:31], 4, s[8:9]
	global_load_dword v21, v[0:1], off
	global_load_dwordx4 v[38:41], v[2:3], off offset:48
	global_load_dwordx4 v[42:45], v[2:3], off offset:32
	;; [unrolled: 1-line block ×3, first 2 shown]
	global_load_dwordx4 v[50:53], v[2:3], off
	global_load_dwordx4 v[54:57], v[2:3], off offset:112
	global_load_dwordx4 v[58:61], v[2:3], off offset:96
	;; [unrolled: 1-line block ×4, first 2 shown]
	v_add_u32_e32 v30, -15, v28
	v_mov_b32_e32 v35, v31
	v_mov_b32_e32 v29, v31
	v_lshl_add_u64 v[78:79], v[30:31], 4, s[8:9]
	v_add_u32_e32 v30, -14, v28
	v_lshl_add_u64 v[70:71], v[28:29], 4, s[8:9]
	v_lshl_add_u64 v[80:81], v[30:31], 4, s[8:9]
	global_load_dwordx4 v[0:3], v[70:71], off
	s_nop 0
	global_load_dwordx4 v[70:73], v[78:79], off
	global_load_dwordx4 v[74:77], v[80:81], off
	v_add_u32_e32 v30, -13, v28
	v_lshl_add_u64 v[86:87], v[30:31], 4, s[8:9]
	v_add_u32_e32 v30, -12, v28
	v_add_u32_e32 v32, 32, v32
	v_cmp_ge_i32_e32 vcc, v32, v36
	s_or_b64 s[14:15], vcc, s[14:15]
	s_waitcnt vmcnt(11)
	v_subrev_u32_e32 v21, s16, v21
	v_lshlrev_b32_e32 v34, 3, v21
	v_lshl_add_u64 v[34:35], v[34:35], 4, s[10:11]
	global_load_dwordx4 v[78:81], v[34:35], off
	global_load_dwordx4 v[82:85], v[34:35], off offset:16
	s_waitcnt vmcnt(1)
	v_fmac_f64_e32 v[26:27], v[50:51], v[78:79]
	v_fma_f64 v[88:89], -v[52:53], v[80:81], v[26:27]
	v_lshl_add_u64 v[26:27], v[30:31], 4, s[8:9]
	v_add_u32_e32 v30, -11, v28
	v_lshl_add_u64 v[90:91], v[30:31], 4, s[8:9]
	v_add_u32_e32 v30, -10, v28
	v_fmac_f64_e32 v[18:19], v[52:53], v[78:79]
	v_fmac_f64_e32 v[24:25], v[46:47], v[78:79]
	;; [unrolled: 1-line block ×5, first 2 shown]
	v_lshl_add_u64 v[78:79], v[30:31], 4, s[8:9]
	v_add_u32_e32 v30, -9, v28
	v_fmac_f64_e32 v[18:19], v[50:51], v[80:81]
	global_load_dwordx4 v[50:53], v[86:87], off
	v_fma_f64 v[86:87], -v[48:49], v[80:81], v[24:25]
	v_fmac_f64_e32 v[16:17], v[46:47], v[80:81]
	global_load_dwordx4 v[24:27], v[26:27], off
	v_fma_f64 v[22:23], -v[44:45], v[80:81], v[22:23]
	v_fmac_f64_e32 v[14:15], v[42:43], v[80:81]
	global_load_dwordx4 v[42:45], v[90:91], off
	global_load_dwordx4 v[46:49], v[78:79], off
	v_lshl_add_u64 v[78:79], v[30:31], 4, s[8:9]
	v_add_u32_e32 v30, -8, v28
	s_waitcnt vmcnt(4)
	v_fmac_f64_e32 v[88:89], v[38:39], v[82:83]
	v_fmac_f64_e32 v[18:19], v[40:41], v[82:83]
	v_lshl_add_u64 v[80:81], v[30:31], 4, s[8:9]
	v_fmac_f64_e32 v[86:87], v[66:67], v[82:83]
	v_fmac_f64_e32 v[16:17], v[68:69], v[82:83]
	;; [unrolled: 1-line block ×4, first 2 shown]
	v_fma_f64 v[88:89], -v[40:41], v[84:85], v[88:89]
	v_fmac_f64_e32 v[18:19], v[38:39], v[84:85]
	global_load_dwordx4 v[38:41], v[78:79], off
	v_fma_f64 v[86:87], -v[68:69], v[84:85], v[86:87]
	v_fmac_f64_e32 v[16:17], v[66:67], v[84:85]
	global_load_dwordx4 v[66:69], v[80:81], off
	v_fma_f64 v[22:23], -v[64:65], v[84:85], v[22:23]
	v_fmac_f64_e32 v[14:15], v[62:63], v[84:85]
	global_load_dwordx4 v[62:65], v[34:35], off offset:32
	global_load_dwordx4 v[78:81], v[34:35], off offset:48
	v_add_u32_e32 v30, -7, v28
	v_lshl_add_u64 v[90:91], v[30:31], 4, s[8:9]
	v_add_u32_e32 v30, -6, v28
	v_lshl_add_u64 v[84:85], v[30:31], 4, s[8:9]
	v_add_u32_e32 v30, -5, v28
	s_waitcnt vmcnt(1)
	v_fmac_f64_e32 v[88:89], v[58:59], v[62:63]
	v_fmac_f64_e32 v[18:19], v[60:61], v[62:63]
	;; [unrolled: 1-line block ×4, first 2 shown]
	v_fma_f64 v[82:83], -v[60:61], v[64:65], v[88:89]
	v_fmac_f64_e32 v[18:19], v[58:59], v[64:65]
	global_load_dwordx4 v[58:61], v[90:91], off
	v_fma_f64 v[86:87], -v[56:57], v[64:65], v[86:87]
	v_fmac_f64_e32 v[16:17], v[54:55], v[64:65]
	global_load_dwordx4 v[54:57], v[84:85], off
	v_lshl_add_u64 v[84:85], v[30:31], 4, s[8:9]
	v_add_u32_e32 v30, -4, v28
	v_fmac_f64_e32 v[22:23], v[70:71], v[62:63]
	v_fmac_f64_e32 v[14:15], v[72:73], v[62:63]
	v_lshl_add_u64 v[88:89], v[30:31], 4, s[8:9]
	v_add_u32_e32 v30, -3, v28
	v_fma_f64 v[22:23], -v[72:73], v[64:65], v[22:23]
	v_fmac_f64_e32 v[14:15], v[70:71], v[64:65]
	global_load_dwordx4 v[62:65], v[84:85], off
	global_load_dwordx4 v[70:73], v[88:89], off
	v_lshl_add_u64 v[84:85], v[30:31], 4, s[8:9]
	v_add_u32_e32 v30, -2, v28
	s_waitcnt vmcnt(4)
	v_fmac_f64_e32 v[82:83], v[74:75], v[78:79]
	v_fmac_f64_e32 v[18:19], v[76:77], v[78:79]
	v_lshl_add_u64 v[88:89], v[30:31], 4, s[8:9]
	v_fmac_f64_e32 v[86:87], v[50:51], v[78:79]
	v_fmac_f64_e32 v[16:17], v[52:53], v[78:79]
	;; [unrolled: 1-line block ×4, first 2 shown]
	v_fma_f64 v[82:83], -v[76:77], v[80:81], v[82:83]
	v_fmac_f64_e32 v[18:19], v[74:75], v[80:81]
	global_load_dwordx4 v[74:77], v[84:85], off
	v_fma_f64 v[84:85], -v[52:53], v[80:81], v[86:87]
	v_fmac_f64_e32 v[16:17], v[50:51], v[80:81]
	global_load_dwordx4 v[50:53], v[88:89], off
	v_fma_f64 v[26:27], -v[26:27], v[80:81], v[22:23]
	v_fmac_f64_e32 v[14:15], v[24:25], v[80:81]
	global_load_dwordx4 v[22:25], v[34:35], off offset:64
	global_load_dwordx4 v[78:81], v[34:35], off offset:80
	v_add_u32_e32 v30, -1, v28
	v_lshl_add_u64 v[86:87], v[30:31], 4, s[8:9]
	v_add_u32_e32 v28, 0x300, v28
	s_waitcnt vmcnt(1)
	v_fmac_f64_e32 v[82:83], v[42:43], v[22:23]
	v_fmac_f64_e32 v[18:19], v[44:45], v[22:23]
	;; [unrolled: 1-line block ×4, first 2 shown]
	v_fma_f64 v[88:89], -v[44:45], v[24:25], v[82:83]
	v_fmac_f64_e32 v[18:19], v[42:43], v[24:25]
	global_load_dwordx4 v[42:45], v[86:87], off
	v_fma_f64 v[86:87], -v[48:49], v[24:25], v[84:85]
	v_fmac_f64_e32 v[16:17], v[46:47], v[24:25]
	global_load_dwordx4 v[46:49], v[34:35], off offset:96
	global_load_dwordx4 v[82:85], v[34:35], off offset:112
	v_fmac_f64_e32 v[26:27], v[38:39], v[22:23]
	v_fmac_f64_e32 v[14:15], v[40:41], v[22:23]
	v_fma_f64 v[22:23], -v[40:41], v[24:25], v[26:27]
	v_fmac_f64_e32 v[14:15], v[38:39], v[24:25]
	s_waitcnt vmcnt(3)
	v_fmac_f64_e32 v[88:89], v[66:67], v[78:79]
	v_fmac_f64_e32 v[18:19], v[68:69], v[78:79]
	v_fmac_f64_e32 v[86:87], v[58:59], v[78:79]
	v_fmac_f64_e32 v[16:17], v[60:61], v[78:79]
	v_fmac_f64_e32 v[22:23], v[54:55], v[78:79]
	v_fmac_f64_e32 v[14:15], v[56:57], v[78:79]
	v_fma_f64 v[24:25], -v[68:69], v[80:81], v[88:89]
	v_fmac_f64_e32 v[18:19], v[66:67], v[80:81]
	v_fma_f64 v[26:27], -v[60:61], v[80:81], v[86:87]
	v_fmac_f64_e32 v[16:17], v[58:59], v[80:81]
	v_fma_f64 v[22:23], -v[56:57], v[80:81], v[22:23]
	v_fmac_f64_e32 v[14:15], v[54:55], v[80:81]
	s_waitcnt vmcnt(1)
	v_fmac_f64_e32 v[24:25], v[62:63], v[46:47]
	v_fmac_f64_e32 v[18:19], v[64:65], v[46:47]
	v_fmac_f64_e32 v[26:27], v[70:71], v[46:47]
	v_fmac_f64_e32 v[16:17], v[72:73], v[46:47]
	v_fmac_f64_e32 v[22:23], v[74:75], v[46:47]
	v_fmac_f64_e32 v[14:15], v[76:77], v[46:47]
	v_fma_f64 v[24:25], -v[64:65], v[48:49], v[24:25]
	v_fmac_f64_e32 v[18:19], v[62:63], v[48:49]
	v_fma_f64 v[34:35], -v[72:73], v[48:49], v[26:27]
	;; [unrolled: 13-line block ×3, first 2 shown]
	v_fmac_f64_e32 v[16:17], v[42:43], v[84:85]
	v_fma_f64 v[22:23], -v[2:3], v[84:85], v[22:23]
	v_fmac_f64_e32 v[14:15], v[0:1], v[84:85]
	s_andn2_b64 exec, exec, s[14:15]
	s_cbranch_execnz .LBB144_11
; %bb.12:
	s_or_b64 exec, exec, s[14:15]
.LBB144_13:
	s_or_b64 exec, exec, s[12:13]
	s_andn2_b64 vcc, exec, s[4:5]
	s_cbranch_vccz .LBB144_15
	s_branch .LBB144_20
.LBB144_14:
                                        ; implicit-def: $vgpr18_vgpr19
                                        ; implicit-def: $vgpr26_vgpr27
                                        ; implicit-def: $vgpr22_vgpr23
                                        ; implicit-def: $vgpr14_vgpr15
                                        ; implicit-def: $vgpr24_vgpr25
                                        ; implicit-def: $vgpr16_vgpr17
.LBB144_15:
	v_mov_b64_e32 v[18:19], 0
	v_mov_b64_e32 v[26:27], v[18:19]
	;; [unrolled: 1-line block ×6, first 2 shown]
	s_and_saveexec_b64 s[4:5], s[0:1]
	s_cbranch_execz .LBB144_19
; %bb.16:
	v_mad_u64_u32 v[28:29], s[0:1], v20, 24, 23
	v_mov_b64_e32 v[18:19], 0
	s_mov_b64 s[0:1], 0
	v_mov_b32_e32 v31, 0
	v_mov_b64_e32 v[26:27], v[18:19]
	v_mov_b64_e32 v[22:23], v[18:19]
	;; [unrolled: 1-line block ×5, first 2 shown]
.LBB144_17:                             ; =>This Inner Loop Header: Depth=1
	v_ashrrev_i32_e32 v21, 31, v20
	v_subrev_u32_e32 v30, 23, v28
	v_add_u32_e32 v2, -15, v28
	v_add_u32_e32 v0, -7, v28
	v_mov_b32_e32 v3, v31
	v_mov_b32_e32 v1, v31
	v_lshl_add_u64 v[34:35], v[20:21], 2, s[6:7]
	v_lshl_add_u64 v[70:71], v[30:31], 4, s[8:9]
	v_lshl_add_u64 v[2:3], v[2:3], 4, s[8:9]
	v_lshl_add_u64 v[0:1], v[0:1], 4, s[8:9]
	global_load_dword v21, v[34:35], off
	global_load_dwordx4 v[38:41], v[70:71], off offset:48
	global_load_dwordx4 v[42:45], v[70:71], off offset:32
	;; [unrolled: 1-line block ×3, first 2 shown]
	global_load_dwordx4 v[50:53], v[70:71], off
	global_load_dwordx4 v[54:57], v[2:3], off
	;; [unrolled: 1-line block ×3, first 2 shown]
	v_mov_b32_e32 v33, v31
	global_load_dwordx4 v[0:3], v[70:71], off offset:112
	global_load_dwordx4 v[62:65], v[70:71], off offset:96
	v_add_u32_e32 v30, -14, v28
	v_lshl_add_u64 v[72:73], v[30:31], 4, s[8:9]
	v_add_u32_e32 v30, -6, v28
	v_mov_b32_e32 v29, v31
	v_lshl_add_u64 v[74:75], v[28:29], 4, s[8:9]
	v_add_u32_e32 v20, 32, v20
	v_cmp_ge_i32_e32 vcc, v20, v36
	s_or_b64 s[0:1], vcc, s[0:1]
	s_waitcnt vmcnt(8)
	v_subrev_u32_e32 v21, s16, v21
	v_lshlrev_b32_e32 v32, 3, v21
	v_lshl_add_u64 v[76:77], v[32:33], 4, s[10:11]
	global_load_dwordx4 v[32:35], v[76:77], off
	global_load_dwordx4 v[66:69], v[76:77], off offset:16
	s_waitcnt vmcnt(1)
	v_fmac_f64_e32 v[26:27], v[50:51], v[32:33]
	v_fmac_f64_e32 v[18:19], v[52:53], v[32:33]
	;; [unrolled: 1-line block ×4, first 2 shown]
	v_fma_f64 v[78:79], -v[52:53], v[34:35], v[26:27]
	v_fmac_f64_e32 v[18:19], v[50:51], v[34:35]
	global_load_dwordx4 v[50:53], v[70:71], off offset:80
	v_fma_f64 v[80:81], -v[56:57], v[34:35], v[24:25]
	v_fmac_f64_e32 v[16:17], v[54:55], v[34:35]
	global_load_dwordx4 v[24:27], v[70:71], off offset:64
	global_load_dwordx4 v[54:57], v[72:73], off
	v_fmac_f64_e32 v[22:23], v[58:59], v[32:33]
	v_fmac_f64_e32 v[14:15], v[60:61], v[32:33]
	v_lshl_add_u64 v[32:33], v[30:31], 4, s[8:9]
	v_fma_f64 v[22:23], -v[60:61], v[34:35], v[22:23]
	v_fmac_f64_e32 v[14:15], v[58:59], v[34:35]
	global_load_dwordx4 v[32:35], v[32:33], off
	v_add_u32_e32 v30, -13, v28
	v_lshl_add_u64 v[70:71], v[30:31], 4, s[8:9]
	v_add_u32_e32 v30, -5, v28
	v_lshl_add_u64 v[72:73], v[30:31], 4, s[8:9]
	v_add_u32_e32 v30, -12, v28
	s_waitcnt vmcnt(4)
	v_fmac_f64_e32 v[78:79], v[46:47], v[66:67]
	v_fmac_f64_e32 v[18:19], v[48:49], v[66:67]
	v_fma_f64 v[78:79], -v[48:49], v[68:69], v[78:79]
	v_fmac_f64_e32 v[18:19], v[46:47], v[68:69]
	global_load_dwordx4 v[46:49], v[70:71], off
	global_load_dwordx4 v[58:61], v[72:73], off
	s_waitcnt vmcnt(3)
	v_fmac_f64_e32 v[16:17], v[56:57], v[66:67]
	v_fmac_f64_e32 v[80:81], v[54:55], v[66:67]
	;; [unrolled: 1-line block ×3, first 2 shown]
	v_lshl_add_u64 v[54:55], v[30:31], 4, s[8:9]
	v_fma_f64 v[70:71], -v[56:57], v[68:69], v[80:81]
	global_load_dwordx4 v[54:57], v[54:55], off
	s_waitcnt vmcnt(3)
	v_fmac_f64_e32 v[22:23], v[32:33], v[66:67]
	v_fmac_f64_e32 v[14:15], v[34:35], v[66:67]
	v_fma_f64 v[22:23], -v[34:35], v[68:69], v[22:23]
	v_fmac_f64_e32 v[14:15], v[32:33], v[68:69]
	global_load_dwordx4 v[32:35], v[76:77], off offset:32
	global_load_dwordx4 v[66:69], v[76:77], off offset:48
	v_add_u32_e32 v30, -4, v28
	s_waitcnt vmcnt(1)
	v_fmac_f64_e32 v[18:19], v[44:45], v[32:33]
	v_fmac_f64_e32 v[78:79], v[42:43], v[32:33]
	;; [unrolled: 1-line block ×3, first 2 shown]
	v_lshl_add_u64 v[42:43], v[30:31], 4, s[8:9]
	v_fma_f64 v[72:73], -v[44:45], v[34:35], v[78:79]
	global_load_dwordx4 v[42:45], v[42:43], off
	v_add_u32_e32 v30, -11, v28
	v_fmac_f64_e32 v[70:71], v[46:47], v[32:33]
	v_fmac_f64_e32 v[16:17], v[48:49], v[32:33]
	v_lshl_add_u64 v[78:79], v[30:31], 4, s[8:9]
	v_add_u32_e32 v30, -3, v28
	v_fmac_f64_e32 v[22:23], v[58:59], v[32:33]
	v_fmac_f64_e32 v[14:15], v[60:61], v[32:33]
	v_fma_f64 v[70:71], -v[48:49], v[34:35], v[70:71]
	v_fmac_f64_e32 v[16:17], v[46:47], v[34:35]
	v_lshl_add_u64 v[80:81], v[30:31], 4, s[8:9]
	v_add_u32_e32 v30, -10, v28
	v_fma_f64 v[22:23], -v[60:61], v[34:35], v[22:23]
	v_fmac_f64_e32 v[14:15], v[58:59], v[34:35]
	global_load_dwordx4 v[32:35], v[78:79], off
	global_load_dwordx4 v[46:49], v[80:81], off
	v_lshl_add_u64 v[78:79], v[30:31], 4, s[8:9]
	v_add_u32_e32 v30, -2, v28
	s_waitcnt vmcnt(3)
	v_fmac_f64_e32 v[72:73], v[38:39], v[66:67]
	v_fmac_f64_e32 v[18:19], v[40:41], v[66:67]
	;; [unrolled: 1-line block ×4, first 2 shown]
	v_lshl_add_u64 v[80:81], v[30:31], 4, s[8:9]
	v_fma_f64 v[72:73], -v[40:41], v[68:69], v[72:73]
	v_fmac_f64_e32 v[18:19], v[38:39], v[68:69]
	global_load_dwordx4 v[38:41], v[78:79], off
	global_load_dwordx4 v[58:61], v[80:81], off
	v_fma_f64 v[70:71], -v[56:57], v[68:69], v[70:71]
	v_fmac_f64_e32 v[16:17], v[54:55], v[68:69]
	v_add_u32_e32 v30, -9, v28
	v_lshl_add_u64 v[78:79], v[30:31], 4, s[8:9]
	v_add_u32_e32 v30, -1, v28
	v_lshl_add_u64 v[80:81], v[30:31], 4, s[8:9]
	v_add_u32_e32 v30, -8, v28
	v_add_u32_e32 v28, 0x300, v28
	s_waitcnt vmcnt(4)
	v_fmac_f64_e32 v[22:23], v[42:43], v[66:67]
	v_fmac_f64_e32 v[14:15], v[44:45], v[66:67]
	v_fma_f64 v[82:83], -v[44:45], v[68:69], v[22:23]
	v_fmac_f64_e32 v[14:15], v[42:43], v[68:69]
	global_load_dwordx4 v[42:45], v[76:77], off offset:64
	global_load_dwordx4 v[54:57], v[76:77], off offset:80
	s_waitcnt vmcnt(1)
	v_fmac_f64_e32 v[18:19], v[26:27], v[42:43]
	v_fmac_f64_e32 v[16:17], v[34:35], v[42:43]
	;; [unrolled: 1-line block ×4, first 2 shown]
	global_load_dwordx4 v[22:25], v[78:79], off
	global_load_dwordx4 v[66:69], v[80:81], off
	v_fmac_f64_e32 v[70:71], v[32:33], v[42:43]
	v_fmac_f64_e32 v[16:17], v[32:33], v[44:45]
	v_lshl_add_u64 v[32:33], v[30:31], 4, s[8:9]
	v_fmac_f64_e32 v[82:83], v[46:47], v[42:43]
	v_fmac_f64_e32 v[14:15], v[48:49], v[42:43]
	v_fma_f64 v[26:27], -v[26:27], v[44:45], v[72:73]
	v_fma_f64 v[78:79], -v[34:35], v[44:45], v[70:71]
	global_load_dwordx4 v[32:35], v[32:33], off
	v_fma_f64 v[80:81], -v[48:49], v[44:45], v[82:83]
	v_fmac_f64_e32 v[14:15], v[46:47], v[44:45]
	global_load_dwordx4 v[42:45], v[74:75], off
	global_load_dwordx4 v[46:49], v[76:77], off offset:96
	global_load_dwordx4 v[70:73], v[76:77], off offset:112
	s_waitcnt vmcnt(6)
	v_fmac_f64_e32 v[26:27], v[50:51], v[54:55]
	v_fmac_f64_e32 v[18:19], v[52:53], v[54:55]
	v_fmac_f64_e32 v[78:79], v[38:39], v[54:55]
	v_fmac_f64_e32 v[16:17], v[40:41], v[54:55]
	v_fmac_f64_e32 v[80:81], v[58:59], v[54:55]
	v_fmac_f64_e32 v[14:15], v[60:61], v[54:55]
	v_fma_f64 v[26:27], -v[52:53], v[56:57], v[26:27]
	v_fmac_f64_e32 v[18:19], v[50:51], v[56:57]
	v_fma_f64 v[40:41], -v[40:41], v[56:57], v[78:79]
	v_fmac_f64_e32 v[16:17], v[38:39], v[56:57]
	v_fma_f64 v[38:39], -v[60:61], v[56:57], v[80:81]
	v_fmac_f64_e32 v[14:15], v[58:59], v[56:57]
	s_waitcnt vmcnt(1)
	v_fmac_f64_e32 v[26:27], v[62:63], v[46:47]
	v_fmac_f64_e32 v[18:19], v[64:65], v[46:47]
	v_fmac_f64_e32 v[40:41], v[22:23], v[46:47]
	v_fmac_f64_e32 v[16:17], v[24:25], v[46:47]
	v_fmac_f64_e32 v[38:39], v[66:67], v[46:47]
	v_fmac_f64_e32 v[14:15], v[68:69], v[46:47]
	v_fma_f64 v[26:27], -v[64:65], v[48:49], v[26:27]
	v_fmac_f64_e32 v[18:19], v[62:63], v[48:49]
	v_fma_f64 v[24:25], -v[24:25], v[48:49], v[40:41]
	v_fmac_f64_e32 v[16:17], v[22:23], v[48:49]
	v_fma_f64 v[22:23], -v[68:69], v[48:49], v[38:39]
	v_fmac_f64_e32 v[14:15], v[66:67], v[48:49]
	;; [unrolled: 13-line block ×3, first 2 shown]
	s_andn2_b64 exec, exec, s[0:1]
	s_cbranch_execnz .LBB144_17
; %bb.18:
	s_or_b64 exec, exec, s[0:1]
.LBB144_19:
	s_or_b64 exec, exec, s[4:5]
.LBB144_20:
	v_mov_b32_dpp v28, v16 row_shr:1 row_mask:0xf bank_mask:0xf
	v_mov_b32_dpp v29, v17 row_shr:1 row_mask:0xf bank_mask:0xf
	v_add_f64 v[16:17], v[16:17], v[28:29]
	v_mov_b32_dpp v0, v26 row_shr:1 row_mask:0xf bank_mask:0xf
	v_mov_b32_dpp v1, v27 row_shr:1 row_mask:0xf bank_mask:0xf
	v_mov_b32_dpp v28, v16 row_shr:2 row_mask:0xf bank_mask:0xf
	v_mov_b32_dpp v29, v17 row_shr:2 row_mask:0xf bank_mask:0xf
	v_add_f64 v[16:17], v[16:17], v[28:29]
	v_add_f64 v[0:1], v[26:27], v[0:1]
	v_mov_b32_dpp v20, v18 row_shr:1 row_mask:0xf bank_mask:0xf
	v_mov_b32_dpp v28, v16 row_shr:4 row_mask:0xf bank_mask:0xe
	;; [unrolled: 1-line block ×3, first 2 shown]
	v_add_f64 v[16:17], v[16:17], v[28:29]
	v_mov_b32_dpp v21, v19 row_shr:1 row_mask:0xf bank_mask:0xf
	v_mov_b32_dpp v26, v24 row_shr:1 row_mask:0xf bank_mask:0xf
	;; [unrolled: 1-line block ×4, first 2 shown]
	v_add_f64 v[28:29], v[16:17], v[28:29]
	v_mov_b32_dpp v16, v22 row_shr:1 row_mask:0xf bank_mask:0xf
	v_mov_b32_dpp v17, v23 row_shr:1 row_mask:0xf bank_mask:0xf
	v_add_f64 v[16:17], v[22:23], v[16:17]
	v_mov_b32_dpp v27, v25 row_shr:1 row_mask:0xf bank_mask:0xf
	v_add_f64 v[18:19], v[18:19], v[20:21]
	v_mov_b32_dpp v22, v16 row_shr:2 row_mask:0xf bank_mask:0xf
	v_mov_b32_dpp v23, v17 row_shr:2 row_mask:0xf bank_mask:0xf
	v_add_f64 v[16:17], v[16:17], v[22:23]
	v_add_f64 v[24:25], v[24:25], v[26:27]
	v_mov_b32_dpp v2, v0 row_shr:2 row_mask:0xf bank_mask:0xf
	v_mov_b32_dpp v22, v16 row_shr:4 row_mask:0xf bank_mask:0xe
	;; [unrolled: 1-line block ×3, first 2 shown]
	v_add_f64 v[16:17], v[16:17], v[22:23]
	v_mov_b32_dpp v3, v1 row_shr:2 row_mask:0xf bank_mask:0xf
	v_mov_b32_dpp v20, v18 row_shr:2 row_mask:0xf bank_mask:0xf
	v_mov_b32_dpp v22, v16 row_shr:8 row_mask:0xf bank_mask:0xc
	v_mov_b32_dpp v23, v17 row_shr:8 row_mask:0xf bank_mask:0xc
	v_add_f64 v[22:23], v[16:17], v[22:23]
	v_mov_b32_dpp v16, v14 row_shr:1 row_mask:0xf bank_mask:0xf
	v_mov_b32_dpp v17, v15 row_shr:1 row_mask:0xf bank_mask:0xf
	v_add_f64 v[14:15], v[14:15], v[16:17]
	v_mov_b32_dpp v21, v19 row_shr:2 row_mask:0xf bank_mask:0xf
	v_mov_b32_dpp v26, v24 row_shr:2 row_mask:0xf bank_mask:0xf
	;; [unrolled: 1-line block ×5, first 2 shown]
	v_add_f64 v[0:1], v[0:1], v[2:3]
	v_add_f64 v[18:19], v[18:19], v[20:21]
	;; [unrolled: 1-line block ×4, first 2 shown]
	v_mov_b32_dpp v2, v0 row_shr:4 row_mask:0xf bank_mask:0xe
	v_mov_b32_dpp v3, v1 row_shr:4 row_mask:0xf bank_mask:0xe
	v_mov_b32_dpp v20, v18 row_shr:4 row_mask:0xf bank_mask:0xe
	v_mov_b32_dpp v21, v19 row_shr:4 row_mask:0xf bank_mask:0xe
	v_mov_b32_dpp v26, v24 row_shr:4 row_mask:0xf bank_mask:0xe
	v_mov_b32_dpp v27, v25 row_shr:4 row_mask:0xf bank_mask:0xe
	v_mov_b32_dpp v16, v14 row_shr:4 row_mask:0xf bank_mask:0xe
	v_mov_b32_dpp v17, v15 row_shr:4 row_mask:0xf bank_mask:0xe
	v_add_f64 v[0:1], v[0:1], v[2:3]
	v_add_f64 v[18:19], v[18:19], v[20:21]
	;; [unrolled: 1-line block ×4, first 2 shown]
	v_mov_b32_dpp v2, v0 row_shr:8 row_mask:0xf bank_mask:0xc
	v_mov_b32_dpp v3, v1 row_shr:8 row_mask:0xf bank_mask:0xc
	;; [unrolled: 1-line block ×8, first 2 shown]
	v_add_f64 v[0:1], v[0:1], v[2:3]
	v_add_f64 v[18:19], v[18:19], v[20:21]
	;; [unrolled: 1-line block ×4, first 2 shown]
	v_mov_b32_dpp v2, v0 row_bcast:15 row_mask:0xa bank_mask:0xf
	v_mov_b32_dpp v3, v1 row_bcast:15 row_mask:0xa bank_mask:0xf
	;; [unrolled: 1-line block ×12, first 2 shown]
	v_cmp_eq_u32_e32 vcc, 31, v13
	s_and_b64 exec, exec, vcc
	s_cbranch_execz .LBB144_25
; %bb.21:
	s_load_dwordx2 s[2:3], s[2:3], 0x48
	v_cmp_eq_f64_e32 vcc, 0, v[8:9]
	v_cmp_eq_f64_e64 s[0:1], 0, v[10:11]
	v_add_f64 v[16:17], v[0:1], v[2:3]
	v_add_f64 v[20:21], v[18:19], v[20:21]
	;; [unrolled: 1-line block ×6, first 2 shown]
	s_and_b64 s[0:1], vcc, s[0:1]
	s_and_saveexec_b64 s[4:5], s[0:1]
	s_xor_b64 s[0:1], exec, s[4:5]
	s_cbranch_execz .LBB144_23
; %bb.22:
	v_lshl_add_u32 v12, v12, 1, v12
	v_mul_f64 v[8:9], v[20:21], -v[6:7]
	v_mul_f64 v[10:11], v[4:5], v[20:21]
	v_ashrrev_i32_e32 v13, 31, v12
	v_fmac_f64_e32 v[8:9], v[4:5], v[16:17]
	v_fmac_f64_e32 v[10:11], v[6:7], v[16:17]
	s_waitcnt lgkmcnt(0)
	v_lshl_add_u64 v[12:13], v[12:13], 4, s[2:3]
	global_store_dwordx4 v[12:13], v[8:11], off
                                        ; implicit-def: $vgpr16_vgpr17
                                        ; implicit-def: $vgpr20_vgpr21
	s_nop 1
	v_mul_f64 v[8:9], v[18:19], -v[6:7]
	v_mul_f64 v[10:11], v[4:5], v[18:19]
	v_fmac_f64_e32 v[8:9], v[4:5], v[2:3]
	v_fmac_f64_e32 v[10:11], v[6:7], v[2:3]
	v_mul_f64 v[2:3], v[14:15], -v[6:7]
	v_fmac_f64_e32 v[2:3], v[4:5], v[0:1]
	v_mul_f64 v[4:5], v[4:5], v[14:15]
	v_fmac_f64_e32 v[4:5], v[6:7], v[0:1]
	global_store_dwordx4 v[12:13], v[8:11], off offset:16
	global_store_dwordx4 v[12:13], v[2:5], off offset:32
                                        ; implicit-def: $vgpr4_vgpr5
                                        ; implicit-def: $vgpr6_vgpr7
                                        ; implicit-def: $vgpr8_vgpr9
                                        ; implicit-def: $vgpr10_vgpr11
                                        ; implicit-def: $vgpr12
                                        ; implicit-def: $vgpr2_vgpr3
                                        ; implicit-def: $vgpr18_vgpr19
                                        ; implicit-def: $vgpr0_vgpr1
                                        ; implicit-def: $vgpr14_vgpr15
.LBB144_23:
	s_andn2_saveexec_b64 s[0:1], s[0:1]
	s_cbranch_execz .LBB144_25
; %bb.24:
	v_lshl_add_u32 v12, v12, 1, v12
	v_ashrrev_i32_e32 v13, 31, v12
	s_waitcnt lgkmcnt(0)
	v_lshl_add_u64 v[38:39], v[12:13], 4, s[2:3]
	global_load_dwordx4 v[22:25], v[38:39], off
	global_load_dwordx4 v[26:29], v[38:39], off offset:16
	global_load_dwordx4 v[30:33], v[38:39], off offset:32
	v_mul_f64 v[34:35], v[20:21], -v[6:7]
	v_mul_f64 v[20:21], v[4:5], v[20:21]
	v_mul_f64 v[40:41], v[18:19], -v[6:7]
	v_mul_f64 v[36:37], v[4:5], v[18:19]
	;; [unrolled: 2-line block ×3, first 2 shown]
	v_fmac_f64_e32 v[34:35], v[4:5], v[16:17]
	v_fmac_f64_e32 v[20:21], v[6:7], v[16:17]
	;; [unrolled: 1-line block ×6, first 2 shown]
	s_waitcnt vmcnt(2)
	v_fmac_f64_e32 v[34:35], v[8:9], v[22:23]
	v_fmac_f64_e32 v[20:21], v[10:11], v[22:23]
	s_waitcnt vmcnt(1)
	v_fmac_f64_e32 v[40:41], v[8:9], v[26:27]
	v_fmac_f64_e32 v[36:37], v[10:11], v[26:27]
	;; [unrolled: 3-line block ×3, first 2 shown]
	v_fma_f64 v[18:19], -v[10:11], v[24:25], v[34:35]
	v_fmac_f64_e32 v[20:21], v[8:9], v[24:25]
	v_fma_f64 v[34:35], -v[10:11], v[28:29], v[40:41]
	v_fmac_f64_e32 v[36:37], v[8:9], v[28:29]
	;; [unrolled: 2-line block ×3, first 2 shown]
	global_store_dwordx4 v[38:39], v[18:21], off
	global_store_dwordx4 v[38:39], v[34:37], off offset:16
	global_store_dwordx4 v[38:39], v[10:13], off offset:32
.LBB144_25:
	s_endpgm
	.section	.rodata,"a",@progbits
	.p2align	6, 0x0
	.amdhsa_kernel _ZN9rocsparseL19gebsrmvn_3xn_kernelILj128ELj8ELj32E21rocsparse_complex_numIdEEEvi20rocsparse_direction_NS_24const_host_device_scalarIT2_EEPKiS8_PKS5_SA_S6_PS5_21rocsparse_index_base_b
		.amdhsa_group_segment_fixed_size 2048
		.amdhsa_private_segment_fixed_size 0
		.amdhsa_kernarg_size 88
		.amdhsa_user_sgpr_count 4
		.amdhsa_user_sgpr_dispatch_ptr 1
		.amdhsa_user_sgpr_queue_ptr 0
		.amdhsa_user_sgpr_kernarg_segment_ptr 1
		.amdhsa_user_sgpr_dispatch_id 0
		.amdhsa_user_sgpr_kernarg_preload_length 0
		.amdhsa_user_sgpr_kernarg_preload_offset 0
		.amdhsa_user_sgpr_private_segment_size 0
		.amdhsa_uses_dynamic_stack 0
		.amdhsa_enable_private_segment 0
		.amdhsa_system_sgpr_workgroup_id_x 1
		.amdhsa_system_sgpr_workgroup_id_y 0
		.amdhsa_system_sgpr_workgroup_id_z 0
		.amdhsa_system_sgpr_workgroup_info 0
		.amdhsa_system_vgpr_workitem_id 2
		.amdhsa_next_free_vgpr 92
		.amdhsa_next_free_sgpr 20
		.amdhsa_accum_offset 92
		.amdhsa_reserve_vcc 1
		.amdhsa_float_round_mode_32 0
		.amdhsa_float_round_mode_16_64 0
		.amdhsa_float_denorm_mode_32 3
		.amdhsa_float_denorm_mode_16_64 3
		.amdhsa_dx10_clamp 1
		.amdhsa_ieee_mode 1
		.amdhsa_fp16_overflow 0
		.amdhsa_tg_split 0
		.amdhsa_exception_fp_ieee_invalid_op 0
		.amdhsa_exception_fp_denorm_src 0
		.amdhsa_exception_fp_ieee_div_zero 0
		.amdhsa_exception_fp_ieee_overflow 0
		.amdhsa_exception_fp_ieee_underflow 0
		.amdhsa_exception_fp_ieee_inexact 0
		.amdhsa_exception_int_div_zero 0
	.end_amdhsa_kernel
	.section	.text._ZN9rocsparseL19gebsrmvn_3xn_kernelILj128ELj8ELj32E21rocsparse_complex_numIdEEEvi20rocsparse_direction_NS_24const_host_device_scalarIT2_EEPKiS8_PKS5_SA_S6_PS5_21rocsparse_index_base_b,"axG",@progbits,_ZN9rocsparseL19gebsrmvn_3xn_kernelILj128ELj8ELj32E21rocsparse_complex_numIdEEEvi20rocsparse_direction_NS_24const_host_device_scalarIT2_EEPKiS8_PKS5_SA_S6_PS5_21rocsparse_index_base_b,comdat
.Lfunc_end144:
	.size	_ZN9rocsparseL19gebsrmvn_3xn_kernelILj128ELj8ELj32E21rocsparse_complex_numIdEEEvi20rocsparse_direction_NS_24const_host_device_scalarIT2_EEPKiS8_PKS5_SA_S6_PS5_21rocsparse_index_base_b, .Lfunc_end144-_ZN9rocsparseL19gebsrmvn_3xn_kernelILj128ELj8ELj32E21rocsparse_complex_numIdEEEvi20rocsparse_direction_NS_24const_host_device_scalarIT2_EEPKiS8_PKS5_SA_S6_PS5_21rocsparse_index_base_b
                                        ; -- End function
	.section	.AMDGPU.csdata,"",@progbits
; Kernel info:
; codeLenInByte = 3812
; NumSgprs: 26
; NumVgprs: 92
; NumAgprs: 0
; TotalNumVgprs: 92
; ScratchSize: 0
; MemoryBound: 0
; FloatMode: 240
; IeeeMode: 1
; LDSByteSize: 2048 bytes/workgroup (compile time only)
; SGPRBlocks: 3
; VGPRBlocks: 11
; NumSGPRsForWavesPerEU: 26
; NumVGPRsForWavesPerEU: 92
; AccumOffset: 92
; Occupancy: 5
; WaveLimiterHint : 1
; COMPUTE_PGM_RSRC2:SCRATCH_EN: 0
; COMPUTE_PGM_RSRC2:USER_SGPR: 4
; COMPUTE_PGM_RSRC2:TRAP_HANDLER: 0
; COMPUTE_PGM_RSRC2:TGID_X_EN: 1
; COMPUTE_PGM_RSRC2:TGID_Y_EN: 0
; COMPUTE_PGM_RSRC2:TGID_Z_EN: 0
; COMPUTE_PGM_RSRC2:TIDIG_COMP_CNT: 2
; COMPUTE_PGM_RSRC3_GFX90A:ACCUM_OFFSET: 22
; COMPUTE_PGM_RSRC3_GFX90A:TG_SPLIT: 0
	.section	.text._ZN9rocsparseL19gebsrmvn_3xn_kernelILj128ELj8ELj64E21rocsparse_complex_numIdEEEvi20rocsparse_direction_NS_24const_host_device_scalarIT2_EEPKiS8_PKS5_SA_S6_PS5_21rocsparse_index_base_b,"axG",@progbits,_ZN9rocsparseL19gebsrmvn_3xn_kernelILj128ELj8ELj64E21rocsparse_complex_numIdEEEvi20rocsparse_direction_NS_24const_host_device_scalarIT2_EEPKiS8_PKS5_SA_S6_PS5_21rocsparse_index_base_b,comdat
	.globl	_ZN9rocsparseL19gebsrmvn_3xn_kernelILj128ELj8ELj64E21rocsparse_complex_numIdEEEvi20rocsparse_direction_NS_24const_host_device_scalarIT2_EEPKiS8_PKS5_SA_S6_PS5_21rocsparse_index_base_b ; -- Begin function _ZN9rocsparseL19gebsrmvn_3xn_kernelILj128ELj8ELj64E21rocsparse_complex_numIdEEEvi20rocsparse_direction_NS_24const_host_device_scalarIT2_EEPKiS8_PKS5_SA_S6_PS5_21rocsparse_index_base_b
	.p2align	8
	.type	_ZN9rocsparseL19gebsrmvn_3xn_kernelILj128ELj8ELj64E21rocsparse_complex_numIdEEEvi20rocsparse_direction_NS_24const_host_device_scalarIT2_EEPKiS8_PKS5_SA_S6_PS5_21rocsparse_index_base_b,@function
_ZN9rocsparseL19gebsrmvn_3xn_kernelILj128ELj8ELj64E21rocsparse_complex_numIdEEEvi20rocsparse_direction_NS_24const_host_device_scalarIT2_EEPKiS8_PKS5_SA_S6_PS5_21rocsparse_index_base_b: ; @_ZN9rocsparseL19gebsrmvn_3xn_kernelILj128ELj8ELj64E21rocsparse_complex_numIdEEEvi20rocsparse_direction_NS_24const_host_device_scalarIT2_EEPKiS8_PKS5_SA_S6_PS5_21rocsparse_index_base_b
; %bb.0:
	s_load_dwordx2 s[16:17], s[2:3], 0x50
	s_load_dwordx4 s[12:15], s[2:3], 0x8
	s_load_dwordx4 s[8:11], s[2:3], 0x38
	s_load_dwordx2 s[18:19], s[0:1], 0x4
	s_mov_b64 s[6:7], src_shared_base
	s_waitcnt lgkmcnt(0)
	s_bitcmp1_b32 s17, 0
	s_cselect_b64 s[0:1], -1, 0
	s_and_b64 vcc, s[0:1], exec
	s_cselect_b32 s5, s7, s13
	s_lshr_b32 s6, s18, 16
	v_bfe_u32 v2, v0, 10, 10
	v_and_b32_e32 v1, 0x3ff, v0
	s_mul_i32 s6, s6, s19
	v_mul_u32_u24_e32 v2, s19, v2
	v_mad_u32_u24 v2, s6, v1, v2
	v_bfe_u32 v0, v0, 20, 10
	v_add_lshl_u32 v0, v2, v0, 3
	v_mov_b32_e32 v6, s12
	v_add_u32_e32 v7, 0x400, v0
	v_mov_b64_e32 v[2:3], s[12:13]
	v_mov_b64_e32 v[4:5], s[8:9]
	ds_write2st64_b64 v0, v[4:5], v[2:3] offset1:2
	v_cndmask_b32_e64 v2, v6, v7, s[0:1]
	v_mov_b32_e32 v3, s5
	flat_load_dwordx2 v[4:5], v[2:3]
	s_xor_b64 s[18:19], s[0:1], -1
	v_mov_b64_e32 v[6:7], s[14:15]
	s_cbranch_vccnz .LBB145_2
; %bb.1:
	v_mov_b64_e32 v[2:3], s[12:13]
	flat_load_dwordx2 v[6:7], v[2:3] offset:8
.LBB145_2:
	s_and_b64 s[12:13], s[0:1], exec
	s_cselect_b32 s5, s7, s9
	v_mov_b32_e32 v2, s8
	v_cndmask_b32_e64 v2, v2, v0, s[0:1]
	v_mov_b32_e32 v3, s5
	flat_load_dwordx2 v[8:9], v[2:3]
	s_andn2_b64 vcc, exec, s[18:19]
	v_mov_b64_e32 v[10:11], s[10:11]
	s_cbranch_vccnz .LBB145_4
; %bb.3:
	v_mov_b64_e32 v[2:3], s[8:9]
	flat_load_dwordx2 v[10:11], v[2:3] offset:8
.LBB145_4:
	s_waitcnt vmcnt(0) lgkmcnt(0)
	v_cmp_eq_f64_e32 vcc, 0, v[4:5]
	v_cmp_eq_f64_e64 s[0:1], 0, v[6:7]
	s_and_b64 s[8:9], vcc, s[0:1]
	s_mov_b64 s[0:1], -1
	s_and_saveexec_b64 s[6:7], s[8:9]
; %bb.5:
	v_cmp_neq_f64_e32 vcc, 1.0, v[8:9]
	v_cmp_neq_f64_e64 s[0:1], 0, v[10:11]
	s_or_b64 s[0:1], vcc, s[0:1]
	s_orn2_b64 s[0:1], s[0:1], exec
; %bb.6:
	s_or_b64 exec, exec, s[6:7]
	s_and_saveexec_b64 s[6:7], s[0:1]
	s_cbranch_execz .LBB145_25
; %bb.7:
	s_load_dwordx2 s[0:1], s[2:3], 0x0
	v_lshrrev_b32_e32 v0, 6, v1
	v_lshl_or_b32 v12, s4, 1, v0
	s_waitcnt lgkmcnt(0)
	v_cmp_gt_i32_e32 vcc, s0, v12
	s_and_b64 exec, exec, vcc
	s_cbranch_execz .LBB145_25
; %bb.8:
	s_load_dwordx8 s[4:11], s[2:3], 0x18
	v_ashrrev_i32_e32 v13, 31, v12
	s_cmp_lg_u32 s1, 0
	s_waitcnt lgkmcnt(0)
	v_lshl_add_u64 v[2:3], v[12:13], 2, s[4:5]
	global_load_dwordx2 v[2:3], v[2:3], off
	v_and_b32_e32 v13, 63, v1
	s_waitcnt vmcnt(0)
	v_subrev_u32_e32 v0, s16, v2
	v_subrev_u32_e32 v36, s16, v3
	v_add_u32_e32 v20, v0, v13
	v_cmp_lt_i32_e64 s[0:1], v20, v36
	s_cbranch_scc0 .LBB145_14
; %bb.9:
	v_mov_b64_e32 v[18:19], 0
	s_mov_b64 s[4:5], 0
	v_mov_b64_e32 v[26:27], v[18:19]
	v_mov_b64_e32 v[22:23], v[18:19]
	v_mov_b64_e32 v[14:15], v[18:19]
	v_mov_b64_e32 v[24:25], v[18:19]
	v_mov_b64_e32 v[16:17], v[18:19]
	s_and_saveexec_b64 s[12:13], s[0:1]
	s_cbranch_execz .LBB145_13
; %bb.10:
	v_mad_u64_u32 v[28:29], s[14:15], v20, 24, 23
	v_mov_b64_e32 v[18:19], 0
	s_mov_b64 s[14:15], 0
	v_mov_b32_e32 v31, 0
	v_mov_b32_e32 v32, v20
	v_mov_b64_e32 v[26:27], v[18:19]
	v_mov_b64_e32 v[22:23], v[18:19]
	;; [unrolled: 1-line block ×5, first 2 shown]
.LBB145_11:                             ; =>This Inner Loop Header: Depth=1
	v_ashrrev_i32_e32 v33, 31, v32
	v_subrev_u32_e32 v30, 23, v28
	v_lshl_add_u64 v[0:1], v[32:33], 2, s[6:7]
	v_lshl_add_u64 v[2:3], v[30:31], 4, s[8:9]
	global_load_dword v21, v[0:1], off
	global_load_dwordx4 v[38:41], v[2:3], off offset:48
	global_load_dwordx4 v[42:45], v[2:3], off offset:32
	;; [unrolled: 1-line block ×3, first 2 shown]
	global_load_dwordx4 v[50:53], v[2:3], off
	global_load_dwordx4 v[54:57], v[2:3], off offset:112
	global_load_dwordx4 v[58:61], v[2:3], off offset:96
	;; [unrolled: 1-line block ×4, first 2 shown]
	v_add_u32_e32 v30, -15, v28
	v_mov_b32_e32 v35, v31
	v_mov_b32_e32 v29, v31
	v_lshl_add_u64 v[78:79], v[30:31], 4, s[8:9]
	v_add_u32_e32 v30, -14, v28
	v_lshl_add_u64 v[70:71], v[28:29], 4, s[8:9]
	v_lshl_add_u64 v[80:81], v[30:31], 4, s[8:9]
	global_load_dwordx4 v[0:3], v[70:71], off
	s_nop 0
	global_load_dwordx4 v[70:73], v[78:79], off
	global_load_dwordx4 v[74:77], v[80:81], off
	v_add_u32_e32 v30, -13, v28
	v_lshl_add_u64 v[86:87], v[30:31], 4, s[8:9]
	v_add_u32_e32 v30, -12, v28
	v_add_u32_e32 v32, 64, v32
	v_cmp_ge_i32_e32 vcc, v32, v36
	s_or_b64 s[14:15], vcc, s[14:15]
	s_waitcnt vmcnt(11)
	v_subrev_u32_e32 v21, s16, v21
	v_lshlrev_b32_e32 v34, 3, v21
	v_lshl_add_u64 v[34:35], v[34:35], 4, s[10:11]
	global_load_dwordx4 v[78:81], v[34:35], off
	global_load_dwordx4 v[82:85], v[34:35], off offset:16
	s_waitcnt vmcnt(1)
	v_fmac_f64_e32 v[26:27], v[50:51], v[78:79]
	v_fma_f64 v[88:89], -v[52:53], v[80:81], v[26:27]
	v_lshl_add_u64 v[26:27], v[30:31], 4, s[8:9]
	v_add_u32_e32 v30, -11, v28
	v_lshl_add_u64 v[90:91], v[30:31], 4, s[8:9]
	v_add_u32_e32 v30, -10, v28
	v_fmac_f64_e32 v[18:19], v[52:53], v[78:79]
	v_fmac_f64_e32 v[24:25], v[46:47], v[78:79]
	;; [unrolled: 1-line block ×5, first 2 shown]
	v_lshl_add_u64 v[78:79], v[30:31], 4, s[8:9]
	v_add_u32_e32 v30, -9, v28
	v_fmac_f64_e32 v[18:19], v[50:51], v[80:81]
	global_load_dwordx4 v[50:53], v[86:87], off
	v_fma_f64 v[86:87], -v[48:49], v[80:81], v[24:25]
	v_fmac_f64_e32 v[16:17], v[46:47], v[80:81]
	global_load_dwordx4 v[24:27], v[26:27], off
	v_fma_f64 v[22:23], -v[44:45], v[80:81], v[22:23]
	v_fmac_f64_e32 v[14:15], v[42:43], v[80:81]
	global_load_dwordx4 v[42:45], v[90:91], off
	global_load_dwordx4 v[46:49], v[78:79], off
	v_lshl_add_u64 v[78:79], v[30:31], 4, s[8:9]
	v_add_u32_e32 v30, -8, v28
	s_waitcnt vmcnt(4)
	v_fmac_f64_e32 v[88:89], v[38:39], v[82:83]
	v_fmac_f64_e32 v[18:19], v[40:41], v[82:83]
	v_lshl_add_u64 v[80:81], v[30:31], 4, s[8:9]
	v_fmac_f64_e32 v[86:87], v[66:67], v[82:83]
	v_fmac_f64_e32 v[16:17], v[68:69], v[82:83]
	v_fmac_f64_e32 v[22:23], v[62:63], v[82:83]
	v_fmac_f64_e32 v[14:15], v[64:65], v[82:83]
	v_fma_f64 v[88:89], -v[40:41], v[84:85], v[88:89]
	v_fmac_f64_e32 v[18:19], v[38:39], v[84:85]
	global_load_dwordx4 v[38:41], v[78:79], off
	v_fma_f64 v[86:87], -v[68:69], v[84:85], v[86:87]
	v_fmac_f64_e32 v[16:17], v[66:67], v[84:85]
	global_load_dwordx4 v[66:69], v[80:81], off
	v_fma_f64 v[22:23], -v[64:65], v[84:85], v[22:23]
	v_fmac_f64_e32 v[14:15], v[62:63], v[84:85]
	global_load_dwordx4 v[62:65], v[34:35], off offset:32
	global_load_dwordx4 v[78:81], v[34:35], off offset:48
	v_add_u32_e32 v30, -7, v28
	v_lshl_add_u64 v[90:91], v[30:31], 4, s[8:9]
	v_add_u32_e32 v30, -6, v28
	v_lshl_add_u64 v[84:85], v[30:31], 4, s[8:9]
	v_add_u32_e32 v30, -5, v28
	s_waitcnt vmcnt(1)
	v_fmac_f64_e32 v[88:89], v[58:59], v[62:63]
	v_fmac_f64_e32 v[18:19], v[60:61], v[62:63]
	;; [unrolled: 1-line block ×4, first 2 shown]
	v_fma_f64 v[82:83], -v[60:61], v[64:65], v[88:89]
	v_fmac_f64_e32 v[18:19], v[58:59], v[64:65]
	global_load_dwordx4 v[58:61], v[90:91], off
	v_fma_f64 v[86:87], -v[56:57], v[64:65], v[86:87]
	v_fmac_f64_e32 v[16:17], v[54:55], v[64:65]
	global_load_dwordx4 v[54:57], v[84:85], off
	v_lshl_add_u64 v[84:85], v[30:31], 4, s[8:9]
	v_add_u32_e32 v30, -4, v28
	v_fmac_f64_e32 v[22:23], v[70:71], v[62:63]
	v_fmac_f64_e32 v[14:15], v[72:73], v[62:63]
	v_lshl_add_u64 v[88:89], v[30:31], 4, s[8:9]
	v_add_u32_e32 v30, -3, v28
	v_fma_f64 v[22:23], -v[72:73], v[64:65], v[22:23]
	v_fmac_f64_e32 v[14:15], v[70:71], v[64:65]
	global_load_dwordx4 v[62:65], v[84:85], off
	global_load_dwordx4 v[70:73], v[88:89], off
	v_lshl_add_u64 v[84:85], v[30:31], 4, s[8:9]
	v_add_u32_e32 v30, -2, v28
	s_waitcnt vmcnt(4)
	v_fmac_f64_e32 v[82:83], v[74:75], v[78:79]
	v_fmac_f64_e32 v[18:19], v[76:77], v[78:79]
	v_lshl_add_u64 v[88:89], v[30:31], 4, s[8:9]
	v_fmac_f64_e32 v[86:87], v[50:51], v[78:79]
	v_fmac_f64_e32 v[16:17], v[52:53], v[78:79]
	;; [unrolled: 1-line block ×4, first 2 shown]
	v_fma_f64 v[82:83], -v[76:77], v[80:81], v[82:83]
	v_fmac_f64_e32 v[18:19], v[74:75], v[80:81]
	global_load_dwordx4 v[74:77], v[84:85], off
	v_fma_f64 v[84:85], -v[52:53], v[80:81], v[86:87]
	v_fmac_f64_e32 v[16:17], v[50:51], v[80:81]
	global_load_dwordx4 v[50:53], v[88:89], off
	v_fma_f64 v[26:27], -v[26:27], v[80:81], v[22:23]
	v_fmac_f64_e32 v[14:15], v[24:25], v[80:81]
	global_load_dwordx4 v[22:25], v[34:35], off offset:64
	global_load_dwordx4 v[78:81], v[34:35], off offset:80
	v_add_u32_e32 v30, -1, v28
	v_lshl_add_u64 v[86:87], v[30:31], 4, s[8:9]
	v_add_u32_e32 v28, 0x600, v28
	s_waitcnt vmcnt(1)
	v_fmac_f64_e32 v[82:83], v[42:43], v[22:23]
	v_fmac_f64_e32 v[18:19], v[44:45], v[22:23]
	;; [unrolled: 1-line block ×4, first 2 shown]
	v_fma_f64 v[88:89], -v[44:45], v[24:25], v[82:83]
	v_fmac_f64_e32 v[18:19], v[42:43], v[24:25]
	global_load_dwordx4 v[42:45], v[86:87], off
	v_fma_f64 v[86:87], -v[48:49], v[24:25], v[84:85]
	v_fmac_f64_e32 v[16:17], v[46:47], v[24:25]
	global_load_dwordx4 v[46:49], v[34:35], off offset:96
	global_load_dwordx4 v[82:85], v[34:35], off offset:112
	v_fmac_f64_e32 v[26:27], v[38:39], v[22:23]
	v_fmac_f64_e32 v[14:15], v[40:41], v[22:23]
	v_fma_f64 v[22:23], -v[40:41], v[24:25], v[26:27]
	v_fmac_f64_e32 v[14:15], v[38:39], v[24:25]
	s_waitcnt vmcnt(3)
	v_fmac_f64_e32 v[88:89], v[66:67], v[78:79]
	v_fmac_f64_e32 v[18:19], v[68:69], v[78:79]
	v_fmac_f64_e32 v[86:87], v[58:59], v[78:79]
	v_fmac_f64_e32 v[16:17], v[60:61], v[78:79]
	v_fmac_f64_e32 v[22:23], v[54:55], v[78:79]
	v_fmac_f64_e32 v[14:15], v[56:57], v[78:79]
	v_fma_f64 v[24:25], -v[68:69], v[80:81], v[88:89]
	v_fmac_f64_e32 v[18:19], v[66:67], v[80:81]
	v_fma_f64 v[26:27], -v[60:61], v[80:81], v[86:87]
	v_fmac_f64_e32 v[16:17], v[58:59], v[80:81]
	v_fma_f64 v[22:23], -v[56:57], v[80:81], v[22:23]
	v_fmac_f64_e32 v[14:15], v[54:55], v[80:81]
	s_waitcnt vmcnt(1)
	v_fmac_f64_e32 v[24:25], v[62:63], v[46:47]
	v_fmac_f64_e32 v[18:19], v[64:65], v[46:47]
	v_fmac_f64_e32 v[26:27], v[70:71], v[46:47]
	v_fmac_f64_e32 v[16:17], v[72:73], v[46:47]
	v_fmac_f64_e32 v[22:23], v[74:75], v[46:47]
	v_fmac_f64_e32 v[14:15], v[76:77], v[46:47]
	v_fma_f64 v[24:25], -v[64:65], v[48:49], v[24:25]
	v_fmac_f64_e32 v[18:19], v[62:63], v[48:49]
	v_fma_f64 v[34:35], -v[72:73], v[48:49], v[26:27]
	;; [unrolled: 13-line block ×3, first 2 shown]
	v_fmac_f64_e32 v[16:17], v[42:43], v[84:85]
	v_fma_f64 v[22:23], -v[2:3], v[84:85], v[22:23]
	v_fmac_f64_e32 v[14:15], v[0:1], v[84:85]
	s_andn2_b64 exec, exec, s[14:15]
	s_cbranch_execnz .LBB145_11
; %bb.12:
	s_or_b64 exec, exec, s[14:15]
.LBB145_13:
	s_or_b64 exec, exec, s[12:13]
	s_andn2_b64 vcc, exec, s[4:5]
	s_cbranch_vccz .LBB145_15
	s_branch .LBB145_20
.LBB145_14:
                                        ; implicit-def: $vgpr18_vgpr19
                                        ; implicit-def: $vgpr26_vgpr27
                                        ; implicit-def: $vgpr22_vgpr23
                                        ; implicit-def: $vgpr14_vgpr15
                                        ; implicit-def: $vgpr24_vgpr25
                                        ; implicit-def: $vgpr16_vgpr17
.LBB145_15:
	v_mov_b64_e32 v[18:19], 0
	v_mov_b64_e32 v[26:27], v[18:19]
	;; [unrolled: 1-line block ×6, first 2 shown]
	s_and_saveexec_b64 s[4:5], s[0:1]
	s_cbranch_execz .LBB145_19
; %bb.16:
	v_mad_u64_u32 v[28:29], s[0:1], v20, 24, 23
	v_mov_b64_e32 v[18:19], 0
	s_mov_b64 s[0:1], 0
	v_mov_b32_e32 v31, 0
	v_mov_b64_e32 v[26:27], v[18:19]
	v_mov_b64_e32 v[22:23], v[18:19]
	;; [unrolled: 1-line block ×5, first 2 shown]
.LBB145_17:                             ; =>This Inner Loop Header: Depth=1
	v_ashrrev_i32_e32 v21, 31, v20
	v_subrev_u32_e32 v30, 23, v28
	v_add_u32_e32 v2, -15, v28
	v_add_u32_e32 v0, -7, v28
	v_mov_b32_e32 v3, v31
	v_mov_b32_e32 v1, v31
	v_lshl_add_u64 v[34:35], v[20:21], 2, s[6:7]
	v_lshl_add_u64 v[70:71], v[30:31], 4, s[8:9]
	;; [unrolled: 1-line block ×4, first 2 shown]
	global_load_dword v21, v[34:35], off
	global_load_dwordx4 v[38:41], v[70:71], off offset:48
	global_load_dwordx4 v[42:45], v[70:71], off offset:32
	;; [unrolled: 1-line block ×3, first 2 shown]
	global_load_dwordx4 v[50:53], v[70:71], off
	global_load_dwordx4 v[54:57], v[2:3], off
	;; [unrolled: 1-line block ×3, first 2 shown]
	v_mov_b32_e32 v33, v31
	global_load_dwordx4 v[0:3], v[70:71], off offset:112
	global_load_dwordx4 v[62:65], v[70:71], off offset:96
	v_add_u32_e32 v30, -14, v28
	v_lshl_add_u64 v[72:73], v[30:31], 4, s[8:9]
	v_add_u32_e32 v30, -6, v28
	v_mov_b32_e32 v29, v31
	v_lshl_add_u64 v[74:75], v[28:29], 4, s[8:9]
	v_add_u32_e32 v20, 64, v20
	v_cmp_ge_i32_e32 vcc, v20, v36
	s_or_b64 s[0:1], vcc, s[0:1]
	s_waitcnt vmcnt(8)
	v_subrev_u32_e32 v21, s16, v21
	v_lshlrev_b32_e32 v32, 3, v21
	v_lshl_add_u64 v[76:77], v[32:33], 4, s[10:11]
	global_load_dwordx4 v[32:35], v[76:77], off
	global_load_dwordx4 v[66:69], v[76:77], off offset:16
	s_waitcnt vmcnt(1)
	v_fmac_f64_e32 v[26:27], v[50:51], v[32:33]
	v_fmac_f64_e32 v[18:19], v[52:53], v[32:33]
	;; [unrolled: 1-line block ×4, first 2 shown]
	v_fma_f64 v[78:79], -v[52:53], v[34:35], v[26:27]
	v_fmac_f64_e32 v[18:19], v[50:51], v[34:35]
	global_load_dwordx4 v[50:53], v[70:71], off offset:80
	v_fma_f64 v[80:81], -v[56:57], v[34:35], v[24:25]
	v_fmac_f64_e32 v[16:17], v[54:55], v[34:35]
	global_load_dwordx4 v[24:27], v[70:71], off offset:64
	global_load_dwordx4 v[54:57], v[72:73], off
	v_fmac_f64_e32 v[22:23], v[58:59], v[32:33]
	v_fmac_f64_e32 v[14:15], v[60:61], v[32:33]
	v_lshl_add_u64 v[32:33], v[30:31], 4, s[8:9]
	v_fma_f64 v[22:23], -v[60:61], v[34:35], v[22:23]
	v_fmac_f64_e32 v[14:15], v[58:59], v[34:35]
	global_load_dwordx4 v[32:35], v[32:33], off
	v_add_u32_e32 v30, -13, v28
	v_lshl_add_u64 v[70:71], v[30:31], 4, s[8:9]
	v_add_u32_e32 v30, -5, v28
	v_lshl_add_u64 v[72:73], v[30:31], 4, s[8:9]
	v_add_u32_e32 v30, -12, v28
	s_waitcnt vmcnt(4)
	v_fmac_f64_e32 v[78:79], v[46:47], v[66:67]
	v_fmac_f64_e32 v[18:19], v[48:49], v[66:67]
	v_fma_f64 v[78:79], -v[48:49], v[68:69], v[78:79]
	v_fmac_f64_e32 v[18:19], v[46:47], v[68:69]
	global_load_dwordx4 v[46:49], v[70:71], off
	global_load_dwordx4 v[58:61], v[72:73], off
	s_waitcnt vmcnt(3)
	v_fmac_f64_e32 v[16:17], v[56:57], v[66:67]
	v_fmac_f64_e32 v[80:81], v[54:55], v[66:67]
	;; [unrolled: 1-line block ×3, first 2 shown]
	v_lshl_add_u64 v[54:55], v[30:31], 4, s[8:9]
	v_fma_f64 v[70:71], -v[56:57], v[68:69], v[80:81]
	global_load_dwordx4 v[54:57], v[54:55], off
	s_waitcnt vmcnt(3)
	v_fmac_f64_e32 v[22:23], v[32:33], v[66:67]
	v_fmac_f64_e32 v[14:15], v[34:35], v[66:67]
	v_fma_f64 v[22:23], -v[34:35], v[68:69], v[22:23]
	v_fmac_f64_e32 v[14:15], v[32:33], v[68:69]
	global_load_dwordx4 v[32:35], v[76:77], off offset:32
	global_load_dwordx4 v[66:69], v[76:77], off offset:48
	v_add_u32_e32 v30, -4, v28
	s_waitcnt vmcnt(1)
	v_fmac_f64_e32 v[18:19], v[44:45], v[32:33]
	v_fmac_f64_e32 v[78:79], v[42:43], v[32:33]
	;; [unrolled: 1-line block ×3, first 2 shown]
	v_lshl_add_u64 v[42:43], v[30:31], 4, s[8:9]
	v_fma_f64 v[72:73], -v[44:45], v[34:35], v[78:79]
	global_load_dwordx4 v[42:45], v[42:43], off
	v_add_u32_e32 v30, -11, v28
	v_fmac_f64_e32 v[70:71], v[46:47], v[32:33]
	v_fmac_f64_e32 v[16:17], v[48:49], v[32:33]
	v_lshl_add_u64 v[78:79], v[30:31], 4, s[8:9]
	v_add_u32_e32 v30, -3, v28
	v_fmac_f64_e32 v[22:23], v[58:59], v[32:33]
	v_fmac_f64_e32 v[14:15], v[60:61], v[32:33]
	v_fma_f64 v[70:71], -v[48:49], v[34:35], v[70:71]
	v_fmac_f64_e32 v[16:17], v[46:47], v[34:35]
	v_lshl_add_u64 v[80:81], v[30:31], 4, s[8:9]
	v_add_u32_e32 v30, -10, v28
	v_fma_f64 v[22:23], -v[60:61], v[34:35], v[22:23]
	v_fmac_f64_e32 v[14:15], v[58:59], v[34:35]
	global_load_dwordx4 v[32:35], v[78:79], off
	global_load_dwordx4 v[46:49], v[80:81], off
	v_lshl_add_u64 v[78:79], v[30:31], 4, s[8:9]
	v_add_u32_e32 v30, -2, v28
	s_waitcnt vmcnt(3)
	v_fmac_f64_e32 v[72:73], v[38:39], v[66:67]
	v_fmac_f64_e32 v[18:19], v[40:41], v[66:67]
	v_fmac_f64_e32 v[70:71], v[54:55], v[66:67]
	v_fmac_f64_e32 v[16:17], v[56:57], v[66:67]
	v_lshl_add_u64 v[80:81], v[30:31], 4, s[8:9]
	v_fma_f64 v[72:73], -v[40:41], v[68:69], v[72:73]
	v_fmac_f64_e32 v[18:19], v[38:39], v[68:69]
	global_load_dwordx4 v[38:41], v[78:79], off
	global_load_dwordx4 v[58:61], v[80:81], off
	v_fma_f64 v[70:71], -v[56:57], v[68:69], v[70:71]
	v_fmac_f64_e32 v[16:17], v[54:55], v[68:69]
	v_add_u32_e32 v30, -9, v28
	v_lshl_add_u64 v[78:79], v[30:31], 4, s[8:9]
	v_add_u32_e32 v30, -1, v28
	v_lshl_add_u64 v[80:81], v[30:31], 4, s[8:9]
	v_add_u32_e32 v30, -8, v28
	v_add_u32_e32 v28, 0x600, v28
	s_waitcnt vmcnt(4)
	v_fmac_f64_e32 v[22:23], v[42:43], v[66:67]
	v_fmac_f64_e32 v[14:15], v[44:45], v[66:67]
	v_fma_f64 v[82:83], -v[44:45], v[68:69], v[22:23]
	v_fmac_f64_e32 v[14:15], v[42:43], v[68:69]
	global_load_dwordx4 v[42:45], v[76:77], off offset:64
	global_load_dwordx4 v[54:57], v[76:77], off offset:80
	s_waitcnt vmcnt(1)
	v_fmac_f64_e32 v[18:19], v[26:27], v[42:43]
	v_fmac_f64_e32 v[16:17], v[34:35], v[42:43]
	;; [unrolled: 1-line block ×4, first 2 shown]
	global_load_dwordx4 v[22:25], v[78:79], off
	global_load_dwordx4 v[66:69], v[80:81], off
	v_fmac_f64_e32 v[70:71], v[32:33], v[42:43]
	v_fmac_f64_e32 v[16:17], v[32:33], v[44:45]
	v_lshl_add_u64 v[32:33], v[30:31], 4, s[8:9]
	v_fmac_f64_e32 v[82:83], v[46:47], v[42:43]
	v_fmac_f64_e32 v[14:15], v[48:49], v[42:43]
	v_fma_f64 v[26:27], -v[26:27], v[44:45], v[72:73]
	v_fma_f64 v[78:79], -v[34:35], v[44:45], v[70:71]
	global_load_dwordx4 v[32:35], v[32:33], off
	v_fma_f64 v[80:81], -v[48:49], v[44:45], v[82:83]
	v_fmac_f64_e32 v[14:15], v[46:47], v[44:45]
	global_load_dwordx4 v[42:45], v[74:75], off
	global_load_dwordx4 v[46:49], v[76:77], off offset:96
	global_load_dwordx4 v[70:73], v[76:77], off offset:112
	s_waitcnt vmcnt(6)
	v_fmac_f64_e32 v[26:27], v[50:51], v[54:55]
	v_fmac_f64_e32 v[18:19], v[52:53], v[54:55]
	v_fmac_f64_e32 v[78:79], v[38:39], v[54:55]
	v_fmac_f64_e32 v[16:17], v[40:41], v[54:55]
	v_fmac_f64_e32 v[80:81], v[58:59], v[54:55]
	v_fmac_f64_e32 v[14:15], v[60:61], v[54:55]
	v_fma_f64 v[26:27], -v[52:53], v[56:57], v[26:27]
	v_fmac_f64_e32 v[18:19], v[50:51], v[56:57]
	v_fma_f64 v[40:41], -v[40:41], v[56:57], v[78:79]
	v_fmac_f64_e32 v[16:17], v[38:39], v[56:57]
	v_fma_f64 v[38:39], -v[60:61], v[56:57], v[80:81]
	v_fmac_f64_e32 v[14:15], v[58:59], v[56:57]
	s_waitcnt vmcnt(1)
	v_fmac_f64_e32 v[26:27], v[62:63], v[46:47]
	v_fmac_f64_e32 v[18:19], v[64:65], v[46:47]
	v_fmac_f64_e32 v[40:41], v[22:23], v[46:47]
	v_fmac_f64_e32 v[16:17], v[24:25], v[46:47]
	v_fmac_f64_e32 v[38:39], v[66:67], v[46:47]
	v_fmac_f64_e32 v[14:15], v[68:69], v[46:47]
	v_fma_f64 v[26:27], -v[64:65], v[48:49], v[26:27]
	v_fmac_f64_e32 v[18:19], v[62:63], v[48:49]
	v_fma_f64 v[24:25], -v[24:25], v[48:49], v[40:41]
	v_fmac_f64_e32 v[16:17], v[22:23], v[48:49]
	v_fma_f64 v[22:23], -v[68:69], v[48:49], v[38:39]
	v_fmac_f64_e32 v[14:15], v[66:67], v[48:49]
	;; [unrolled: 13-line block ×3, first 2 shown]
	s_andn2_b64 exec, exec, s[0:1]
	s_cbranch_execnz .LBB145_17
; %bb.18:
	s_or_b64 exec, exec, s[0:1]
.LBB145_19:
	s_or_b64 exec, exec, s[4:5]
.LBB145_20:
	v_mov_b32_dpp v28, v16 row_shr:1 row_mask:0xf bank_mask:0xf
	v_mov_b32_dpp v29, v17 row_shr:1 row_mask:0xf bank_mask:0xf
	v_add_f64 v[16:17], v[16:17], v[28:29]
	v_mov_b32_dpp v0, v26 row_shr:1 row_mask:0xf bank_mask:0xf
	v_mov_b32_dpp v1, v27 row_shr:1 row_mask:0xf bank_mask:0xf
	;; [unrolled: 1-line block ×4, first 2 shown]
	v_add_f64 v[16:17], v[16:17], v[28:29]
	v_add_f64 v[0:1], v[26:27], v[0:1]
	v_mov_b32_dpp v20, v18 row_shr:1 row_mask:0xf bank_mask:0xf
	v_mov_b32_dpp v28, v16 row_shr:4 row_mask:0xf bank_mask:0xe
	;; [unrolled: 1-line block ×3, first 2 shown]
	v_add_f64 v[16:17], v[16:17], v[28:29]
	v_mov_b32_dpp v21, v19 row_shr:1 row_mask:0xf bank_mask:0xf
	v_mov_b32_dpp v26, v24 row_shr:1 row_mask:0xf bank_mask:0xf
	;; [unrolled: 1-line block ×4, first 2 shown]
	v_add_f64 v[16:17], v[16:17], v[28:29]
	v_mov_b32_dpp v27, v25 row_shr:1 row_mask:0xf bank_mask:0xf
	v_add_f64 v[18:19], v[18:19], v[20:21]
	v_mov_b32_dpp v28, v16 row_bcast:15 row_mask:0xa bank_mask:0xf
	v_mov_b32_dpp v29, v17 row_bcast:15 row_mask:0xa bank_mask:0xf
	v_add_f64 v[28:29], v[16:17], v[28:29]
	v_mov_b32_dpp v16, v22 row_shr:1 row_mask:0xf bank_mask:0xf
	v_mov_b32_dpp v17, v23 row_shr:1 row_mask:0xf bank_mask:0xf
	v_add_f64 v[16:17], v[22:23], v[16:17]
	v_add_f64 v[24:25], v[24:25], v[26:27]
	v_mov_b32_dpp v2, v0 row_shr:2 row_mask:0xf bank_mask:0xf
	v_mov_b32_dpp v22, v16 row_shr:2 row_mask:0xf bank_mask:0xf
	v_mov_b32_dpp v23, v17 row_shr:2 row_mask:0xf bank_mask:0xf
	v_add_f64 v[16:17], v[16:17], v[22:23]
	v_mov_b32_dpp v3, v1 row_shr:2 row_mask:0xf bank_mask:0xf
	v_mov_b32_dpp v20, v18 row_shr:2 row_mask:0xf bank_mask:0xf
	v_mov_b32_dpp v22, v16 row_shr:4 row_mask:0xf bank_mask:0xe
	v_mov_b32_dpp v23, v17 row_shr:4 row_mask:0xf bank_mask:0xe
	v_add_f64 v[16:17], v[16:17], v[22:23]
	v_mov_b32_dpp v21, v19 row_shr:2 row_mask:0xf bank_mask:0xf
	;; [unrolled: 5-line block ×3, first 2 shown]
	v_add_f64 v[0:1], v[0:1], v[2:3]
	v_mov_b32_dpp v22, v16 row_bcast:15 row_mask:0xa bank_mask:0xf
	v_mov_b32_dpp v23, v17 row_bcast:15 row_mask:0xa bank_mask:0xf
	v_add_f64 v[22:23], v[16:17], v[22:23]
	v_mov_b32_dpp v16, v14 row_shr:1 row_mask:0xf bank_mask:0xf
	v_mov_b32_dpp v17, v15 row_shr:1 row_mask:0xf bank_mask:0xf
	v_add_f64 v[14:15], v[14:15], v[16:17]
	v_add_f64 v[18:19], v[18:19], v[20:21]
	v_add_f64 v[24:25], v[24:25], v[26:27]
	v_mov_b32_dpp v16, v14 row_shr:2 row_mask:0xf bank_mask:0xf
	v_mov_b32_dpp v17, v15 row_shr:2 row_mask:0xf bank_mask:0xf
	v_add_f64 v[14:15], v[14:15], v[16:17]
	v_mov_b32_dpp v2, v0 row_shr:4 row_mask:0xf bank_mask:0xe
	v_mov_b32_dpp v3, v1 row_shr:4 row_mask:0xf bank_mask:0xe
	;; [unrolled: 1-line block ×8, first 2 shown]
	v_add_f64 v[0:1], v[0:1], v[2:3]
	v_add_f64 v[18:19], v[18:19], v[20:21]
	;; [unrolled: 1-line block ×4, first 2 shown]
	v_mov_b32_dpp v2, v0 row_shr:8 row_mask:0xf bank_mask:0xc
	v_mov_b32_dpp v3, v1 row_shr:8 row_mask:0xf bank_mask:0xc
	;; [unrolled: 1-line block ×8, first 2 shown]
	v_add_f64 v[0:1], v[0:1], v[2:3]
	v_add_f64 v[18:19], v[18:19], v[20:21]
	v_add_f64 v[24:25], v[24:25], v[26:27]
	v_add_f64 v[14:15], v[14:15], v[16:17]
	v_mov_b32_dpp v2, v0 row_bcast:15 row_mask:0xa bank_mask:0xf
	v_mov_b32_dpp v3, v1 row_bcast:15 row_mask:0xa bank_mask:0xf
	;; [unrolled: 1-line block ×8, first 2 shown]
	v_add_f64 v[0:1], v[0:1], v[2:3]
	v_add_f64 v[18:19], v[18:19], v[20:21]
	;; [unrolled: 1-line block ×4, first 2 shown]
	v_mov_b32_dpp v2, v0 row_bcast:31 row_mask:0xc bank_mask:0xf
	v_mov_b32_dpp v3, v1 row_bcast:31 row_mask:0xc bank_mask:0xf
	;; [unrolled: 1-line block ×12, first 2 shown]
	v_cmp_eq_u32_e32 vcc, 63, v13
	s_and_b64 exec, exec, vcc
	s_cbranch_execz .LBB145_25
; %bb.21:
	s_load_dwordx2 s[2:3], s[2:3], 0x48
	v_cmp_eq_f64_e32 vcc, 0, v[8:9]
	v_cmp_eq_f64_e64 s[0:1], 0, v[10:11]
	v_add_f64 v[16:17], v[0:1], v[2:3]
	v_add_f64 v[20:21], v[18:19], v[20:21]
	;; [unrolled: 1-line block ×6, first 2 shown]
	s_and_b64 s[0:1], vcc, s[0:1]
	s_and_saveexec_b64 s[4:5], s[0:1]
	s_xor_b64 s[0:1], exec, s[4:5]
	s_cbranch_execz .LBB145_23
; %bb.22:
	v_lshl_add_u32 v12, v12, 1, v12
	v_mul_f64 v[8:9], v[20:21], -v[6:7]
	v_mul_f64 v[10:11], v[4:5], v[20:21]
	v_ashrrev_i32_e32 v13, 31, v12
	v_fmac_f64_e32 v[8:9], v[4:5], v[16:17]
	v_fmac_f64_e32 v[10:11], v[6:7], v[16:17]
	s_waitcnt lgkmcnt(0)
	v_lshl_add_u64 v[12:13], v[12:13], 4, s[2:3]
	global_store_dwordx4 v[12:13], v[8:11], off
                                        ; implicit-def: $vgpr16_vgpr17
                                        ; implicit-def: $vgpr20_vgpr21
	s_nop 1
	v_mul_f64 v[8:9], v[18:19], -v[6:7]
	v_mul_f64 v[10:11], v[4:5], v[18:19]
	v_fmac_f64_e32 v[8:9], v[4:5], v[2:3]
	v_fmac_f64_e32 v[10:11], v[6:7], v[2:3]
	v_mul_f64 v[2:3], v[14:15], -v[6:7]
	v_fmac_f64_e32 v[2:3], v[4:5], v[0:1]
	v_mul_f64 v[4:5], v[4:5], v[14:15]
	v_fmac_f64_e32 v[4:5], v[6:7], v[0:1]
	global_store_dwordx4 v[12:13], v[8:11], off offset:16
	global_store_dwordx4 v[12:13], v[2:5], off offset:32
                                        ; implicit-def: $vgpr4_vgpr5
                                        ; implicit-def: $vgpr6_vgpr7
                                        ; implicit-def: $vgpr8_vgpr9
                                        ; implicit-def: $vgpr10_vgpr11
                                        ; implicit-def: $vgpr12
                                        ; implicit-def: $vgpr2_vgpr3
                                        ; implicit-def: $vgpr18_vgpr19
                                        ; implicit-def: $vgpr0_vgpr1
                                        ; implicit-def: $vgpr14_vgpr15
.LBB145_23:
	s_andn2_saveexec_b64 s[0:1], s[0:1]
	s_cbranch_execz .LBB145_25
; %bb.24:
	v_lshl_add_u32 v12, v12, 1, v12
	v_ashrrev_i32_e32 v13, 31, v12
	s_waitcnt lgkmcnt(0)
	v_lshl_add_u64 v[38:39], v[12:13], 4, s[2:3]
	global_load_dwordx4 v[22:25], v[38:39], off
	global_load_dwordx4 v[26:29], v[38:39], off offset:16
	global_load_dwordx4 v[30:33], v[38:39], off offset:32
	v_mul_f64 v[34:35], v[20:21], -v[6:7]
	v_mul_f64 v[20:21], v[4:5], v[20:21]
	v_mul_f64 v[40:41], v[18:19], -v[6:7]
	v_mul_f64 v[36:37], v[4:5], v[18:19]
	;; [unrolled: 2-line block ×3, first 2 shown]
	v_fmac_f64_e32 v[34:35], v[4:5], v[16:17]
	v_fmac_f64_e32 v[20:21], v[6:7], v[16:17]
	;; [unrolled: 1-line block ×6, first 2 shown]
	s_waitcnt vmcnt(2)
	v_fmac_f64_e32 v[34:35], v[8:9], v[22:23]
	v_fmac_f64_e32 v[20:21], v[10:11], v[22:23]
	s_waitcnt vmcnt(1)
	v_fmac_f64_e32 v[40:41], v[8:9], v[26:27]
	v_fmac_f64_e32 v[36:37], v[10:11], v[26:27]
	;; [unrolled: 3-line block ×3, first 2 shown]
	v_fma_f64 v[18:19], -v[10:11], v[24:25], v[34:35]
	v_fmac_f64_e32 v[20:21], v[8:9], v[24:25]
	v_fma_f64 v[34:35], -v[10:11], v[28:29], v[40:41]
	v_fmac_f64_e32 v[36:37], v[8:9], v[28:29]
	;; [unrolled: 2-line block ×3, first 2 shown]
	global_store_dwordx4 v[38:39], v[18:21], off
	global_store_dwordx4 v[38:39], v[34:37], off offset:16
	global_store_dwordx4 v[38:39], v[10:13], off offset:32
.LBB145_25:
	s_endpgm
	.section	.rodata,"a",@progbits
	.p2align	6, 0x0
	.amdhsa_kernel _ZN9rocsparseL19gebsrmvn_3xn_kernelILj128ELj8ELj64E21rocsparse_complex_numIdEEEvi20rocsparse_direction_NS_24const_host_device_scalarIT2_EEPKiS8_PKS5_SA_S6_PS5_21rocsparse_index_base_b
		.amdhsa_group_segment_fixed_size 2048
		.amdhsa_private_segment_fixed_size 0
		.amdhsa_kernarg_size 88
		.amdhsa_user_sgpr_count 4
		.amdhsa_user_sgpr_dispatch_ptr 1
		.amdhsa_user_sgpr_queue_ptr 0
		.amdhsa_user_sgpr_kernarg_segment_ptr 1
		.amdhsa_user_sgpr_dispatch_id 0
		.amdhsa_user_sgpr_kernarg_preload_length 0
		.amdhsa_user_sgpr_kernarg_preload_offset 0
		.amdhsa_user_sgpr_private_segment_size 0
		.amdhsa_uses_dynamic_stack 0
		.amdhsa_enable_private_segment 0
		.amdhsa_system_sgpr_workgroup_id_x 1
		.amdhsa_system_sgpr_workgroup_id_y 0
		.amdhsa_system_sgpr_workgroup_id_z 0
		.amdhsa_system_sgpr_workgroup_info 0
		.amdhsa_system_vgpr_workitem_id 2
		.amdhsa_next_free_vgpr 92
		.amdhsa_next_free_sgpr 20
		.amdhsa_accum_offset 92
		.amdhsa_reserve_vcc 1
		.amdhsa_float_round_mode_32 0
		.amdhsa_float_round_mode_16_64 0
		.amdhsa_float_denorm_mode_32 3
		.amdhsa_float_denorm_mode_16_64 3
		.amdhsa_dx10_clamp 1
		.amdhsa_ieee_mode 1
		.amdhsa_fp16_overflow 0
		.amdhsa_tg_split 0
		.amdhsa_exception_fp_ieee_invalid_op 0
		.amdhsa_exception_fp_denorm_src 0
		.amdhsa_exception_fp_ieee_div_zero 0
		.amdhsa_exception_fp_ieee_overflow 0
		.amdhsa_exception_fp_ieee_underflow 0
		.amdhsa_exception_fp_ieee_inexact 0
		.amdhsa_exception_int_div_zero 0
	.end_amdhsa_kernel
	.section	.text._ZN9rocsparseL19gebsrmvn_3xn_kernelILj128ELj8ELj64E21rocsparse_complex_numIdEEEvi20rocsparse_direction_NS_24const_host_device_scalarIT2_EEPKiS8_PKS5_SA_S6_PS5_21rocsparse_index_base_b,"axG",@progbits,_ZN9rocsparseL19gebsrmvn_3xn_kernelILj128ELj8ELj64E21rocsparse_complex_numIdEEEvi20rocsparse_direction_NS_24const_host_device_scalarIT2_EEPKiS8_PKS5_SA_S6_PS5_21rocsparse_index_base_b,comdat
.Lfunc_end145:
	.size	_ZN9rocsparseL19gebsrmvn_3xn_kernelILj128ELj8ELj64E21rocsparse_complex_numIdEEEvi20rocsparse_direction_NS_24const_host_device_scalarIT2_EEPKiS8_PKS5_SA_S6_PS5_21rocsparse_index_base_b, .Lfunc_end145-_ZN9rocsparseL19gebsrmvn_3xn_kernelILj128ELj8ELj64E21rocsparse_complex_numIdEEEvi20rocsparse_direction_NS_24const_host_device_scalarIT2_EEPKiS8_PKS5_SA_S6_PS5_21rocsparse_index_base_b
                                        ; -- End function
	.section	.AMDGPU.csdata,"",@progbits
; Kernel info:
; codeLenInByte = 3956
; NumSgprs: 26
; NumVgprs: 92
; NumAgprs: 0
; TotalNumVgprs: 92
; ScratchSize: 0
; MemoryBound: 0
; FloatMode: 240
; IeeeMode: 1
; LDSByteSize: 2048 bytes/workgroup (compile time only)
; SGPRBlocks: 3
; VGPRBlocks: 11
; NumSGPRsForWavesPerEU: 26
; NumVGPRsForWavesPerEU: 92
; AccumOffset: 92
; Occupancy: 5
; WaveLimiterHint : 1
; COMPUTE_PGM_RSRC2:SCRATCH_EN: 0
; COMPUTE_PGM_RSRC2:USER_SGPR: 4
; COMPUTE_PGM_RSRC2:TRAP_HANDLER: 0
; COMPUTE_PGM_RSRC2:TGID_X_EN: 1
; COMPUTE_PGM_RSRC2:TGID_Y_EN: 0
; COMPUTE_PGM_RSRC2:TGID_Z_EN: 0
; COMPUTE_PGM_RSRC2:TIDIG_COMP_CNT: 2
; COMPUTE_PGM_RSRC3_GFX90A:ACCUM_OFFSET: 22
; COMPUTE_PGM_RSRC3_GFX90A:TG_SPLIT: 0
	.section	.text._ZN9rocsparseL23gebsrmvn_general_kernelILj48ELj16E21rocsparse_complex_numIdEEEvi20rocsparse_direction_NS_24const_host_device_scalarIT1_EEPKiS8_PKS5_iiSA_S6_PS5_21rocsparse_index_base_b,"axG",@progbits,_ZN9rocsparseL23gebsrmvn_general_kernelILj48ELj16E21rocsparse_complex_numIdEEEvi20rocsparse_direction_NS_24const_host_device_scalarIT1_EEPKiS8_PKS5_iiSA_S6_PS5_21rocsparse_index_base_b,comdat
	.globl	_ZN9rocsparseL23gebsrmvn_general_kernelILj48ELj16E21rocsparse_complex_numIdEEEvi20rocsparse_direction_NS_24const_host_device_scalarIT1_EEPKiS8_PKS5_iiSA_S6_PS5_21rocsparse_index_base_b ; -- Begin function _ZN9rocsparseL23gebsrmvn_general_kernelILj48ELj16E21rocsparse_complex_numIdEEEvi20rocsparse_direction_NS_24const_host_device_scalarIT1_EEPKiS8_PKS5_iiSA_S6_PS5_21rocsparse_index_base_b
	.p2align	8
	.type	_ZN9rocsparseL23gebsrmvn_general_kernelILj48ELj16E21rocsparse_complex_numIdEEEvi20rocsparse_direction_NS_24const_host_device_scalarIT1_EEPKiS8_PKS5_iiSA_S6_PS5_21rocsparse_index_base_b,@function
_ZN9rocsparseL23gebsrmvn_general_kernelILj48ELj16E21rocsparse_complex_numIdEEEvi20rocsparse_direction_NS_24const_host_device_scalarIT1_EEPKiS8_PKS5_iiSA_S6_PS5_21rocsparse_index_base_b: ; @_ZN9rocsparseL23gebsrmvn_general_kernelILj48ELj16E21rocsparse_complex_numIdEEEvi20rocsparse_direction_NS_24const_host_device_scalarIT1_EEPKiS8_PKS5_iiSA_S6_PS5_21rocsparse_index_base_b
; %bb.0:
	s_load_dwordx2 s[16:17], s[2:3], 0x58
	s_load_dwordx4 s[12:15], s[2:3], 0x8
	s_load_dwordx4 s[8:11], s[2:3], 0x40
	s_load_dwordx2 s[18:19], s[0:1], 0x4
	s_mov_b64 s[6:7], src_shared_base
	s_waitcnt lgkmcnt(0)
	s_bitcmp1_b32 s17, 0
	s_cselect_b64 s[0:1], -1, 0
	s_and_b64 vcc, s[0:1], exec
	s_cselect_b32 s5, s7, s13
	s_lshr_b32 s6, s18, 16
	v_bfe_u32 v2, v0, 10, 10
	v_and_b32_e32 v1, 0x3ff, v0
	s_mul_i32 s6, s6, s19
	v_mul_u32_u24_e32 v2, s19, v2
	v_mad_u32_u24 v2, s6, v1, v2
	v_bfe_u32 v0, v0, 20, 10
	v_add_lshl_u32 v0, v2, v0, 3
	v_mov_b32_e32 v6, s12
	v_add_u32_e32 v7, 0x180, v0
	v_mov_b64_e32 v[2:3], s[12:13]
	v_mov_b64_e32 v[4:5], s[8:9]
	ds_write2_b64 v0, v[4:5], v[2:3] offset1:48
	v_cndmask_b32_e64 v2, v6, v7, s[0:1]
	v_mov_b32_e32 v3, s5
	flat_load_dwordx2 v[4:5], v[2:3]
	s_xor_b64 s[18:19], s[0:1], -1
	v_mov_b64_e32 v[6:7], s[14:15]
	s_cbranch_vccnz .LBB146_2
; %bb.1:
	v_mov_b64_e32 v[2:3], s[12:13]
	flat_load_dwordx2 v[6:7], v[2:3] offset:8
.LBB146_2:
	s_and_b64 s[12:13], s[0:1], exec
	s_cselect_b32 s5, s7, s9
	v_mov_b32_e32 v2, s8
	v_cndmask_b32_e64 v2, v2, v0, s[0:1]
	v_mov_b32_e32 v3, s5
	flat_load_dwordx2 v[8:9], v[2:3]
	s_andn2_b64 vcc, exec, s[18:19]
	v_mov_b64_e32 v[10:11], s[10:11]
	s_cbranch_vccnz .LBB146_4
; %bb.3:
	v_mov_b64_e32 v[2:3], s[8:9]
	flat_load_dwordx2 v[10:11], v[2:3] offset:8
.LBB146_4:
	s_waitcnt vmcnt(0) lgkmcnt(0)
	v_cmp_eq_f64_e32 vcc, 0, v[4:5]
	v_cmp_eq_f64_e64 s[0:1], 0, v[6:7]
	s_and_b64 s[8:9], vcc, s[0:1]
	s_mov_b64 s[0:1], -1
	s_and_saveexec_b64 s[6:7], s[8:9]
; %bb.5:
	v_cmp_neq_f64_e32 vcc, 1.0, v[8:9]
	v_cmp_neq_f64_e64 s[0:1], 0, v[10:11]
	s_or_b64 s[0:1], vcc, s[0:1]
	s_orn2_b64 s[0:1], s[0:1], exec
; %bb.6:
	s_or_b64 exec, exec, s[6:7]
	s_and_saveexec_b64 s[6:7], s[0:1]
	s_cbranch_execz .LBB146_26
; %bb.7:
	s_load_dwordx2 s[12:13], s[2:3], 0x30
	v_lshrrev_b32_e32 v12, 4, v1
	s_waitcnt lgkmcnt(0)
	v_cmp_gt_i32_e32 vcc, s12, v12
	s_and_b64 exec, exec, vcc
	s_cbranch_execz .LBB146_26
; %bb.8:
	s_load_dwordx4 s[8:11], s[2:3], 0x18
	s_load_dword s20, s[2:3], 0x4
	s_ashr_i32 s5, s4, 31
	s_lshl_b64 s[0:1], s[4:5], 2
	s_mul_i32 s34, s4, s12
	s_waitcnt lgkmcnt(0)
	s_add_u32 s0, s8, s0
	s_addc_u32 s1, s9, s1
	s_load_dwordx2 s[6:7], s[0:1], 0x0
	s_load_dwordx2 s[8:9], s[2:3], 0x28
	;; [unrolled: 1-line block ×4, first 2 shown]
	v_and_b32_e32 v13, 15, v1
	s_waitcnt lgkmcnt(0)
	s_sub_i32 s17, s6, s16
	s_sub_i32 s33, s7, s16
	s_cmp_lt_i32 s6, s7
	s_mul_i32 s4, s12, s17
	s_cselect_b64 s[24:25], -1, 0
	v_add_u32_e32 v0, s4, v12
	s_cmp_lg_u32 s20, 0
	v_cmp_eq_f64_e32 vcc, 0, v[8:9]
	v_cmp_eq_f64_e64 s[6:7], 0, v[10:11]
	v_mul_lo_u32 v18, s13, v0
	v_cndmask_b32_e64 v0, 0, 1, s[24:25]
	v_cmp_gt_i32_e64 s[0:1], s13, v13
	s_cselect_b64 s[20:21], -1, 0
	v_cmp_eq_u32_e64 s[2:3], 15, v13
	s_mov_b64 s[22:23], 0
	s_and_b64 s[6:7], vcc, s[6:7]
	s_mul_i32 s35, s13, 3
	s_mul_i32 s36, s13, s12
	v_cmp_ne_u32_e64 s[4:5], 1, v0
	s_branch .LBB146_10
.LBB146_9:                              ;   in Loop: Header=BB146_10 Depth=1
	s_or_b64 exec, exec, s[24:25]
	v_add_u32_e32 v12, 3, v12
	v_cmp_le_i32_e32 vcc, s12, v12
	s_or_b64 s[22:23], vcc, s[22:23]
	v_add_u32_e32 v18, s35, v18
	s_andn2_b64 exec, exec, s[22:23]
	s_cbranch_execz .LBB146_26
.LBB146_10:                             ; =>This Loop Header: Depth=1
                                        ;     Child Loop BB146_14 Depth 2
                                        ;       Child Loop BB146_17 Depth 3
	v_mov_b64_e32 v[0:1], 0
	s_and_b64 vcc, exec, s[4:5]
	v_mov_b64_e32 v[2:3], v[0:1]
	s_cbranch_vccnz .LBB146_21
; %bb.11:                               ;   in Loop: Header=BB146_10 Depth=1
	v_mov_b64_e32 v[0:1], 0
	v_mov_b32_e32 v16, v18
	s_mov_b32 s24, s17
	v_mov_b64_e32 v[2:3], v[0:1]
	s_branch .LBB146_14
.LBB146_12:                             ;   in Loop: Header=BB146_14 Depth=2
	s_or_b64 exec, exec, s[28:29]
.LBB146_13:                             ;   in Loop: Header=BB146_14 Depth=2
	s_or_b64 exec, exec, s[26:27]
	s_add_i32 s24, s24, 1
	s_cmp_ge_i32 s24, s33
	v_add_u32_e32 v16, s36, v16
	s_cbranch_scc1 .LBB146_21
.LBB146_14:                             ;   Parent Loop BB146_10 Depth=1
                                        ; =>  This Loop Header: Depth=2
                                        ;       Child Loop BB146_17 Depth 3
	s_and_saveexec_b64 s[26:27], s[0:1]
	s_cbranch_execz .LBB146_13
; %bb.15:                               ;   in Loop: Header=BB146_14 Depth=2
	s_ashr_i32 s25, s24, 31
	s_lshl_b64 s[28:29], s[24:25], 2
	s_add_u32 s28, s10, s28
	s_addc_u32 s29, s11, s29
	s_load_dword s30, s[28:29], 0x0
	s_mul_i32 s25, s24, s13
	s_mov_b64 s[28:29], 0
	v_mov_b32_e32 v17, v13
	s_waitcnt lgkmcnt(0)
	s_sub_i32 s37, s30, s16
	s_mul_i32 s37, s37, s13
	s_branch .LBB146_17
.LBB146_16:                             ;   in Loop: Header=BB146_17 Depth=3
	v_ashrrev_i32_e32 v15, 31, v14
	v_lshl_add_u64 v[14:15], v[14:15], 4, s[8:9]
	global_load_dwordx4 v[20:23], v[14:15], off
	v_add_u32_e32 v14, s37, v17
	v_ashrrev_i32_e32 v15, 31, v14
	v_lshl_add_u64 v[14:15], v[14:15], 4, s[18:19]
	global_load_dwordx4 v[24:27], v[14:15], off
	v_add_u32_e32 v17, 16, v17
	v_cmp_le_i32_e32 vcc, s13, v17
	s_or_b64 s[28:29], vcc, s[28:29]
	s_waitcnt vmcnt(0)
	v_fmac_f64_e32 v[2:3], v[20:21], v[24:25]
	v_fmac_f64_e32 v[0:1], v[22:23], v[24:25]
	v_fma_f64 v[2:3], -v[22:23], v[26:27], v[2:3]
	v_fmac_f64_e32 v[0:1], v[20:21], v[26:27]
	s_andn2_b64 exec, exec, s[28:29]
	s_cbranch_execz .LBB146_12
.LBB146_17:                             ;   Parent Loop BB146_10 Depth=1
                                        ;     Parent Loop BB146_14 Depth=2
                                        ; =>    This Inner Loop Header: Depth=3
	s_and_b64 vcc, exec, s[20:21]
	s_cbranch_vccz .LBB146_19
; %bb.18:                               ;   in Loop: Header=BB146_17 Depth=3
	v_add_u32_e32 v14, s25, v17
	v_mad_u64_u32 v[14:15], s[30:31], v14, s12, v[12:13]
	s_cbranch_execnz .LBB146_16
	s_branch .LBB146_20
.LBB146_19:                             ;   in Loop: Header=BB146_17 Depth=3
                                        ; implicit-def: $vgpr14
.LBB146_20:                             ;   in Loop: Header=BB146_17 Depth=3
	v_add_u32_e32 v14, v16, v17
	s_branch .LBB146_16
.LBB146_21:                             ;   in Loop: Header=BB146_10 Depth=1
	s_nop 0
	v_mov_b32_dpp v14, v2 row_shr:1 row_mask:0xf bank_mask:0xf
	v_mov_b32_dpp v15, v3 row_shr:1 row_mask:0xf bank_mask:0xf
	v_mov_b32_dpp v16, v0 row_shr:1 row_mask:0xf bank_mask:0xf
	v_mov_b32_dpp v17, v1 row_shr:1 row_mask:0xf bank_mask:0xf
	v_add_f64 v[2:3], v[2:3], v[14:15]
	v_add_f64 v[0:1], v[0:1], v[16:17]
	s_nop 0
	v_mov_b32_dpp v14, v2 row_shr:2 row_mask:0xf bank_mask:0xf
	v_mov_b32_dpp v15, v3 row_shr:2 row_mask:0xf bank_mask:0xf
	v_mov_b32_dpp v16, v0 row_shr:2 row_mask:0xf bank_mask:0xf
	v_mov_b32_dpp v17, v1 row_shr:2 row_mask:0xf bank_mask:0xf
	v_add_f64 v[2:3], v[2:3], v[14:15]
	v_add_f64 v[0:1], v[0:1], v[16:17]
	;; [unrolled: 7-line block ×3, first 2 shown]
	s_nop 0
	v_mov_b32_dpp v14, v2 row_shr:8 row_mask:0xf bank_mask:0xc
	v_mov_b32_dpp v15, v3 row_shr:8 row_mask:0xf bank_mask:0xc
	;; [unrolled: 1-line block ×4, first 2 shown]
	s_and_saveexec_b64 s[24:25], s[2:3]
	s_cbranch_execz .LBB146_9
; %bb.22:                               ;   in Loop: Header=BB146_10 Depth=1
	v_add_f64 v[20:21], v[2:3], v[14:15]
	v_add_f64 v[2:3], v[0:1], v[16:17]
	v_mul_f64 v[0:1], v[2:3], -v[6:7]
	v_mul_f64 v[2:3], v[4:5], v[2:3]
	v_add_u32_e32 v14, s34, v12
	v_fmac_f64_e32 v[0:1], v[4:5], v[20:21]
	v_fmac_f64_e32 v[2:3], v[6:7], v[20:21]
	v_ashrrev_i32_e32 v15, 31, v14
	s_and_saveexec_b64 s[26:27], s[6:7]
	s_xor_b64 s[26:27], exec, s[26:27]
	s_cbranch_execz .LBB146_24
; %bb.23:                               ;   in Loop: Header=BB146_10 Depth=1
	v_lshl_add_u64 v[14:15], v[14:15], 4, s[14:15]
	global_store_dwordx4 v[14:15], v[0:3], off
                                        ; implicit-def: $vgpr14
                                        ; implicit-def: $vgpr0_vgpr1
.LBB146_24:                             ;   in Loop: Header=BB146_10 Depth=1
	s_andn2_saveexec_b64 s[26:27], s[26:27]
	s_cbranch_execz .LBB146_9
; %bb.25:                               ;   in Loop: Header=BB146_10 Depth=1
	v_lshl_add_u64 v[20:21], v[14:15], 4, s[14:15]
	global_load_dwordx4 v[14:17], v[20:21], off
	s_waitcnt vmcnt(0)
	v_fmac_f64_e32 v[0:1], v[8:9], v[14:15]
	v_fmac_f64_e32 v[2:3], v[10:11], v[14:15]
	v_fma_f64 v[0:1], -v[10:11], v[16:17], v[0:1]
	v_fmac_f64_e32 v[2:3], v[8:9], v[16:17]
	global_store_dwordx4 v[20:21], v[0:3], off
	s_branch .LBB146_9
.LBB146_26:
	s_endpgm
	.section	.rodata,"a",@progbits
	.p2align	6, 0x0
	.amdhsa_kernel _ZN9rocsparseL23gebsrmvn_general_kernelILj48ELj16E21rocsparse_complex_numIdEEEvi20rocsparse_direction_NS_24const_host_device_scalarIT1_EEPKiS8_PKS5_iiSA_S6_PS5_21rocsparse_index_base_b
		.amdhsa_group_segment_fixed_size 768
		.amdhsa_private_segment_fixed_size 0
		.amdhsa_kernarg_size 96
		.amdhsa_user_sgpr_count 4
		.amdhsa_user_sgpr_dispatch_ptr 1
		.amdhsa_user_sgpr_queue_ptr 0
		.amdhsa_user_sgpr_kernarg_segment_ptr 1
		.amdhsa_user_sgpr_dispatch_id 0
		.amdhsa_user_sgpr_kernarg_preload_length 0
		.amdhsa_user_sgpr_kernarg_preload_offset 0
		.amdhsa_user_sgpr_private_segment_size 0
		.amdhsa_uses_dynamic_stack 0
		.amdhsa_enable_private_segment 0
		.amdhsa_system_sgpr_workgroup_id_x 1
		.amdhsa_system_sgpr_workgroup_id_y 0
		.amdhsa_system_sgpr_workgroup_id_z 0
		.amdhsa_system_sgpr_workgroup_info 0
		.amdhsa_system_vgpr_workitem_id 2
		.amdhsa_next_free_vgpr 28
		.amdhsa_next_free_sgpr 38
		.amdhsa_accum_offset 28
		.amdhsa_reserve_vcc 1
		.amdhsa_float_round_mode_32 0
		.amdhsa_float_round_mode_16_64 0
		.amdhsa_float_denorm_mode_32 3
		.amdhsa_float_denorm_mode_16_64 3
		.amdhsa_dx10_clamp 1
		.amdhsa_ieee_mode 1
		.amdhsa_fp16_overflow 0
		.amdhsa_tg_split 0
		.amdhsa_exception_fp_ieee_invalid_op 0
		.amdhsa_exception_fp_denorm_src 0
		.amdhsa_exception_fp_ieee_div_zero 0
		.amdhsa_exception_fp_ieee_overflow 0
		.amdhsa_exception_fp_ieee_underflow 0
		.amdhsa_exception_fp_ieee_inexact 0
		.amdhsa_exception_int_div_zero 0
	.end_amdhsa_kernel
	.section	.text._ZN9rocsparseL23gebsrmvn_general_kernelILj48ELj16E21rocsparse_complex_numIdEEEvi20rocsparse_direction_NS_24const_host_device_scalarIT1_EEPKiS8_PKS5_iiSA_S6_PS5_21rocsparse_index_base_b,"axG",@progbits,_ZN9rocsparseL23gebsrmvn_general_kernelILj48ELj16E21rocsparse_complex_numIdEEEvi20rocsparse_direction_NS_24const_host_device_scalarIT1_EEPKiS8_PKS5_iiSA_S6_PS5_21rocsparse_index_base_b,comdat
.Lfunc_end146:
	.size	_ZN9rocsparseL23gebsrmvn_general_kernelILj48ELj16E21rocsparse_complex_numIdEEEvi20rocsparse_direction_NS_24const_host_device_scalarIT1_EEPKiS8_PKS5_iiSA_S6_PS5_21rocsparse_index_base_b, .Lfunc_end146-_ZN9rocsparseL23gebsrmvn_general_kernelILj48ELj16E21rocsparse_complex_numIdEEEvi20rocsparse_direction_NS_24const_host_device_scalarIT1_EEPKiS8_PKS5_iiSA_S6_PS5_21rocsparse_index_base_b
                                        ; -- End function
	.section	.AMDGPU.csdata,"",@progbits
; Kernel info:
; codeLenInByte = 1120
; NumSgprs: 44
; NumVgprs: 28
; NumAgprs: 0
; TotalNumVgprs: 28
; ScratchSize: 0
; MemoryBound: 0
; FloatMode: 240
; IeeeMode: 1
; LDSByteSize: 768 bytes/workgroup (compile time only)
; SGPRBlocks: 5
; VGPRBlocks: 3
; NumSGPRsForWavesPerEU: 44
; NumVGPRsForWavesPerEU: 28
; AccumOffset: 28
; Occupancy: 8
; WaveLimiterHint : 1
; COMPUTE_PGM_RSRC2:SCRATCH_EN: 0
; COMPUTE_PGM_RSRC2:USER_SGPR: 4
; COMPUTE_PGM_RSRC2:TRAP_HANDLER: 0
; COMPUTE_PGM_RSRC2:TGID_X_EN: 1
; COMPUTE_PGM_RSRC2:TGID_Y_EN: 0
; COMPUTE_PGM_RSRC2:TGID_Z_EN: 0
; COMPUTE_PGM_RSRC2:TIDIG_COMP_CNT: 2
; COMPUTE_PGM_RSRC3_GFX90A:ACCUM_OFFSET: 6
; COMPUTE_PGM_RSRC3_GFX90A:TG_SPLIT: 0
	.section	.text._ZN9rocsparseL23gebsrmvn_general_kernelILj96ELj32E21rocsparse_complex_numIdEEEvi20rocsparse_direction_NS_24const_host_device_scalarIT1_EEPKiS8_PKS5_iiSA_S6_PS5_21rocsparse_index_base_b,"axG",@progbits,_ZN9rocsparseL23gebsrmvn_general_kernelILj96ELj32E21rocsparse_complex_numIdEEEvi20rocsparse_direction_NS_24const_host_device_scalarIT1_EEPKiS8_PKS5_iiSA_S6_PS5_21rocsparse_index_base_b,comdat
	.globl	_ZN9rocsparseL23gebsrmvn_general_kernelILj96ELj32E21rocsparse_complex_numIdEEEvi20rocsparse_direction_NS_24const_host_device_scalarIT1_EEPKiS8_PKS5_iiSA_S6_PS5_21rocsparse_index_base_b ; -- Begin function _ZN9rocsparseL23gebsrmvn_general_kernelILj96ELj32E21rocsparse_complex_numIdEEEvi20rocsparse_direction_NS_24const_host_device_scalarIT1_EEPKiS8_PKS5_iiSA_S6_PS5_21rocsparse_index_base_b
	.p2align	8
	.type	_ZN9rocsparseL23gebsrmvn_general_kernelILj96ELj32E21rocsparse_complex_numIdEEEvi20rocsparse_direction_NS_24const_host_device_scalarIT1_EEPKiS8_PKS5_iiSA_S6_PS5_21rocsparse_index_base_b,@function
_ZN9rocsparseL23gebsrmvn_general_kernelILj96ELj32E21rocsparse_complex_numIdEEEvi20rocsparse_direction_NS_24const_host_device_scalarIT1_EEPKiS8_PKS5_iiSA_S6_PS5_21rocsparse_index_base_b: ; @_ZN9rocsparseL23gebsrmvn_general_kernelILj96ELj32E21rocsparse_complex_numIdEEEvi20rocsparse_direction_NS_24const_host_device_scalarIT1_EEPKiS8_PKS5_iiSA_S6_PS5_21rocsparse_index_base_b
; %bb.0:
	s_load_dwordx2 s[16:17], s[2:3], 0x58
	s_load_dwordx4 s[12:15], s[2:3], 0x8
	s_load_dwordx4 s[8:11], s[2:3], 0x40
	s_load_dwordx2 s[18:19], s[0:1], 0x4
	s_mov_b64 s[6:7], src_shared_base
	s_waitcnt lgkmcnt(0)
	s_bitcmp1_b32 s17, 0
	s_cselect_b64 s[0:1], -1, 0
	s_and_b64 vcc, s[0:1], exec
	s_cselect_b32 s5, s7, s13
	s_lshr_b32 s6, s18, 16
	v_bfe_u32 v2, v0, 10, 10
	v_and_b32_e32 v1, 0x3ff, v0
	s_mul_i32 s6, s6, s19
	v_mul_u32_u24_e32 v2, s19, v2
	v_mad_u32_u24 v2, s6, v1, v2
	v_bfe_u32 v0, v0, 20, 10
	v_add_lshl_u32 v0, v2, v0, 3
	v_mov_b32_e32 v6, s12
	v_add_u32_e32 v7, 0x300, v0
	v_mov_b64_e32 v[2:3], s[12:13]
	v_mov_b64_e32 v[4:5], s[8:9]
	ds_write2_b64 v0, v[4:5], v[2:3] offset1:96
	v_cndmask_b32_e64 v2, v6, v7, s[0:1]
	v_mov_b32_e32 v3, s5
	flat_load_dwordx2 v[4:5], v[2:3]
	s_xor_b64 s[18:19], s[0:1], -1
	v_mov_b64_e32 v[6:7], s[14:15]
	s_cbranch_vccnz .LBB147_2
; %bb.1:
	v_mov_b64_e32 v[2:3], s[12:13]
	flat_load_dwordx2 v[6:7], v[2:3] offset:8
.LBB147_2:
	s_and_b64 s[12:13], s[0:1], exec
	s_cselect_b32 s5, s7, s9
	v_mov_b32_e32 v2, s8
	v_cndmask_b32_e64 v2, v2, v0, s[0:1]
	v_mov_b32_e32 v3, s5
	flat_load_dwordx2 v[8:9], v[2:3]
	s_andn2_b64 vcc, exec, s[18:19]
	v_mov_b64_e32 v[10:11], s[10:11]
	s_cbranch_vccnz .LBB147_4
; %bb.3:
	v_mov_b64_e32 v[2:3], s[8:9]
	flat_load_dwordx2 v[10:11], v[2:3] offset:8
.LBB147_4:
	s_waitcnt vmcnt(0) lgkmcnt(0)
	v_cmp_eq_f64_e32 vcc, 0, v[4:5]
	v_cmp_eq_f64_e64 s[0:1], 0, v[6:7]
	s_and_b64 s[8:9], vcc, s[0:1]
	s_mov_b64 s[0:1], -1
	s_and_saveexec_b64 s[6:7], s[8:9]
; %bb.5:
	v_cmp_neq_f64_e32 vcc, 1.0, v[8:9]
	v_cmp_neq_f64_e64 s[0:1], 0, v[10:11]
	s_or_b64 s[0:1], vcc, s[0:1]
	s_orn2_b64 s[0:1], s[0:1], exec
; %bb.6:
	s_or_b64 exec, exec, s[6:7]
	s_and_saveexec_b64 s[6:7], s[0:1]
	s_cbranch_execz .LBB147_26
; %bb.7:
	s_load_dwordx2 s[12:13], s[2:3], 0x30
	v_lshrrev_b32_e32 v12, 5, v1
	s_waitcnt lgkmcnt(0)
	v_cmp_gt_i32_e32 vcc, s12, v12
	s_and_b64 exec, exec, vcc
	s_cbranch_execz .LBB147_26
; %bb.8:
	s_load_dwordx4 s[8:11], s[2:3], 0x18
	s_load_dword s20, s[2:3], 0x4
	s_ashr_i32 s5, s4, 31
	s_lshl_b64 s[0:1], s[4:5], 2
	s_mul_i32 s34, s4, s12
	s_waitcnt lgkmcnt(0)
	s_add_u32 s0, s8, s0
	s_addc_u32 s1, s9, s1
	s_load_dwordx2 s[6:7], s[0:1], 0x0
	s_load_dwordx2 s[8:9], s[2:3], 0x28
	;; [unrolled: 1-line block ×4, first 2 shown]
	v_and_b32_e32 v13, 31, v1
	s_waitcnt lgkmcnt(0)
	s_sub_i32 s17, s6, s16
	s_sub_i32 s33, s7, s16
	s_cmp_lt_i32 s6, s7
	s_mul_i32 s4, s12, s17
	s_cselect_b64 s[24:25], -1, 0
	v_add_u32_e32 v0, s4, v12
	s_cmp_lg_u32 s20, 0
	v_cmp_eq_f64_e32 vcc, 0, v[8:9]
	v_cmp_eq_f64_e64 s[6:7], 0, v[10:11]
	v_mul_lo_u32 v18, s13, v0
	v_cndmask_b32_e64 v0, 0, 1, s[24:25]
	v_cmp_gt_i32_e64 s[0:1], s13, v13
	s_cselect_b64 s[20:21], -1, 0
	v_cmp_eq_u32_e64 s[2:3], 31, v13
	s_mov_b64 s[22:23], 0
	s_and_b64 s[6:7], vcc, s[6:7]
	s_mul_i32 s35, s13, 3
	s_mul_i32 s36, s13, s12
	v_cmp_ne_u32_e64 s[4:5], 1, v0
	s_branch .LBB147_10
.LBB147_9:                              ;   in Loop: Header=BB147_10 Depth=1
	s_or_b64 exec, exec, s[24:25]
	v_add_u32_e32 v12, 3, v12
	v_cmp_le_i32_e32 vcc, s12, v12
	s_or_b64 s[22:23], vcc, s[22:23]
	v_add_u32_e32 v18, s35, v18
	s_andn2_b64 exec, exec, s[22:23]
	s_cbranch_execz .LBB147_26
.LBB147_10:                             ; =>This Loop Header: Depth=1
                                        ;     Child Loop BB147_14 Depth 2
                                        ;       Child Loop BB147_17 Depth 3
	v_mov_b64_e32 v[0:1], 0
	s_and_b64 vcc, exec, s[4:5]
	v_mov_b64_e32 v[2:3], v[0:1]
	s_cbranch_vccnz .LBB147_21
; %bb.11:                               ;   in Loop: Header=BB147_10 Depth=1
	v_mov_b64_e32 v[0:1], 0
	v_mov_b32_e32 v16, v18
	s_mov_b32 s24, s17
	v_mov_b64_e32 v[2:3], v[0:1]
	s_branch .LBB147_14
.LBB147_12:                             ;   in Loop: Header=BB147_14 Depth=2
	s_or_b64 exec, exec, s[28:29]
.LBB147_13:                             ;   in Loop: Header=BB147_14 Depth=2
	s_or_b64 exec, exec, s[26:27]
	s_add_i32 s24, s24, 1
	s_cmp_ge_i32 s24, s33
	v_add_u32_e32 v16, s36, v16
	s_cbranch_scc1 .LBB147_21
.LBB147_14:                             ;   Parent Loop BB147_10 Depth=1
                                        ; =>  This Loop Header: Depth=2
                                        ;       Child Loop BB147_17 Depth 3
	s_and_saveexec_b64 s[26:27], s[0:1]
	s_cbranch_execz .LBB147_13
; %bb.15:                               ;   in Loop: Header=BB147_14 Depth=2
	s_ashr_i32 s25, s24, 31
	s_lshl_b64 s[28:29], s[24:25], 2
	s_add_u32 s28, s10, s28
	s_addc_u32 s29, s11, s29
	s_load_dword s30, s[28:29], 0x0
	s_mul_i32 s25, s24, s13
	s_mov_b64 s[28:29], 0
	v_mov_b32_e32 v17, v13
	s_waitcnt lgkmcnt(0)
	s_sub_i32 s37, s30, s16
	s_mul_i32 s37, s37, s13
	s_branch .LBB147_17
.LBB147_16:                             ;   in Loop: Header=BB147_17 Depth=3
	v_ashrrev_i32_e32 v15, 31, v14
	v_lshl_add_u64 v[14:15], v[14:15], 4, s[8:9]
	global_load_dwordx4 v[20:23], v[14:15], off
	v_add_u32_e32 v14, s37, v17
	v_ashrrev_i32_e32 v15, 31, v14
	v_lshl_add_u64 v[14:15], v[14:15], 4, s[18:19]
	global_load_dwordx4 v[24:27], v[14:15], off
	v_add_u32_e32 v17, 32, v17
	v_cmp_le_i32_e32 vcc, s13, v17
	s_or_b64 s[28:29], vcc, s[28:29]
	s_waitcnt vmcnt(0)
	v_fmac_f64_e32 v[2:3], v[20:21], v[24:25]
	v_fmac_f64_e32 v[0:1], v[22:23], v[24:25]
	v_fma_f64 v[2:3], -v[22:23], v[26:27], v[2:3]
	v_fmac_f64_e32 v[0:1], v[20:21], v[26:27]
	s_andn2_b64 exec, exec, s[28:29]
	s_cbranch_execz .LBB147_12
.LBB147_17:                             ;   Parent Loop BB147_10 Depth=1
                                        ;     Parent Loop BB147_14 Depth=2
                                        ; =>    This Inner Loop Header: Depth=3
	s_and_b64 vcc, exec, s[20:21]
	s_cbranch_vccz .LBB147_19
; %bb.18:                               ;   in Loop: Header=BB147_17 Depth=3
	v_add_u32_e32 v14, s25, v17
	v_mad_u64_u32 v[14:15], s[30:31], v14, s12, v[12:13]
	s_cbranch_execnz .LBB147_16
	s_branch .LBB147_20
.LBB147_19:                             ;   in Loop: Header=BB147_17 Depth=3
                                        ; implicit-def: $vgpr14
.LBB147_20:                             ;   in Loop: Header=BB147_17 Depth=3
	v_add_u32_e32 v14, v16, v17
	s_branch .LBB147_16
.LBB147_21:                             ;   in Loop: Header=BB147_10 Depth=1
	s_nop 0
	v_mov_b32_dpp v14, v2 row_shr:1 row_mask:0xf bank_mask:0xf
	v_mov_b32_dpp v15, v3 row_shr:1 row_mask:0xf bank_mask:0xf
	v_mov_b32_dpp v16, v0 row_shr:1 row_mask:0xf bank_mask:0xf
	v_mov_b32_dpp v17, v1 row_shr:1 row_mask:0xf bank_mask:0xf
	v_add_f64 v[2:3], v[2:3], v[14:15]
	v_add_f64 v[0:1], v[0:1], v[16:17]
	s_nop 0
	v_mov_b32_dpp v14, v2 row_shr:2 row_mask:0xf bank_mask:0xf
	v_mov_b32_dpp v15, v3 row_shr:2 row_mask:0xf bank_mask:0xf
	v_mov_b32_dpp v16, v0 row_shr:2 row_mask:0xf bank_mask:0xf
	v_mov_b32_dpp v17, v1 row_shr:2 row_mask:0xf bank_mask:0xf
	v_add_f64 v[2:3], v[2:3], v[14:15]
	v_add_f64 v[0:1], v[0:1], v[16:17]
	;; [unrolled: 7-line block ×4, first 2 shown]
	s_nop 0
	v_mov_b32_dpp v14, v2 row_bcast:15 row_mask:0xa bank_mask:0xf
	v_mov_b32_dpp v15, v3 row_bcast:15 row_mask:0xa bank_mask:0xf
	;; [unrolled: 1-line block ×4, first 2 shown]
	s_and_saveexec_b64 s[24:25], s[2:3]
	s_cbranch_execz .LBB147_9
; %bb.22:                               ;   in Loop: Header=BB147_10 Depth=1
	v_add_f64 v[20:21], v[2:3], v[14:15]
	v_add_f64 v[2:3], v[0:1], v[16:17]
	v_mul_f64 v[0:1], v[2:3], -v[6:7]
	v_mul_f64 v[2:3], v[4:5], v[2:3]
	v_add_u32_e32 v14, s34, v12
	v_fmac_f64_e32 v[0:1], v[4:5], v[20:21]
	v_fmac_f64_e32 v[2:3], v[6:7], v[20:21]
	v_ashrrev_i32_e32 v15, 31, v14
	s_and_saveexec_b64 s[26:27], s[6:7]
	s_xor_b64 s[26:27], exec, s[26:27]
	s_cbranch_execz .LBB147_24
; %bb.23:                               ;   in Loop: Header=BB147_10 Depth=1
	v_lshl_add_u64 v[14:15], v[14:15], 4, s[14:15]
	global_store_dwordx4 v[14:15], v[0:3], off
                                        ; implicit-def: $vgpr14
                                        ; implicit-def: $vgpr0_vgpr1
.LBB147_24:                             ;   in Loop: Header=BB147_10 Depth=1
	s_andn2_saveexec_b64 s[26:27], s[26:27]
	s_cbranch_execz .LBB147_9
; %bb.25:                               ;   in Loop: Header=BB147_10 Depth=1
	v_lshl_add_u64 v[20:21], v[14:15], 4, s[14:15]
	global_load_dwordx4 v[14:17], v[20:21], off
	s_waitcnt vmcnt(0)
	v_fmac_f64_e32 v[0:1], v[8:9], v[14:15]
	v_fmac_f64_e32 v[2:3], v[10:11], v[14:15]
	v_fma_f64 v[0:1], -v[10:11], v[16:17], v[0:1]
	v_fmac_f64_e32 v[2:3], v[8:9], v[16:17]
	global_store_dwordx4 v[20:21], v[0:3], off
	s_branch .LBB147_9
.LBB147_26:
	s_endpgm
	.section	.rodata,"a",@progbits
	.p2align	6, 0x0
	.amdhsa_kernel _ZN9rocsparseL23gebsrmvn_general_kernelILj96ELj32E21rocsparse_complex_numIdEEEvi20rocsparse_direction_NS_24const_host_device_scalarIT1_EEPKiS8_PKS5_iiSA_S6_PS5_21rocsparse_index_base_b
		.amdhsa_group_segment_fixed_size 1536
		.amdhsa_private_segment_fixed_size 0
		.amdhsa_kernarg_size 96
		.amdhsa_user_sgpr_count 4
		.amdhsa_user_sgpr_dispatch_ptr 1
		.amdhsa_user_sgpr_queue_ptr 0
		.amdhsa_user_sgpr_kernarg_segment_ptr 1
		.amdhsa_user_sgpr_dispatch_id 0
		.amdhsa_user_sgpr_kernarg_preload_length 0
		.amdhsa_user_sgpr_kernarg_preload_offset 0
		.amdhsa_user_sgpr_private_segment_size 0
		.amdhsa_uses_dynamic_stack 0
		.amdhsa_enable_private_segment 0
		.amdhsa_system_sgpr_workgroup_id_x 1
		.amdhsa_system_sgpr_workgroup_id_y 0
		.amdhsa_system_sgpr_workgroup_id_z 0
		.amdhsa_system_sgpr_workgroup_info 0
		.amdhsa_system_vgpr_workitem_id 2
		.amdhsa_next_free_vgpr 28
		.amdhsa_next_free_sgpr 38
		.amdhsa_accum_offset 28
		.amdhsa_reserve_vcc 1
		.amdhsa_float_round_mode_32 0
		.amdhsa_float_round_mode_16_64 0
		.amdhsa_float_denorm_mode_32 3
		.amdhsa_float_denorm_mode_16_64 3
		.amdhsa_dx10_clamp 1
		.amdhsa_ieee_mode 1
		.amdhsa_fp16_overflow 0
		.amdhsa_tg_split 0
		.amdhsa_exception_fp_ieee_invalid_op 0
		.amdhsa_exception_fp_denorm_src 0
		.amdhsa_exception_fp_ieee_div_zero 0
		.amdhsa_exception_fp_ieee_overflow 0
		.amdhsa_exception_fp_ieee_underflow 0
		.amdhsa_exception_fp_ieee_inexact 0
		.amdhsa_exception_int_div_zero 0
	.end_amdhsa_kernel
	.section	.text._ZN9rocsparseL23gebsrmvn_general_kernelILj96ELj32E21rocsparse_complex_numIdEEEvi20rocsparse_direction_NS_24const_host_device_scalarIT1_EEPKiS8_PKS5_iiSA_S6_PS5_21rocsparse_index_base_b,"axG",@progbits,_ZN9rocsparseL23gebsrmvn_general_kernelILj96ELj32E21rocsparse_complex_numIdEEEvi20rocsparse_direction_NS_24const_host_device_scalarIT1_EEPKiS8_PKS5_iiSA_S6_PS5_21rocsparse_index_base_b,comdat
.Lfunc_end147:
	.size	_ZN9rocsparseL23gebsrmvn_general_kernelILj96ELj32E21rocsparse_complex_numIdEEEvi20rocsparse_direction_NS_24const_host_device_scalarIT1_EEPKiS8_PKS5_iiSA_S6_PS5_21rocsparse_index_base_b, .Lfunc_end147-_ZN9rocsparseL23gebsrmvn_general_kernelILj96ELj32E21rocsparse_complex_numIdEEEvi20rocsparse_direction_NS_24const_host_device_scalarIT1_EEPKiS8_PKS5_iiSA_S6_PS5_21rocsparse_index_base_b
                                        ; -- End function
	.section	.AMDGPU.csdata,"",@progbits
; Kernel info:
; codeLenInByte = 1172
; NumSgprs: 44
; NumVgprs: 28
; NumAgprs: 0
; TotalNumVgprs: 28
; ScratchSize: 0
; MemoryBound: 0
; FloatMode: 240
; IeeeMode: 1
; LDSByteSize: 1536 bytes/workgroup (compile time only)
; SGPRBlocks: 5
; VGPRBlocks: 3
; NumSGPRsForWavesPerEU: 44
; NumVGPRsForWavesPerEU: 28
; AccumOffset: 28
; Occupancy: 8
; WaveLimiterHint : 1
; COMPUTE_PGM_RSRC2:SCRATCH_EN: 0
; COMPUTE_PGM_RSRC2:USER_SGPR: 4
; COMPUTE_PGM_RSRC2:TRAP_HANDLER: 0
; COMPUTE_PGM_RSRC2:TGID_X_EN: 1
; COMPUTE_PGM_RSRC2:TGID_Y_EN: 0
; COMPUTE_PGM_RSRC2:TGID_Z_EN: 0
; COMPUTE_PGM_RSRC2:TIDIG_COMP_CNT: 2
; COMPUTE_PGM_RSRC3_GFX90A:ACCUM_OFFSET: 6
; COMPUTE_PGM_RSRC3_GFX90A:TG_SPLIT: 0
	.text
	.p2alignl 6, 3212836864
	.fill 256, 4, 3212836864
	.type	__hip_cuid_33eecbbd0a4ba7e1,@object ; @__hip_cuid_33eecbbd0a4ba7e1
	.section	.bss,"aw",@nobits
	.globl	__hip_cuid_33eecbbd0a4ba7e1
__hip_cuid_33eecbbd0a4ba7e1:
	.byte	0                               ; 0x0
	.size	__hip_cuid_33eecbbd0a4ba7e1, 1

	.ident	"AMD clang version 19.0.0git (https://github.com/RadeonOpenCompute/llvm-project roc-6.4.0 25133 c7fe45cf4b819c5991fe208aaa96edf142730f1d)"
	.section	".note.GNU-stack","",@progbits
	.addrsig
	.addrsig_sym __hip_cuid_33eecbbd0a4ba7e1
	.amdgpu_metadata
---
amdhsa.kernels:
  - .agpr_count:     0
    .args:
      - .offset:         0
        .size:           4
        .value_kind:     by_value
      - .offset:         4
        .size:           4
        .value_kind:     by_value
      - .offset:         8
        .size:           8
        .value_kind:     by_value
      - .actual_access:  read_only
        .address_space:  global
        .offset:         16
        .size:           8
        .value_kind:     global_buffer
      - .actual_access:  read_only
        .address_space:  global
        .offset:         24
        .size:           8
        .value_kind:     global_buffer
      - .actual_access:  read_only
        .address_space:  global
        .offset:         32
        .size:           8
        .value_kind:     global_buffer
      - .actual_access:  read_only
        .address_space:  global
        .offset:         40
        .size:           8
        .value_kind:     global_buffer
      - .offset:         48
        .size:           8
        .value_kind:     by_value
      - .address_space:  global
        .offset:         56
        .size:           8
        .value_kind:     global_buffer
      - .offset:         64
        .size:           4
        .value_kind:     by_value
      - .offset:         68
        .size:           1
        .value_kind:     by_value
    .group_segment_fixed_size: 0
    .kernarg_segment_align: 8
    .kernarg_segment_size: 72
    .language:       OpenCL C
    .language_version:
      - 2
      - 0
    .max_flat_workgroup_size: 128
    .name:           _ZN9rocsparseL19gebsrmvn_3xn_kernelILj128ELj1ELj4EfEEvi20rocsparse_direction_NS_24const_host_device_scalarIT2_EEPKiS6_PKS3_S8_S4_PS3_21rocsparse_index_base_b
    .private_segment_fixed_size: 0
    .sgpr_count:     26
    .sgpr_spill_count: 0
    .symbol:         _ZN9rocsparseL19gebsrmvn_3xn_kernelILj128ELj1ELj4EfEEvi20rocsparse_direction_NS_24const_host_device_scalarIT2_EEPKiS6_PKS3_S8_S4_PS3_21rocsparse_index_base_b.kd
    .uniform_work_group_size: 1
    .uses_dynamic_stack: false
    .vgpr_count:     20
    .vgpr_spill_count: 0
    .wavefront_size: 64
  - .agpr_count:     0
    .args:
      - .offset:         0
        .size:           4
        .value_kind:     by_value
      - .offset:         4
        .size:           4
        .value_kind:     by_value
      - .offset:         8
        .size:           8
        .value_kind:     by_value
      - .actual_access:  read_only
        .address_space:  global
        .offset:         16
        .size:           8
        .value_kind:     global_buffer
      - .actual_access:  read_only
        .address_space:  global
        .offset:         24
        .size:           8
        .value_kind:     global_buffer
      - .actual_access:  read_only
        .address_space:  global
        .offset:         32
        .size:           8
        .value_kind:     global_buffer
      - .actual_access:  read_only
        .address_space:  global
        .offset:         40
        .size:           8
        .value_kind:     global_buffer
      - .offset:         48
        .size:           8
        .value_kind:     by_value
      - .address_space:  global
        .offset:         56
        .size:           8
        .value_kind:     global_buffer
      - .offset:         64
        .size:           4
        .value_kind:     by_value
      - .offset:         68
        .size:           1
        .value_kind:     by_value
    .group_segment_fixed_size: 0
    .kernarg_segment_align: 8
    .kernarg_segment_size: 72
    .language:       OpenCL C
    .language_version:
      - 2
      - 0
    .max_flat_workgroup_size: 128
    .name:           _ZN9rocsparseL19gebsrmvn_3xn_kernelILj128ELj1ELj8EfEEvi20rocsparse_direction_NS_24const_host_device_scalarIT2_EEPKiS6_PKS3_S8_S4_PS3_21rocsparse_index_base_b
    .private_segment_fixed_size: 0
    .sgpr_count:     26
    .sgpr_spill_count: 0
    .symbol:         _ZN9rocsparseL19gebsrmvn_3xn_kernelILj128ELj1ELj8EfEEvi20rocsparse_direction_NS_24const_host_device_scalarIT2_EEPKiS6_PKS3_S8_S4_PS3_21rocsparse_index_base_b.kd
    .uniform_work_group_size: 1
    .uses_dynamic_stack: false
    .vgpr_count:     20
    .vgpr_spill_count: 0
    .wavefront_size: 64
  - .agpr_count:     0
    .args:
      - .offset:         0
        .size:           4
        .value_kind:     by_value
      - .offset:         4
        .size:           4
        .value_kind:     by_value
      - .offset:         8
        .size:           8
        .value_kind:     by_value
      - .actual_access:  read_only
        .address_space:  global
        .offset:         16
        .size:           8
        .value_kind:     global_buffer
      - .actual_access:  read_only
        .address_space:  global
        .offset:         24
        .size:           8
        .value_kind:     global_buffer
      - .actual_access:  read_only
        .address_space:  global
        .offset:         32
        .size:           8
        .value_kind:     global_buffer
      - .actual_access:  read_only
        .address_space:  global
        .offset:         40
        .size:           8
        .value_kind:     global_buffer
      - .offset:         48
        .size:           8
        .value_kind:     by_value
      - .address_space:  global
        .offset:         56
        .size:           8
        .value_kind:     global_buffer
      - .offset:         64
        .size:           4
        .value_kind:     by_value
      - .offset:         68
        .size:           1
        .value_kind:     by_value
    .group_segment_fixed_size: 0
    .kernarg_segment_align: 8
    .kernarg_segment_size: 72
    .language:       OpenCL C
    .language_version:
      - 2
      - 0
    .max_flat_workgroup_size: 128
    .name:           _ZN9rocsparseL19gebsrmvn_3xn_kernelILj128ELj1ELj16EfEEvi20rocsparse_direction_NS_24const_host_device_scalarIT2_EEPKiS6_PKS3_S8_S4_PS3_21rocsparse_index_base_b
    .private_segment_fixed_size: 0
    .sgpr_count:     26
    .sgpr_spill_count: 0
    .symbol:         _ZN9rocsparseL19gebsrmvn_3xn_kernelILj128ELj1ELj16EfEEvi20rocsparse_direction_NS_24const_host_device_scalarIT2_EEPKiS6_PKS3_S8_S4_PS3_21rocsparse_index_base_b.kd
    .uniform_work_group_size: 1
    .uses_dynamic_stack: false
    .vgpr_count:     20
    .vgpr_spill_count: 0
    .wavefront_size: 64
  - .agpr_count:     0
    .args:
      - .offset:         0
        .size:           4
        .value_kind:     by_value
      - .offset:         4
        .size:           4
        .value_kind:     by_value
      - .offset:         8
        .size:           8
        .value_kind:     by_value
      - .actual_access:  read_only
        .address_space:  global
        .offset:         16
        .size:           8
        .value_kind:     global_buffer
      - .actual_access:  read_only
        .address_space:  global
        .offset:         24
        .size:           8
        .value_kind:     global_buffer
      - .actual_access:  read_only
        .address_space:  global
        .offset:         32
        .size:           8
        .value_kind:     global_buffer
      - .actual_access:  read_only
        .address_space:  global
        .offset:         40
        .size:           8
        .value_kind:     global_buffer
      - .offset:         48
        .size:           8
        .value_kind:     by_value
      - .address_space:  global
        .offset:         56
        .size:           8
        .value_kind:     global_buffer
      - .offset:         64
        .size:           4
        .value_kind:     by_value
      - .offset:         68
        .size:           1
        .value_kind:     by_value
    .group_segment_fixed_size: 0
    .kernarg_segment_align: 8
    .kernarg_segment_size: 72
    .language:       OpenCL C
    .language_version:
      - 2
      - 0
    .max_flat_workgroup_size: 128
    .name:           _ZN9rocsparseL19gebsrmvn_3xn_kernelILj128ELj1ELj32EfEEvi20rocsparse_direction_NS_24const_host_device_scalarIT2_EEPKiS6_PKS3_S8_S4_PS3_21rocsparse_index_base_b
    .private_segment_fixed_size: 0
    .sgpr_count:     26
    .sgpr_spill_count: 0
    .symbol:         _ZN9rocsparseL19gebsrmvn_3xn_kernelILj128ELj1ELj32EfEEvi20rocsparse_direction_NS_24const_host_device_scalarIT2_EEPKiS6_PKS3_S8_S4_PS3_21rocsparse_index_base_b.kd
    .uniform_work_group_size: 1
    .uses_dynamic_stack: false
    .vgpr_count:     20
    .vgpr_spill_count: 0
    .wavefront_size: 64
  - .agpr_count:     0
    .args:
      - .offset:         0
        .size:           4
        .value_kind:     by_value
      - .offset:         4
        .size:           4
        .value_kind:     by_value
      - .offset:         8
        .size:           8
        .value_kind:     by_value
      - .actual_access:  read_only
        .address_space:  global
        .offset:         16
        .size:           8
        .value_kind:     global_buffer
      - .actual_access:  read_only
        .address_space:  global
        .offset:         24
        .size:           8
        .value_kind:     global_buffer
      - .actual_access:  read_only
        .address_space:  global
        .offset:         32
        .size:           8
        .value_kind:     global_buffer
      - .actual_access:  read_only
        .address_space:  global
        .offset:         40
        .size:           8
        .value_kind:     global_buffer
      - .offset:         48
        .size:           8
        .value_kind:     by_value
      - .address_space:  global
        .offset:         56
        .size:           8
        .value_kind:     global_buffer
      - .offset:         64
        .size:           4
        .value_kind:     by_value
      - .offset:         68
        .size:           1
        .value_kind:     by_value
    .group_segment_fixed_size: 0
    .kernarg_segment_align: 8
    .kernarg_segment_size: 72
    .language:       OpenCL C
    .language_version:
      - 2
      - 0
    .max_flat_workgroup_size: 128
    .name:           _ZN9rocsparseL19gebsrmvn_3xn_kernelILj128ELj1ELj64EfEEvi20rocsparse_direction_NS_24const_host_device_scalarIT2_EEPKiS6_PKS3_S8_S4_PS3_21rocsparse_index_base_b
    .private_segment_fixed_size: 0
    .sgpr_count:     26
    .sgpr_spill_count: 0
    .symbol:         _ZN9rocsparseL19gebsrmvn_3xn_kernelILj128ELj1ELj64EfEEvi20rocsparse_direction_NS_24const_host_device_scalarIT2_EEPKiS6_PKS3_S8_S4_PS3_21rocsparse_index_base_b.kd
    .uniform_work_group_size: 1
    .uses_dynamic_stack: false
    .vgpr_count:     20
    .vgpr_spill_count: 0
    .wavefront_size: 64
  - .agpr_count:     0
    .args:
      - .offset:         0
        .size:           4
        .value_kind:     by_value
      - .offset:         4
        .size:           4
        .value_kind:     by_value
      - .offset:         8
        .size:           8
        .value_kind:     by_value
      - .actual_access:  read_only
        .address_space:  global
        .offset:         16
        .size:           8
        .value_kind:     global_buffer
      - .actual_access:  read_only
        .address_space:  global
        .offset:         24
        .size:           8
        .value_kind:     global_buffer
      - .actual_access:  read_only
        .address_space:  global
        .offset:         32
        .size:           8
        .value_kind:     global_buffer
      - .actual_access:  read_only
        .address_space:  global
        .offset:         40
        .size:           8
        .value_kind:     global_buffer
      - .offset:         48
        .size:           8
        .value_kind:     by_value
      - .address_space:  global
        .offset:         56
        .size:           8
        .value_kind:     global_buffer
      - .offset:         64
        .size:           4
        .value_kind:     by_value
      - .offset:         68
        .size:           1
        .value_kind:     by_value
    .group_segment_fixed_size: 0
    .kernarg_segment_align: 8
    .kernarg_segment_size: 72
    .language:       OpenCL C
    .language_version:
      - 2
      - 0
    .max_flat_workgroup_size: 128
    .name:           _ZN9rocsparseL19gebsrmvn_3xn_kernelILj128ELj2ELj4EfEEvi20rocsparse_direction_NS_24const_host_device_scalarIT2_EEPKiS6_PKS3_S8_S4_PS3_21rocsparse_index_base_b
    .private_segment_fixed_size: 0
    .sgpr_count:     26
    .sgpr_spill_count: 0
    .symbol:         _ZN9rocsparseL19gebsrmvn_3xn_kernelILj128ELj2ELj4EfEEvi20rocsparse_direction_NS_24const_host_device_scalarIT2_EEPKiS6_PKS3_S8_S4_PS3_21rocsparse_index_base_b.kd
    .uniform_work_group_size: 1
    .uses_dynamic_stack: false
    .vgpr_count:     28
    .vgpr_spill_count: 0
    .wavefront_size: 64
  - .agpr_count:     0
    .args:
      - .offset:         0
        .size:           4
        .value_kind:     by_value
      - .offset:         4
        .size:           4
        .value_kind:     by_value
      - .offset:         8
        .size:           8
        .value_kind:     by_value
      - .actual_access:  read_only
        .address_space:  global
        .offset:         16
        .size:           8
        .value_kind:     global_buffer
      - .actual_access:  read_only
        .address_space:  global
        .offset:         24
        .size:           8
        .value_kind:     global_buffer
      - .actual_access:  read_only
        .address_space:  global
        .offset:         32
        .size:           8
        .value_kind:     global_buffer
      - .actual_access:  read_only
        .address_space:  global
        .offset:         40
        .size:           8
        .value_kind:     global_buffer
      - .offset:         48
        .size:           8
        .value_kind:     by_value
      - .address_space:  global
        .offset:         56
        .size:           8
        .value_kind:     global_buffer
      - .offset:         64
        .size:           4
        .value_kind:     by_value
      - .offset:         68
        .size:           1
        .value_kind:     by_value
    .group_segment_fixed_size: 0
    .kernarg_segment_align: 8
    .kernarg_segment_size: 72
    .language:       OpenCL C
    .language_version:
      - 2
      - 0
    .max_flat_workgroup_size: 128
    .name:           _ZN9rocsparseL19gebsrmvn_3xn_kernelILj128ELj2ELj8EfEEvi20rocsparse_direction_NS_24const_host_device_scalarIT2_EEPKiS6_PKS3_S8_S4_PS3_21rocsparse_index_base_b
    .private_segment_fixed_size: 0
    .sgpr_count:     26
    .sgpr_spill_count: 0
    .symbol:         _ZN9rocsparseL19gebsrmvn_3xn_kernelILj128ELj2ELj8EfEEvi20rocsparse_direction_NS_24const_host_device_scalarIT2_EEPKiS6_PKS3_S8_S4_PS3_21rocsparse_index_base_b.kd
    .uniform_work_group_size: 1
    .uses_dynamic_stack: false
    .vgpr_count:     28
    .vgpr_spill_count: 0
    .wavefront_size: 64
  - .agpr_count:     0
    .args:
      - .offset:         0
        .size:           4
        .value_kind:     by_value
      - .offset:         4
        .size:           4
        .value_kind:     by_value
      - .offset:         8
        .size:           8
        .value_kind:     by_value
      - .actual_access:  read_only
        .address_space:  global
        .offset:         16
        .size:           8
        .value_kind:     global_buffer
      - .actual_access:  read_only
        .address_space:  global
        .offset:         24
        .size:           8
        .value_kind:     global_buffer
      - .actual_access:  read_only
        .address_space:  global
        .offset:         32
        .size:           8
        .value_kind:     global_buffer
      - .actual_access:  read_only
        .address_space:  global
        .offset:         40
        .size:           8
        .value_kind:     global_buffer
      - .offset:         48
        .size:           8
        .value_kind:     by_value
      - .address_space:  global
        .offset:         56
        .size:           8
        .value_kind:     global_buffer
      - .offset:         64
        .size:           4
        .value_kind:     by_value
      - .offset:         68
        .size:           1
        .value_kind:     by_value
    .group_segment_fixed_size: 0
    .kernarg_segment_align: 8
    .kernarg_segment_size: 72
    .language:       OpenCL C
    .language_version:
      - 2
      - 0
    .max_flat_workgroup_size: 128
    .name:           _ZN9rocsparseL19gebsrmvn_3xn_kernelILj128ELj2ELj16EfEEvi20rocsparse_direction_NS_24const_host_device_scalarIT2_EEPKiS6_PKS3_S8_S4_PS3_21rocsparse_index_base_b
    .private_segment_fixed_size: 0
    .sgpr_count:     26
    .sgpr_spill_count: 0
    .symbol:         _ZN9rocsparseL19gebsrmvn_3xn_kernelILj128ELj2ELj16EfEEvi20rocsparse_direction_NS_24const_host_device_scalarIT2_EEPKiS6_PKS3_S8_S4_PS3_21rocsparse_index_base_b.kd
    .uniform_work_group_size: 1
    .uses_dynamic_stack: false
    .vgpr_count:     28
    .vgpr_spill_count: 0
    .wavefront_size: 64
  - .agpr_count:     0
    .args:
      - .offset:         0
        .size:           4
        .value_kind:     by_value
      - .offset:         4
        .size:           4
        .value_kind:     by_value
      - .offset:         8
        .size:           8
        .value_kind:     by_value
      - .actual_access:  read_only
        .address_space:  global
        .offset:         16
        .size:           8
        .value_kind:     global_buffer
      - .actual_access:  read_only
        .address_space:  global
        .offset:         24
        .size:           8
        .value_kind:     global_buffer
      - .actual_access:  read_only
        .address_space:  global
        .offset:         32
        .size:           8
        .value_kind:     global_buffer
      - .actual_access:  read_only
        .address_space:  global
        .offset:         40
        .size:           8
        .value_kind:     global_buffer
      - .offset:         48
        .size:           8
        .value_kind:     by_value
      - .address_space:  global
        .offset:         56
        .size:           8
        .value_kind:     global_buffer
      - .offset:         64
        .size:           4
        .value_kind:     by_value
      - .offset:         68
        .size:           1
        .value_kind:     by_value
    .group_segment_fixed_size: 0
    .kernarg_segment_align: 8
    .kernarg_segment_size: 72
    .language:       OpenCL C
    .language_version:
      - 2
      - 0
    .max_flat_workgroup_size: 128
    .name:           _ZN9rocsparseL19gebsrmvn_3xn_kernelILj128ELj2ELj32EfEEvi20rocsparse_direction_NS_24const_host_device_scalarIT2_EEPKiS6_PKS3_S8_S4_PS3_21rocsparse_index_base_b
    .private_segment_fixed_size: 0
    .sgpr_count:     26
    .sgpr_spill_count: 0
    .symbol:         _ZN9rocsparseL19gebsrmvn_3xn_kernelILj128ELj2ELj32EfEEvi20rocsparse_direction_NS_24const_host_device_scalarIT2_EEPKiS6_PKS3_S8_S4_PS3_21rocsparse_index_base_b.kd
    .uniform_work_group_size: 1
    .uses_dynamic_stack: false
    .vgpr_count:     28
    .vgpr_spill_count: 0
    .wavefront_size: 64
  - .agpr_count:     0
    .args:
      - .offset:         0
        .size:           4
        .value_kind:     by_value
      - .offset:         4
        .size:           4
        .value_kind:     by_value
      - .offset:         8
        .size:           8
        .value_kind:     by_value
      - .actual_access:  read_only
        .address_space:  global
        .offset:         16
        .size:           8
        .value_kind:     global_buffer
      - .actual_access:  read_only
        .address_space:  global
        .offset:         24
        .size:           8
        .value_kind:     global_buffer
      - .actual_access:  read_only
        .address_space:  global
        .offset:         32
        .size:           8
        .value_kind:     global_buffer
      - .actual_access:  read_only
        .address_space:  global
        .offset:         40
        .size:           8
        .value_kind:     global_buffer
      - .offset:         48
        .size:           8
        .value_kind:     by_value
      - .address_space:  global
        .offset:         56
        .size:           8
        .value_kind:     global_buffer
      - .offset:         64
        .size:           4
        .value_kind:     by_value
      - .offset:         68
        .size:           1
        .value_kind:     by_value
    .group_segment_fixed_size: 0
    .kernarg_segment_align: 8
    .kernarg_segment_size: 72
    .language:       OpenCL C
    .language_version:
      - 2
      - 0
    .max_flat_workgroup_size: 128
    .name:           _ZN9rocsparseL19gebsrmvn_3xn_kernelILj128ELj2ELj64EfEEvi20rocsparse_direction_NS_24const_host_device_scalarIT2_EEPKiS6_PKS3_S8_S4_PS3_21rocsparse_index_base_b
    .private_segment_fixed_size: 0
    .sgpr_count:     26
    .sgpr_spill_count: 0
    .symbol:         _ZN9rocsparseL19gebsrmvn_3xn_kernelILj128ELj2ELj64EfEEvi20rocsparse_direction_NS_24const_host_device_scalarIT2_EEPKiS6_PKS3_S8_S4_PS3_21rocsparse_index_base_b.kd
    .uniform_work_group_size: 1
    .uses_dynamic_stack: false
    .vgpr_count:     28
    .vgpr_spill_count: 0
    .wavefront_size: 64
  - .agpr_count:     0
    .args:
      - .offset:         0
        .size:           4
        .value_kind:     by_value
      - .offset:         4
        .size:           4
        .value_kind:     by_value
      - .offset:         8
        .size:           8
        .value_kind:     by_value
      - .actual_access:  read_only
        .address_space:  global
        .offset:         16
        .size:           8
        .value_kind:     global_buffer
      - .actual_access:  read_only
        .address_space:  global
        .offset:         24
        .size:           8
        .value_kind:     global_buffer
      - .actual_access:  read_only
        .address_space:  global
        .offset:         32
        .size:           8
        .value_kind:     global_buffer
      - .actual_access:  read_only
        .address_space:  global
        .offset:         40
        .size:           8
        .value_kind:     global_buffer
      - .offset:         48
        .size:           8
        .value_kind:     by_value
      - .address_space:  global
        .offset:         56
        .size:           8
        .value_kind:     global_buffer
      - .offset:         64
        .size:           4
        .value_kind:     by_value
      - .offset:         68
        .size:           1
        .value_kind:     by_value
    .group_segment_fixed_size: 0
    .kernarg_segment_align: 8
    .kernarg_segment_size: 72
    .language:       OpenCL C
    .language_version:
      - 2
      - 0
    .max_flat_workgroup_size: 128
    .name:           _ZN9rocsparseL19gebsrmvn_3xn_kernelILj128ELj4ELj4EfEEvi20rocsparse_direction_NS_24const_host_device_scalarIT2_EEPKiS6_PKS3_S8_S4_PS3_21rocsparse_index_base_b
    .private_segment_fixed_size: 0
    .sgpr_count:     26
    .sgpr_spill_count: 0
    .symbol:         _ZN9rocsparseL19gebsrmvn_3xn_kernelILj128ELj4ELj4EfEEvi20rocsparse_direction_NS_24const_host_device_scalarIT2_EEPKiS6_PKS3_S8_S4_PS3_21rocsparse_index_base_b.kd
    .uniform_work_group_size: 1
    .uses_dynamic_stack: false
    .vgpr_count:     38
    .vgpr_spill_count: 0
    .wavefront_size: 64
  - .agpr_count:     0
    .args:
      - .offset:         0
        .size:           4
        .value_kind:     by_value
      - .offset:         4
        .size:           4
        .value_kind:     by_value
      - .offset:         8
        .size:           8
        .value_kind:     by_value
      - .actual_access:  read_only
        .address_space:  global
        .offset:         16
        .size:           8
        .value_kind:     global_buffer
      - .actual_access:  read_only
        .address_space:  global
        .offset:         24
        .size:           8
        .value_kind:     global_buffer
      - .actual_access:  read_only
        .address_space:  global
        .offset:         32
        .size:           8
        .value_kind:     global_buffer
      - .actual_access:  read_only
        .address_space:  global
        .offset:         40
        .size:           8
        .value_kind:     global_buffer
      - .offset:         48
        .size:           8
        .value_kind:     by_value
      - .address_space:  global
        .offset:         56
        .size:           8
        .value_kind:     global_buffer
      - .offset:         64
        .size:           4
        .value_kind:     by_value
      - .offset:         68
        .size:           1
        .value_kind:     by_value
    .group_segment_fixed_size: 0
    .kernarg_segment_align: 8
    .kernarg_segment_size: 72
    .language:       OpenCL C
    .language_version:
      - 2
      - 0
    .max_flat_workgroup_size: 128
    .name:           _ZN9rocsparseL19gebsrmvn_3xn_kernelILj128ELj4ELj8EfEEvi20rocsparse_direction_NS_24const_host_device_scalarIT2_EEPKiS6_PKS3_S8_S4_PS3_21rocsparse_index_base_b
    .private_segment_fixed_size: 0
    .sgpr_count:     26
    .sgpr_spill_count: 0
    .symbol:         _ZN9rocsparseL19gebsrmvn_3xn_kernelILj128ELj4ELj8EfEEvi20rocsparse_direction_NS_24const_host_device_scalarIT2_EEPKiS6_PKS3_S8_S4_PS3_21rocsparse_index_base_b.kd
    .uniform_work_group_size: 1
    .uses_dynamic_stack: false
    .vgpr_count:     38
    .vgpr_spill_count: 0
    .wavefront_size: 64
  - .agpr_count:     0
    .args:
      - .offset:         0
        .size:           4
        .value_kind:     by_value
      - .offset:         4
        .size:           4
        .value_kind:     by_value
      - .offset:         8
        .size:           8
        .value_kind:     by_value
      - .actual_access:  read_only
        .address_space:  global
        .offset:         16
        .size:           8
        .value_kind:     global_buffer
      - .actual_access:  read_only
        .address_space:  global
        .offset:         24
        .size:           8
        .value_kind:     global_buffer
      - .actual_access:  read_only
        .address_space:  global
        .offset:         32
        .size:           8
        .value_kind:     global_buffer
      - .actual_access:  read_only
        .address_space:  global
        .offset:         40
        .size:           8
        .value_kind:     global_buffer
      - .offset:         48
        .size:           8
        .value_kind:     by_value
      - .address_space:  global
        .offset:         56
        .size:           8
        .value_kind:     global_buffer
      - .offset:         64
        .size:           4
        .value_kind:     by_value
      - .offset:         68
        .size:           1
        .value_kind:     by_value
    .group_segment_fixed_size: 0
    .kernarg_segment_align: 8
    .kernarg_segment_size: 72
    .language:       OpenCL C
    .language_version:
      - 2
      - 0
    .max_flat_workgroup_size: 128
    .name:           _ZN9rocsparseL19gebsrmvn_3xn_kernelILj128ELj4ELj16EfEEvi20rocsparse_direction_NS_24const_host_device_scalarIT2_EEPKiS6_PKS3_S8_S4_PS3_21rocsparse_index_base_b
    .private_segment_fixed_size: 0
    .sgpr_count:     26
    .sgpr_spill_count: 0
    .symbol:         _ZN9rocsparseL19gebsrmvn_3xn_kernelILj128ELj4ELj16EfEEvi20rocsparse_direction_NS_24const_host_device_scalarIT2_EEPKiS6_PKS3_S8_S4_PS3_21rocsparse_index_base_b.kd
    .uniform_work_group_size: 1
    .uses_dynamic_stack: false
    .vgpr_count:     38
    .vgpr_spill_count: 0
    .wavefront_size: 64
  - .agpr_count:     0
    .args:
      - .offset:         0
        .size:           4
        .value_kind:     by_value
      - .offset:         4
        .size:           4
        .value_kind:     by_value
      - .offset:         8
        .size:           8
        .value_kind:     by_value
      - .actual_access:  read_only
        .address_space:  global
        .offset:         16
        .size:           8
        .value_kind:     global_buffer
      - .actual_access:  read_only
        .address_space:  global
        .offset:         24
        .size:           8
        .value_kind:     global_buffer
      - .actual_access:  read_only
        .address_space:  global
        .offset:         32
        .size:           8
        .value_kind:     global_buffer
      - .actual_access:  read_only
        .address_space:  global
        .offset:         40
        .size:           8
        .value_kind:     global_buffer
      - .offset:         48
        .size:           8
        .value_kind:     by_value
      - .address_space:  global
        .offset:         56
        .size:           8
        .value_kind:     global_buffer
      - .offset:         64
        .size:           4
        .value_kind:     by_value
      - .offset:         68
        .size:           1
        .value_kind:     by_value
    .group_segment_fixed_size: 0
    .kernarg_segment_align: 8
    .kernarg_segment_size: 72
    .language:       OpenCL C
    .language_version:
      - 2
      - 0
    .max_flat_workgroup_size: 128
    .name:           _ZN9rocsparseL19gebsrmvn_3xn_kernelILj128ELj4ELj32EfEEvi20rocsparse_direction_NS_24const_host_device_scalarIT2_EEPKiS6_PKS3_S8_S4_PS3_21rocsparse_index_base_b
    .private_segment_fixed_size: 0
    .sgpr_count:     26
    .sgpr_spill_count: 0
    .symbol:         _ZN9rocsparseL19gebsrmvn_3xn_kernelILj128ELj4ELj32EfEEvi20rocsparse_direction_NS_24const_host_device_scalarIT2_EEPKiS6_PKS3_S8_S4_PS3_21rocsparse_index_base_b.kd
    .uniform_work_group_size: 1
    .uses_dynamic_stack: false
    .vgpr_count:     38
    .vgpr_spill_count: 0
    .wavefront_size: 64
  - .agpr_count:     0
    .args:
      - .offset:         0
        .size:           4
        .value_kind:     by_value
      - .offset:         4
        .size:           4
        .value_kind:     by_value
      - .offset:         8
        .size:           8
        .value_kind:     by_value
      - .actual_access:  read_only
        .address_space:  global
        .offset:         16
        .size:           8
        .value_kind:     global_buffer
      - .actual_access:  read_only
        .address_space:  global
        .offset:         24
        .size:           8
        .value_kind:     global_buffer
      - .actual_access:  read_only
        .address_space:  global
        .offset:         32
        .size:           8
        .value_kind:     global_buffer
      - .actual_access:  read_only
        .address_space:  global
        .offset:         40
        .size:           8
        .value_kind:     global_buffer
      - .offset:         48
        .size:           8
        .value_kind:     by_value
      - .address_space:  global
        .offset:         56
        .size:           8
        .value_kind:     global_buffer
      - .offset:         64
        .size:           4
        .value_kind:     by_value
      - .offset:         68
        .size:           1
        .value_kind:     by_value
    .group_segment_fixed_size: 0
    .kernarg_segment_align: 8
    .kernarg_segment_size: 72
    .language:       OpenCL C
    .language_version:
      - 2
      - 0
    .max_flat_workgroup_size: 128
    .name:           _ZN9rocsparseL19gebsrmvn_3xn_kernelILj128ELj4ELj64EfEEvi20rocsparse_direction_NS_24const_host_device_scalarIT2_EEPKiS6_PKS3_S8_S4_PS3_21rocsparse_index_base_b
    .private_segment_fixed_size: 0
    .sgpr_count:     26
    .sgpr_spill_count: 0
    .symbol:         _ZN9rocsparseL19gebsrmvn_3xn_kernelILj128ELj4ELj64EfEEvi20rocsparse_direction_NS_24const_host_device_scalarIT2_EEPKiS6_PKS3_S8_S4_PS3_21rocsparse_index_base_b.kd
    .uniform_work_group_size: 1
    .uses_dynamic_stack: false
    .vgpr_count:     38
    .vgpr_spill_count: 0
    .wavefront_size: 64
  - .agpr_count:     0
    .args:
      - .offset:         0
        .size:           4
        .value_kind:     by_value
      - .offset:         4
        .size:           4
        .value_kind:     by_value
      - .offset:         8
        .size:           8
        .value_kind:     by_value
      - .actual_access:  read_only
        .address_space:  global
        .offset:         16
        .size:           8
        .value_kind:     global_buffer
      - .actual_access:  read_only
        .address_space:  global
        .offset:         24
        .size:           8
        .value_kind:     global_buffer
      - .actual_access:  read_only
        .address_space:  global
        .offset:         32
        .size:           8
        .value_kind:     global_buffer
      - .actual_access:  read_only
        .address_space:  global
        .offset:         40
        .size:           8
        .value_kind:     global_buffer
      - .offset:         48
        .size:           8
        .value_kind:     by_value
      - .address_space:  global
        .offset:         56
        .size:           8
        .value_kind:     global_buffer
      - .offset:         64
        .size:           4
        .value_kind:     by_value
      - .offset:         68
        .size:           1
        .value_kind:     by_value
    .group_segment_fixed_size: 0
    .kernarg_segment_align: 8
    .kernarg_segment_size: 72
    .language:       OpenCL C
    .language_version:
      - 2
      - 0
    .max_flat_workgroup_size: 128
    .name:           _ZN9rocsparseL19gebsrmvn_3xn_kernelILj128ELj5ELj4EfEEvi20rocsparse_direction_NS_24const_host_device_scalarIT2_EEPKiS6_PKS3_S8_S4_PS3_21rocsparse_index_base_b
    .private_segment_fixed_size: 0
    .sgpr_count:     26
    .sgpr_spill_count: 0
    .symbol:         _ZN9rocsparseL19gebsrmvn_3xn_kernelILj128ELj5ELj4EfEEvi20rocsparse_direction_NS_24const_host_device_scalarIT2_EEPKiS6_PKS3_S8_S4_PS3_21rocsparse_index_base_b.kd
    .uniform_work_group_size: 1
    .uses_dynamic_stack: false
    .vgpr_count:     38
    .vgpr_spill_count: 0
    .wavefront_size: 64
  - .agpr_count:     0
    .args:
      - .offset:         0
        .size:           4
        .value_kind:     by_value
      - .offset:         4
        .size:           4
        .value_kind:     by_value
      - .offset:         8
        .size:           8
        .value_kind:     by_value
      - .actual_access:  read_only
        .address_space:  global
        .offset:         16
        .size:           8
        .value_kind:     global_buffer
      - .actual_access:  read_only
        .address_space:  global
        .offset:         24
        .size:           8
        .value_kind:     global_buffer
      - .actual_access:  read_only
        .address_space:  global
        .offset:         32
        .size:           8
        .value_kind:     global_buffer
      - .actual_access:  read_only
        .address_space:  global
        .offset:         40
        .size:           8
        .value_kind:     global_buffer
      - .offset:         48
        .size:           8
        .value_kind:     by_value
      - .address_space:  global
        .offset:         56
        .size:           8
        .value_kind:     global_buffer
      - .offset:         64
        .size:           4
        .value_kind:     by_value
      - .offset:         68
        .size:           1
        .value_kind:     by_value
    .group_segment_fixed_size: 0
    .kernarg_segment_align: 8
    .kernarg_segment_size: 72
    .language:       OpenCL C
    .language_version:
      - 2
      - 0
    .max_flat_workgroup_size: 128
    .name:           _ZN9rocsparseL19gebsrmvn_3xn_kernelILj128ELj5ELj8EfEEvi20rocsparse_direction_NS_24const_host_device_scalarIT2_EEPKiS6_PKS3_S8_S4_PS3_21rocsparse_index_base_b
    .private_segment_fixed_size: 0
    .sgpr_count:     26
    .sgpr_spill_count: 0
    .symbol:         _ZN9rocsparseL19gebsrmvn_3xn_kernelILj128ELj5ELj8EfEEvi20rocsparse_direction_NS_24const_host_device_scalarIT2_EEPKiS6_PKS3_S8_S4_PS3_21rocsparse_index_base_b.kd
    .uniform_work_group_size: 1
    .uses_dynamic_stack: false
    .vgpr_count:     38
    .vgpr_spill_count: 0
    .wavefront_size: 64
  - .agpr_count:     0
    .args:
      - .offset:         0
        .size:           4
        .value_kind:     by_value
      - .offset:         4
        .size:           4
        .value_kind:     by_value
      - .offset:         8
        .size:           8
        .value_kind:     by_value
      - .actual_access:  read_only
        .address_space:  global
        .offset:         16
        .size:           8
        .value_kind:     global_buffer
      - .actual_access:  read_only
        .address_space:  global
        .offset:         24
        .size:           8
        .value_kind:     global_buffer
      - .actual_access:  read_only
        .address_space:  global
        .offset:         32
        .size:           8
        .value_kind:     global_buffer
      - .actual_access:  read_only
        .address_space:  global
        .offset:         40
        .size:           8
        .value_kind:     global_buffer
      - .offset:         48
        .size:           8
        .value_kind:     by_value
      - .address_space:  global
        .offset:         56
        .size:           8
        .value_kind:     global_buffer
      - .offset:         64
        .size:           4
        .value_kind:     by_value
      - .offset:         68
        .size:           1
        .value_kind:     by_value
    .group_segment_fixed_size: 0
    .kernarg_segment_align: 8
    .kernarg_segment_size: 72
    .language:       OpenCL C
    .language_version:
      - 2
      - 0
    .max_flat_workgroup_size: 128
    .name:           _ZN9rocsparseL19gebsrmvn_3xn_kernelILj128ELj5ELj16EfEEvi20rocsparse_direction_NS_24const_host_device_scalarIT2_EEPKiS6_PKS3_S8_S4_PS3_21rocsparse_index_base_b
    .private_segment_fixed_size: 0
    .sgpr_count:     26
    .sgpr_spill_count: 0
    .symbol:         _ZN9rocsparseL19gebsrmvn_3xn_kernelILj128ELj5ELj16EfEEvi20rocsparse_direction_NS_24const_host_device_scalarIT2_EEPKiS6_PKS3_S8_S4_PS3_21rocsparse_index_base_b.kd
    .uniform_work_group_size: 1
    .uses_dynamic_stack: false
    .vgpr_count:     38
    .vgpr_spill_count: 0
    .wavefront_size: 64
  - .agpr_count:     0
    .args:
      - .offset:         0
        .size:           4
        .value_kind:     by_value
      - .offset:         4
        .size:           4
        .value_kind:     by_value
      - .offset:         8
        .size:           8
        .value_kind:     by_value
      - .actual_access:  read_only
        .address_space:  global
        .offset:         16
        .size:           8
        .value_kind:     global_buffer
      - .actual_access:  read_only
        .address_space:  global
        .offset:         24
        .size:           8
        .value_kind:     global_buffer
      - .actual_access:  read_only
        .address_space:  global
        .offset:         32
        .size:           8
        .value_kind:     global_buffer
      - .actual_access:  read_only
        .address_space:  global
        .offset:         40
        .size:           8
        .value_kind:     global_buffer
      - .offset:         48
        .size:           8
        .value_kind:     by_value
      - .address_space:  global
        .offset:         56
        .size:           8
        .value_kind:     global_buffer
      - .offset:         64
        .size:           4
        .value_kind:     by_value
      - .offset:         68
        .size:           1
        .value_kind:     by_value
    .group_segment_fixed_size: 0
    .kernarg_segment_align: 8
    .kernarg_segment_size: 72
    .language:       OpenCL C
    .language_version:
      - 2
      - 0
    .max_flat_workgroup_size: 128
    .name:           _ZN9rocsparseL19gebsrmvn_3xn_kernelILj128ELj5ELj32EfEEvi20rocsparse_direction_NS_24const_host_device_scalarIT2_EEPKiS6_PKS3_S8_S4_PS3_21rocsparse_index_base_b
    .private_segment_fixed_size: 0
    .sgpr_count:     26
    .sgpr_spill_count: 0
    .symbol:         _ZN9rocsparseL19gebsrmvn_3xn_kernelILj128ELj5ELj32EfEEvi20rocsparse_direction_NS_24const_host_device_scalarIT2_EEPKiS6_PKS3_S8_S4_PS3_21rocsparse_index_base_b.kd
    .uniform_work_group_size: 1
    .uses_dynamic_stack: false
    .vgpr_count:     38
    .vgpr_spill_count: 0
    .wavefront_size: 64
  - .agpr_count:     0
    .args:
      - .offset:         0
        .size:           4
        .value_kind:     by_value
      - .offset:         4
        .size:           4
        .value_kind:     by_value
      - .offset:         8
        .size:           8
        .value_kind:     by_value
      - .actual_access:  read_only
        .address_space:  global
        .offset:         16
        .size:           8
        .value_kind:     global_buffer
      - .actual_access:  read_only
        .address_space:  global
        .offset:         24
        .size:           8
        .value_kind:     global_buffer
      - .actual_access:  read_only
        .address_space:  global
        .offset:         32
        .size:           8
        .value_kind:     global_buffer
      - .actual_access:  read_only
        .address_space:  global
        .offset:         40
        .size:           8
        .value_kind:     global_buffer
      - .offset:         48
        .size:           8
        .value_kind:     by_value
      - .address_space:  global
        .offset:         56
        .size:           8
        .value_kind:     global_buffer
      - .offset:         64
        .size:           4
        .value_kind:     by_value
      - .offset:         68
        .size:           1
        .value_kind:     by_value
    .group_segment_fixed_size: 0
    .kernarg_segment_align: 8
    .kernarg_segment_size: 72
    .language:       OpenCL C
    .language_version:
      - 2
      - 0
    .max_flat_workgroup_size: 128
    .name:           _ZN9rocsparseL19gebsrmvn_3xn_kernelILj128ELj5ELj64EfEEvi20rocsparse_direction_NS_24const_host_device_scalarIT2_EEPKiS6_PKS3_S8_S4_PS3_21rocsparse_index_base_b
    .private_segment_fixed_size: 0
    .sgpr_count:     26
    .sgpr_spill_count: 0
    .symbol:         _ZN9rocsparseL19gebsrmvn_3xn_kernelILj128ELj5ELj64EfEEvi20rocsparse_direction_NS_24const_host_device_scalarIT2_EEPKiS6_PKS3_S8_S4_PS3_21rocsparse_index_base_b.kd
    .uniform_work_group_size: 1
    .uses_dynamic_stack: false
    .vgpr_count:     38
    .vgpr_spill_count: 0
    .wavefront_size: 64
  - .agpr_count:     0
    .args:
      - .offset:         0
        .size:           4
        .value_kind:     by_value
      - .offset:         4
        .size:           4
        .value_kind:     by_value
      - .offset:         8
        .size:           8
        .value_kind:     by_value
      - .actual_access:  read_only
        .address_space:  global
        .offset:         16
        .size:           8
        .value_kind:     global_buffer
      - .actual_access:  read_only
        .address_space:  global
        .offset:         24
        .size:           8
        .value_kind:     global_buffer
      - .actual_access:  read_only
        .address_space:  global
        .offset:         32
        .size:           8
        .value_kind:     global_buffer
      - .actual_access:  read_only
        .address_space:  global
        .offset:         40
        .size:           8
        .value_kind:     global_buffer
      - .offset:         48
        .size:           8
        .value_kind:     by_value
      - .address_space:  global
        .offset:         56
        .size:           8
        .value_kind:     global_buffer
      - .offset:         64
        .size:           4
        .value_kind:     by_value
      - .offset:         68
        .size:           1
        .value_kind:     by_value
    .group_segment_fixed_size: 0
    .kernarg_segment_align: 8
    .kernarg_segment_size: 72
    .language:       OpenCL C
    .language_version:
      - 2
      - 0
    .max_flat_workgroup_size: 128
    .name:           _ZN9rocsparseL19gebsrmvn_3xn_kernelILj128ELj6ELj4EfEEvi20rocsparse_direction_NS_24const_host_device_scalarIT2_EEPKiS6_PKS3_S8_S4_PS3_21rocsparse_index_base_b
    .private_segment_fixed_size: 0
    .sgpr_count:     26
    .sgpr_spill_count: 0
    .symbol:         _ZN9rocsparseL19gebsrmvn_3xn_kernelILj128ELj6ELj4EfEEvi20rocsparse_direction_NS_24const_host_device_scalarIT2_EEPKiS6_PKS3_S8_S4_PS3_21rocsparse_index_base_b.kd
    .uniform_work_group_size: 1
    .uses_dynamic_stack: false
    .vgpr_count:     41
    .vgpr_spill_count: 0
    .wavefront_size: 64
  - .agpr_count:     0
    .args:
      - .offset:         0
        .size:           4
        .value_kind:     by_value
      - .offset:         4
        .size:           4
        .value_kind:     by_value
      - .offset:         8
        .size:           8
        .value_kind:     by_value
      - .actual_access:  read_only
        .address_space:  global
        .offset:         16
        .size:           8
        .value_kind:     global_buffer
      - .actual_access:  read_only
        .address_space:  global
        .offset:         24
        .size:           8
        .value_kind:     global_buffer
      - .actual_access:  read_only
        .address_space:  global
        .offset:         32
        .size:           8
        .value_kind:     global_buffer
      - .actual_access:  read_only
        .address_space:  global
        .offset:         40
        .size:           8
        .value_kind:     global_buffer
      - .offset:         48
        .size:           8
        .value_kind:     by_value
      - .address_space:  global
        .offset:         56
        .size:           8
        .value_kind:     global_buffer
      - .offset:         64
        .size:           4
        .value_kind:     by_value
      - .offset:         68
        .size:           1
        .value_kind:     by_value
    .group_segment_fixed_size: 0
    .kernarg_segment_align: 8
    .kernarg_segment_size: 72
    .language:       OpenCL C
    .language_version:
      - 2
      - 0
    .max_flat_workgroup_size: 128
    .name:           _ZN9rocsparseL19gebsrmvn_3xn_kernelILj128ELj6ELj8EfEEvi20rocsparse_direction_NS_24const_host_device_scalarIT2_EEPKiS6_PKS3_S8_S4_PS3_21rocsparse_index_base_b
    .private_segment_fixed_size: 0
    .sgpr_count:     26
    .sgpr_spill_count: 0
    .symbol:         _ZN9rocsparseL19gebsrmvn_3xn_kernelILj128ELj6ELj8EfEEvi20rocsparse_direction_NS_24const_host_device_scalarIT2_EEPKiS6_PKS3_S8_S4_PS3_21rocsparse_index_base_b.kd
    .uniform_work_group_size: 1
    .uses_dynamic_stack: false
    .vgpr_count:     41
    .vgpr_spill_count: 0
    .wavefront_size: 64
  - .agpr_count:     0
    .args:
      - .offset:         0
        .size:           4
        .value_kind:     by_value
      - .offset:         4
        .size:           4
        .value_kind:     by_value
      - .offset:         8
        .size:           8
        .value_kind:     by_value
      - .actual_access:  read_only
        .address_space:  global
        .offset:         16
        .size:           8
        .value_kind:     global_buffer
      - .actual_access:  read_only
        .address_space:  global
        .offset:         24
        .size:           8
        .value_kind:     global_buffer
      - .actual_access:  read_only
        .address_space:  global
        .offset:         32
        .size:           8
        .value_kind:     global_buffer
      - .actual_access:  read_only
        .address_space:  global
        .offset:         40
        .size:           8
        .value_kind:     global_buffer
      - .offset:         48
        .size:           8
        .value_kind:     by_value
      - .address_space:  global
        .offset:         56
        .size:           8
        .value_kind:     global_buffer
      - .offset:         64
        .size:           4
        .value_kind:     by_value
      - .offset:         68
        .size:           1
        .value_kind:     by_value
    .group_segment_fixed_size: 0
    .kernarg_segment_align: 8
    .kernarg_segment_size: 72
    .language:       OpenCL C
    .language_version:
      - 2
      - 0
    .max_flat_workgroup_size: 128
    .name:           _ZN9rocsparseL19gebsrmvn_3xn_kernelILj128ELj6ELj16EfEEvi20rocsparse_direction_NS_24const_host_device_scalarIT2_EEPKiS6_PKS3_S8_S4_PS3_21rocsparse_index_base_b
    .private_segment_fixed_size: 0
    .sgpr_count:     26
    .sgpr_spill_count: 0
    .symbol:         _ZN9rocsparseL19gebsrmvn_3xn_kernelILj128ELj6ELj16EfEEvi20rocsparse_direction_NS_24const_host_device_scalarIT2_EEPKiS6_PKS3_S8_S4_PS3_21rocsparse_index_base_b.kd
    .uniform_work_group_size: 1
    .uses_dynamic_stack: false
    .vgpr_count:     41
    .vgpr_spill_count: 0
    .wavefront_size: 64
  - .agpr_count:     0
    .args:
      - .offset:         0
        .size:           4
        .value_kind:     by_value
      - .offset:         4
        .size:           4
        .value_kind:     by_value
      - .offset:         8
        .size:           8
        .value_kind:     by_value
      - .actual_access:  read_only
        .address_space:  global
        .offset:         16
        .size:           8
        .value_kind:     global_buffer
      - .actual_access:  read_only
        .address_space:  global
        .offset:         24
        .size:           8
        .value_kind:     global_buffer
      - .actual_access:  read_only
        .address_space:  global
        .offset:         32
        .size:           8
        .value_kind:     global_buffer
      - .actual_access:  read_only
        .address_space:  global
        .offset:         40
        .size:           8
        .value_kind:     global_buffer
      - .offset:         48
        .size:           8
        .value_kind:     by_value
      - .address_space:  global
        .offset:         56
        .size:           8
        .value_kind:     global_buffer
      - .offset:         64
        .size:           4
        .value_kind:     by_value
      - .offset:         68
        .size:           1
        .value_kind:     by_value
    .group_segment_fixed_size: 0
    .kernarg_segment_align: 8
    .kernarg_segment_size: 72
    .language:       OpenCL C
    .language_version:
      - 2
      - 0
    .max_flat_workgroup_size: 128
    .name:           _ZN9rocsparseL19gebsrmvn_3xn_kernelILj128ELj6ELj32EfEEvi20rocsparse_direction_NS_24const_host_device_scalarIT2_EEPKiS6_PKS3_S8_S4_PS3_21rocsparse_index_base_b
    .private_segment_fixed_size: 0
    .sgpr_count:     26
    .sgpr_spill_count: 0
    .symbol:         _ZN9rocsparseL19gebsrmvn_3xn_kernelILj128ELj6ELj32EfEEvi20rocsparse_direction_NS_24const_host_device_scalarIT2_EEPKiS6_PKS3_S8_S4_PS3_21rocsparse_index_base_b.kd
    .uniform_work_group_size: 1
    .uses_dynamic_stack: false
    .vgpr_count:     41
    .vgpr_spill_count: 0
    .wavefront_size: 64
  - .agpr_count:     0
    .args:
      - .offset:         0
        .size:           4
        .value_kind:     by_value
      - .offset:         4
        .size:           4
        .value_kind:     by_value
      - .offset:         8
        .size:           8
        .value_kind:     by_value
      - .actual_access:  read_only
        .address_space:  global
        .offset:         16
        .size:           8
        .value_kind:     global_buffer
      - .actual_access:  read_only
        .address_space:  global
        .offset:         24
        .size:           8
        .value_kind:     global_buffer
      - .actual_access:  read_only
        .address_space:  global
        .offset:         32
        .size:           8
        .value_kind:     global_buffer
      - .actual_access:  read_only
        .address_space:  global
        .offset:         40
        .size:           8
        .value_kind:     global_buffer
      - .offset:         48
        .size:           8
        .value_kind:     by_value
      - .address_space:  global
        .offset:         56
        .size:           8
        .value_kind:     global_buffer
      - .offset:         64
        .size:           4
        .value_kind:     by_value
      - .offset:         68
        .size:           1
        .value_kind:     by_value
    .group_segment_fixed_size: 0
    .kernarg_segment_align: 8
    .kernarg_segment_size: 72
    .language:       OpenCL C
    .language_version:
      - 2
      - 0
    .max_flat_workgroup_size: 128
    .name:           _ZN9rocsparseL19gebsrmvn_3xn_kernelILj128ELj6ELj64EfEEvi20rocsparse_direction_NS_24const_host_device_scalarIT2_EEPKiS6_PKS3_S8_S4_PS3_21rocsparse_index_base_b
    .private_segment_fixed_size: 0
    .sgpr_count:     26
    .sgpr_spill_count: 0
    .symbol:         _ZN9rocsparseL19gebsrmvn_3xn_kernelILj128ELj6ELj64EfEEvi20rocsparse_direction_NS_24const_host_device_scalarIT2_EEPKiS6_PKS3_S8_S4_PS3_21rocsparse_index_base_b.kd
    .uniform_work_group_size: 1
    .uses_dynamic_stack: false
    .vgpr_count:     41
    .vgpr_spill_count: 0
    .wavefront_size: 64
  - .agpr_count:     0
    .args:
      - .offset:         0
        .size:           4
        .value_kind:     by_value
      - .offset:         4
        .size:           4
        .value_kind:     by_value
      - .offset:         8
        .size:           8
        .value_kind:     by_value
      - .actual_access:  read_only
        .address_space:  global
        .offset:         16
        .size:           8
        .value_kind:     global_buffer
      - .actual_access:  read_only
        .address_space:  global
        .offset:         24
        .size:           8
        .value_kind:     global_buffer
      - .actual_access:  read_only
        .address_space:  global
        .offset:         32
        .size:           8
        .value_kind:     global_buffer
      - .actual_access:  read_only
        .address_space:  global
        .offset:         40
        .size:           8
        .value_kind:     global_buffer
      - .offset:         48
        .size:           8
        .value_kind:     by_value
      - .address_space:  global
        .offset:         56
        .size:           8
        .value_kind:     global_buffer
      - .offset:         64
        .size:           4
        .value_kind:     by_value
      - .offset:         68
        .size:           1
        .value_kind:     by_value
    .group_segment_fixed_size: 0
    .kernarg_segment_align: 8
    .kernarg_segment_size: 72
    .language:       OpenCL C
    .language_version:
      - 2
      - 0
    .max_flat_workgroup_size: 128
    .name:           _ZN9rocsparseL19gebsrmvn_3xn_kernelILj128ELj7ELj4EfEEvi20rocsparse_direction_NS_24const_host_device_scalarIT2_EEPKiS6_PKS3_S8_S4_PS3_21rocsparse_index_base_b
    .private_segment_fixed_size: 0
    .sgpr_count:     26
    .sgpr_spill_count: 0
    .symbol:         _ZN9rocsparseL19gebsrmvn_3xn_kernelILj128ELj7ELj4EfEEvi20rocsparse_direction_NS_24const_host_device_scalarIT2_EEPKiS6_PKS3_S8_S4_PS3_21rocsparse_index_base_b.kd
    .uniform_work_group_size: 1
    .uses_dynamic_stack: false
    .vgpr_count:     46
    .vgpr_spill_count: 0
    .wavefront_size: 64
  - .agpr_count:     0
    .args:
      - .offset:         0
        .size:           4
        .value_kind:     by_value
      - .offset:         4
        .size:           4
        .value_kind:     by_value
      - .offset:         8
        .size:           8
        .value_kind:     by_value
      - .actual_access:  read_only
        .address_space:  global
        .offset:         16
        .size:           8
        .value_kind:     global_buffer
      - .actual_access:  read_only
        .address_space:  global
        .offset:         24
        .size:           8
        .value_kind:     global_buffer
      - .actual_access:  read_only
        .address_space:  global
        .offset:         32
        .size:           8
        .value_kind:     global_buffer
      - .actual_access:  read_only
        .address_space:  global
        .offset:         40
        .size:           8
        .value_kind:     global_buffer
      - .offset:         48
        .size:           8
        .value_kind:     by_value
      - .address_space:  global
        .offset:         56
        .size:           8
        .value_kind:     global_buffer
      - .offset:         64
        .size:           4
        .value_kind:     by_value
      - .offset:         68
        .size:           1
        .value_kind:     by_value
    .group_segment_fixed_size: 0
    .kernarg_segment_align: 8
    .kernarg_segment_size: 72
    .language:       OpenCL C
    .language_version:
      - 2
      - 0
    .max_flat_workgroup_size: 128
    .name:           _ZN9rocsparseL19gebsrmvn_3xn_kernelILj128ELj7ELj8EfEEvi20rocsparse_direction_NS_24const_host_device_scalarIT2_EEPKiS6_PKS3_S8_S4_PS3_21rocsparse_index_base_b
    .private_segment_fixed_size: 0
    .sgpr_count:     26
    .sgpr_spill_count: 0
    .symbol:         _ZN9rocsparseL19gebsrmvn_3xn_kernelILj128ELj7ELj8EfEEvi20rocsparse_direction_NS_24const_host_device_scalarIT2_EEPKiS6_PKS3_S8_S4_PS3_21rocsparse_index_base_b.kd
    .uniform_work_group_size: 1
    .uses_dynamic_stack: false
    .vgpr_count:     46
    .vgpr_spill_count: 0
    .wavefront_size: 64
  - .agpr_count:     0
    .args:
      - .offset:         0
        .size:           4
        .value_kind:     by_value
      - .offset:         4
        .size:           4
        .value_kind:     by_value
      - .offset:         8
        .size:           8
        .value_kind:     by_value
      - .actual_access:  read_only
        .address_space:  global
        .offset:         16
        .size:           8
        .value_kind:     global_buffer
      - .actual_access:  read_only
        .address_space:  global
        .offset:         24
        .size:           8
        .value_kind:     global_buffer
      - .actual_access:  read_only
        .address_space:  global
        .offset:         32
        .size:           8
        .value_kind:     global_buffer
      - .actual_access:  read_only
        .address_space:  global
        .offset:         40
        .size:           8
        .value_kind:     global_buffer
      - .offset:         48
        .size:           8
        .value_kind:     by_value
      - .address_space:  global
        .offset:         56
        .size:           8
        .value_kind:     global_buffer
      - .offset:         64
        .size:           4
        .value_kind:     by_value
      - .offset:         68
        .size:           1
        .value_kind:     by_value
    .group_segment_fixed_size: 0
    .kernarg_segment_align: 8
    .kernarg_segment_size: 72
    .language:       OpenCL C
    .language_version:
      - 2
      - 0
    .max_flat_workgroup_size: 128
    .name:           _ZN9rocsparseL19gebsrmvn_3xn_kernelILj128ELj7ELj16EfEEvi20rocsparse_direction_NS_24const_host_device_scalarIT2_EEPKiS6_PKS3_S8_S4_PS3_21rocsparse_index_base_b
    .private_segment_fixed_size: 0
    .sgpr_count:     26
    .sgpr_spill_count: 0
    .symbol:         _ZN9rocsparseL19gebsrmvn_3xn_kernelILj128ELj7ELj16EfEEvi20rocsparse_direction_NS_24const_host_device_scalarIT2_EEPKiS6_PKS3_S8_S4_PS3_21rocsparse_index_base_b.kd
    .uniform_work_group_size: 1
    .uses_dynamic_stack: false
    .vgpr_count:     46
    .vgpr_spill_count: 0
    .wavefront_size: 64
  - .agpr_count:     0
    .args:
      - .offset:         0
        .size:           4
        .value_kind:     by_value
      - .offset:         4
        .size:           4
        .value_kind:     by_value
      - .offset:         8
        .size:           8
        .value_kind:     by_value
      - .actual_access:  read_only
        .address_space:  global
        .offset:         16
        .size:           8
        .value_kind:     global_buffer
      - .actual_access:  read_only
        .address_space:  global
        .offset:         24
        .size:           8
        .value_kind:     global_buffer
      - .actual_access:  read_only
        .address_space:  global
        .offset:         32
        .size:           8
        .value_kind:     global_buffer
      - .actual_access:  read_only
        .address_space:  global
        .offset:         40
        .size:           8
        .value_kind:     global_buffer
      - .offset:         48
        .size:           8
        .value_kind:     by_value
      - .address_space:  global
        .offset:         56
        .size:           8
        .value_kind:     global_buffer
      - .offset:         64
        .size:           4
        .value_kind:     by_value
      - .offset:         68
        .size:           1
        .value_kind:     by_value
    .group_segment_fixed_size: 0
    .kernarg_segment_align: 8
    .kernarg_segment_size: 72
    .language:       OpenCL C
    .language_version:
      - 2
      - 0
    .max_flat_workgroup_size: 128
    .name:           _ZN9rocsparseL19gebsrmvn_3xn_kernelILj128ELj7ELj32EfEEvi20rocsparse_direction_NS_24const_host_device_scalarIT2_EEPKiS6_PKS3_S8_S4_PS3_21rocsparse_index_base_b
    .private_segment_fixed_size: 0
    .sgpr_count:     26
    .sgpr_spill_count: 0
    .symbol:         _ZN9rocsparseL19gebsrmvn_3xn_kernelILj128ELj7ELj32EfEEvi20rocsparse_direction_NS_24const_host_device_scalarIT2_EEPKiS6_PKS3_S8_S4_PS3_21rocsparse_index_base_b.kd
    .uniform_work_group_size: 1
    .uses_dynamic_stack: false
    .vgpr_count:     46
    .vgpr_spill_count: 0
    .wavefront_size: 64
  - .agpr_count:     0
    .args:
      - .offset:         0
        .size:           4
        .value_kind:     by_value
      - .offset:         4
        .size:           4
        .value_kind:     by_value
      - .offset:         8
        .size:           8
        .value_kind:     by_value
      - .actual_access:  read_only
        .address_space:  global
        .offset:         16
        .size:           8
        .value_kind:     global_buffer
      - .actual_access:  read_only
        .address_space:  global
        .offset:         24
        .size:           8
        .value_kind:     global_buffer
      - .actual_access:  read_only
        .address_space:  global
        .offset:         32
        .size:           8
        .value_kind:     global_buffer
      - .actual_access:  read_only
        .address_space:  global
        .offset:         40
        .size:           8
        .value_kind:     global_buffer
      - .offset:         48
        .size:           8
        .value_kind:     by_value
      - .address_space:  global
        .offset:         56
        .size:           8
        .value_kind:     global_buffer
      - .offset:         64
        .size:           4
        .value_kind:     by_value
      - .offset:         68
        .size:           1
        .value_kind:     by_value
    .group_segment_fixed_size: 0
    .kernarg_segment_align: 8
    .kernarg_segment_size: 72
    .language:       OpenCL C
    .language_version:
      - 2
      - 0
    .max_flat_workgroup_size: 128
    .name:           _ZN9rocsparseL19gebsrmvn_3xn_kernelILj128ELj7ELj64EfEEvi20rocsparse_direction_NS_24const_host_device_scalarIT2_EEPKiS6_PKS3_S8_S4_PS3_21rocsparse_index_base_b
    .private_segment_fixed_size: 0
    .sgpr_count:     26
    .sgpr_spill_count: 0
    .symbol:         _ZN9rocsparseL19gebsrmvn_3xn_kernelILj128ELj7ELj64EfEEvi20rocsparse_direction_NS_24const_host_device_scalarIT2_EEPKiS6_PKS3_S8_S4_PS3_21rocsparse_index_base_b.kd
    .uniform_work_group_size: 1
    .uses_dynamic_stack: false
    .vgpr_count:     46
    .vgpr_spill_count: 0
    .wavefront_size: 64
  - .agpr_count:     0
    .args:
      - .offset:         0
        .size:           4
        .value_kind:     by_value
      - .offset:         4
        .size:           4
        .value_kind:     by_value
      - .offset:         8
        .size:           8
        .value_kind:     by_value
      - .actual_access:  read_only
        .address_space:  global
        .offset:         16
        .size:           8
        .value_kind:     global_buffer
      - .actual_access:  read_only
        .address_space:  global
        .offset:         24
        .size:           8
        .value_kind:     global_buffer
      - .actual_access:  read_only
        .address_space:  global
        .offset:         32
        .size:           8
        .value_kind:     global_buffer
      - .actual_access:  read_only
        .address_space:  global
        .offset:         40
        .size:           8
        .value_kind:     global_buffer
      - .offset:         48
        .size:           8
        .value_kind:     by_value
      - .address_space:  global
        .offset:         56
        .size:           8
        .value_kind:     global_buffer
      - .offset:         64
        .size:           4
        .value_kind:     by_value
      - .offset:         68
        .size:           1
        .value_kind:     by_value
    .group_segment_fixed_size: 0
    .kernarg_segment_align: 8
    .kernarg_segment_size: 72
    .language:       OpenCL C
    .language_version:
      - 2
      - 0
    .max_flat_workgroup_size: 128
    .name:           _ZN9rocsparseL19gebsrmvn_3xn_kernelILj128ELj8ELj4EfEEvi20rocsparse_direction_NS_24const_host_device_scalarIT2_EEPKiS6_PKS3_S8_S4_PS3_21rocsparse_index_base_b
    .private_segment_fixed_size: 0
    .sgpr_count:     26
    .sgpr_spill_count: 0
    .symbol:         _ZN9rocsparseL19gebsrmvn_3xn_kernelILj128ELj8ELj4EfEEvi20rocsparse_direction_NS_24const_host_device_scalarIT2_EEPKiS6_PKS3_S8_S4_PS3_21rocsparse_index_base_b.kd
    .uniform_work_group_size: 1
    .uses_dynamic_stack: false
    .vgpr_count:     56
    .vgpr_spill_count: 0
    .wavefront_size: 64
  - .agpr_count:     0
    .args:
      - .offset:         0
        .size:           4
        .value_kind:     by_value
      - .offset:         4
        .size:           4
        .value_kind:     by_value
      - .offset:         8
        .size:           8
        .value_kind:     by_value
      - .actual_access:  read_only
        .address_space:  global
        .offset:         16
        .size:           8
        .value_kind:     global_buffer
      - .actual_access:  read_only
        .address_space:  global
        .offset:         24
        .size:           8
        .value_kind:     global_buffer
      - .actual_access:  read_only
        .address_space:  global
        .offset:         32
        .size:           8
        .value_kind:     global_buffer
      - .actual_access:  read_only
        .address_space:  global
        .offset:         40
        .size:           8
        .value_kind:     global_buffer
      - .offset:         48
        .size:           8
        .value_kind:     by_value
      - .address_space:  global
        .offset:         56
        .size:           8
        .value_kind:     global_buffer
      - .offset:         64
        .size:           4
        .value_kind:     by_value
      - .offset:         68
        .size:           1
        .value_kind:     by_value
    .group_segment_fixed_size: 0
    .kernarg_segment_align: 8
    .kernarg_segment_size: 72
    .language:       OpenCL C
    .language_version:
      - 2
      - 0
    .max_flat_workgroup_size: 128
    .name:           _ZN9rocsparseL19gebsrmvn_3xn_kernelILj128ELj8ELj8EfEEvi20rocsparse_direction_NS_24const_host_device_scalarIT2_EEPKiS6_PKS3_S8_S4_PS3_21rocsparse_index_base_b
    .private_segment_fixed_size: 0
    .sgpr_count:     26
    .sgpr_spill_count: 0
    .symbol:         _ZN9rocsparseL19gebsrmvn_3xn_kernelILj128ELj8ELj8EfEEvi20rocsparse_direction_NS_24const_host_device_scalarIT2_EEPKiS6_PKS3_S8_S4_PS3_21rocsparse_index_base_b.kd
    .uniform_work_group_size: 1
    .uses_dynamic_stack: false
    .vgpr_count:     56
    .vgpr_spill_count: 0
    .wavefront_size: 64
  - .agpr_count:     0
    .args:
      - .offset:         0
        .size:           4
        .value_kind:     by_value
      - .offset:         4
        .size:           4
        .value_kind:     by_value
      - .offset:         8
        .size:           8
        .value_kind:     by_value
      - .actual_access:  read_only
        .address_space:  global
        .offset:         16
        .size:           8
        .value_kind:     global_buffer
      - .actual_access:  read_only
        .address_space:  global
        .offset:         24
        .size:           8
        .value_kind:     global_buffer
      - .actual_access:  read_only
        .address_space:  global
        .offset:         32
        .size:           8
        .value_kind:     global_buffer
      - .actual_access:  read_only
        .address_space:  global
        .offset:         40
        .size:           8
        .value_kind:     global_buffer
      - .offset:         48
        .size:           8
        .value_kind:     by_value
      - .address_space:  global
        .offset:         56
        .size:           8
        .value_kind:     global_buffer
      - .offset:         64
        .size:           4
        .value_kind:     by_value
      - .offset:         68
        .size:           1
        .value_kind:     by_value
    .group_segment_fixed_size: 0
    .kernarg_segment_align: 8
    .kernarg_segment_size: 72
    .language:       OpenCL C
    .language_version:
      - 2
      - 0
    .max_flat_workgroup_size: 128
    .name:           _ZN9rocsparseL19gebsrmvn_3xn_kernelILj128ELj8ELj16EfEEvi20rocsparse_direction_NS_24const_host_device_scalarIT2_EEPKiS6_PKS3_S8_S4_PS3_21rocsparse_index_base_b
    .private_segment_fixed_size: 0
    .sgpr_count:     26
    .sgpr_spill_count: 0
    .symbol:         _ZN9rocsparseL19gebsrmvn_3xn_kernelILj128ELj8ELj16EfEEvi20rocsparse_direction_NS_24const_host_device_scalarIT2_EEPKiS6_PKS3_S8_S4_PS3_21rocsparse_index_base_b.kd
    .uniform_work_group_size: 1
    .uses_dynamic_stack: false
    .vgpr_count:     56
    .vgpr_spill_count: 0
    .wavefront_size: 64
  - .agpr_count:     0
    .args:
      - .offset:         0
        .size:           4
        .value_kind:     by_value
      - .offset:         4
        .size:           4
        .value_kind:     by_value
      - .offset:         8
        .size:           8
        .value_kind:     by_value
      - .actual_access:  read_only
        .address_space:  global
        .offset:         16
        .size:           8
        .value_kind:     global_buffer
      - .actual_access:  read_only
        .address_space:  global
        .offset:         24
        .size:           8
        .value_kind:     global_buffer
      - .actual_access:  read_only
        .address_space:  global
        .offset:         32
        .size:           8
        .value_kind:     global_buffer
      - .actual_access:  read_only
        .address_space:  global
        .offset:         40
        .size:           8
        .value_kind:     global_buffer
      - .offset:         48
        .size:           8
        .value_kind:     by_value
      - .address_space:  global
        .offset:         56
        .size:           8
        .value_kind:     global_buffer
      - .offset:         64
        .size:           4
        .value_kind:     by_value
      - .offset:         68
        .size:           1
        .value_kind:     by_value
    .group_segment_fixed_size: 0
    .kernarg_segment_align: 8
    .kernarg_segment_size: 72
    .language:       OpenCL C
    .language_version:
      - 2
      - 0
    .max_flat_workgroup_size: 128
    .name:           _ZN9rocsparseL19gebsrmvn_3xn_kernelILj128ELj8ELj32EfEEvi20rocsparse_direction_NS_24const_host_device_scalarIT2_EEPKiS6_PKS3_S8_S4_PS3_21rocsparse_index_base_b
    .private_segment_fixed_size: 0
    .sgpr_count:     26
    .sgpr_spill_count: 0
    .symbol:         _ZN9rocsparseL19gebsrmvn_3xn_kernelILj128ELj8ELj32EfEEvi20rocsparse_direction_NS_24const_host_device_scalarIT2_EEPKiS6_PKS3_S8_S4_PS3_21rocsparse_index_base_b.kd
    .uniform_work_group_size: 1
    .uses_dynamic_stack: false
    .vgpr_count:     56
    .vgpr_spill_count: 0
    .wavefront_size: 64
  - .agpr_count:     0
    .args:
      - .offset:         0
        .size:           4
        .value_kind:     by_value
      - .offset:         4
        .size:           4
        .value_kind:     by_value
      - .offset:         8
        .size:           8
        .value_kind:     by_value
      - .actual_access:  read_only
        .address_space:  global
        .offset:         16
        .size:           8
        .value_kind:     global_buffer
      - .actual_access:  read_only
        .address_space:  global
        .offset:         24
        .size:           8
        .value_kind:     global_buffer
      - .actual_access:  read_only
        .address_space:  global
        .offset:         32
        .size:           8
        .value_kind:     global_buffer
      - .actual_access:  read_only
        .address_space:  global
        .offset:         40
        .size:           8
        .value_kind:     global_buffer
      - .offset:         48
        .size:           8
        .value_kind:     by_value
      - .address_space:  global
        .offset:         56
        .size:           8
        .value_kind:     global_buffer
      - .offset:         64
        .size:           4
        .value_kind:     by_value
      - .offset:         68
        .size:           1
        .value_kind:     by_value
    .group_segment_fixed_size: 0
    .kernarg_segment_align: 8
    .kernarg_segment_size: 72
    .language:       OpenCL C
    .language_version:
      - 2
      - 0
    .max_flat_workgroup_size: 128
    .name:           _ZN9rocsparseL19gebsrmvn_3xn_kernelILj128ELj8ELj64EfEEvi20rocsparse_direction_NS_24const_host_device_scalarIT2_EEPKiS6_PKS3_S8_S4_PS3_21rocsparse_index_base_b
    .private_segment_fixed_size: 0
    .sgpr_count:     26
    .sgpr_spill_count: 0
    .symbol:         _ZN9rocsparseL19gebsrmvn_3xn_kernelILj128ELj8ELj64EfEEvi20rocsparse_direction_NS_24const_host_device_scalarIT2_EEPKiS6_PKS3_S8_S4_PS3_21rocsparse_index_base_b.kd
    .uniform_work_group_size: 1
    .uses_dynamic_stack: false
    .vgpr_count:     56
    .vgpr_spill_count: 0
    .wavefront_size: 64
  - .agpr_count:     0
    .args:
      - .offset:         0
        .size:           4
        .value_kind:     by_value
      - .offset:         4
        .size:           4
        .value_kind:     by_value
      - .offset:         8
        .size:           8
        .value_kind:     by_value
      - .actual_access:  read_only
        .address_space:  global
        .offset:         16
        .size:           8
        .value_kind:     global_buffer
      - .actual_access:  read_only
        .address_space:  global
        .offset:         24
        .size:           8
        .value_kind:     global_buffer
      - .actual_access:  read_only
        .address_space:  global
        .offset:         32
        .size:           8
        .value_kind:     global_buffer
      - .offset:         40
        .size:           4
        .value_kind:     by_value
      - .offset:         44
        .size:           4
        .value_kind:     by_value
      - .actual_access:  read_only
        .address_space:  global
        .offset:         48
        .size:           8
        .value_kind:     global_buffer
      - .offset:         56
        .size:           8
        .value_kind:     by_value
      - .address_space:  global
        .offset:         64
        .size:           8
        .value_kind:     global_buffer
      - .offset:         72
        .size:           4
        .value_kind:     by_value
      - .offset:         76
        .size:           1
        .value_kind:     by_value
    .group_segment_fixed_size: 0
    .kernarg_segment_align: 8
    .kernarg_segment_size: 80
    .language:       OpenCL C
    .language_version:
      - 2
      - 0
    .max_flat_workgroup_size: 48
    .name:           _ZN9rocsparseL23gebsrmvn_general_kernelILj48ELj16EfEEvi20rocsparse_direction_NS_24const_host_device_scalarIT1_EEPKiS6_PKS3_iiS8_S4_PS3_21rocsparse_index_base_b
    .private_segment_fixed_size: 0
    .sgpr_count:     46
    .sgpr_spill_count: 0
    .symbol:         _ZN9rocsparseL23gebsrmvn_general_kernelILj48ELj16EfEEvi20rocsparse_direction_NS_24const_host_device_scalarIT1_EEPKiS6_PKS3_iiS8_S4_PS3_21rocsparse_index_base_b.kd
    .uniform_work_group_size: 1
    .uses_dynamic_stack: false
    .vgpr_count:     9
    .vgpr_spill_count: 0
    .wavefront_size: 64
  - .agpr_count:     0
    .args:
      - .offset:         0
        .size:           4
        .value_kind:     by_value
      - .offset:         4
        .size:           4
        .value_kind:     by_value
      - .offset:         8
        .size:           8
        .value_kind:     by_value
      - .actual_access:  read_only
        .address_space:  global
        .offset:         16
        .size:           8
        .value_kind:     global_buffer
      - .actual_access:  read_only
        .address_space:  global
        .offset:         24
        .size:           8
        .value_kind:     global_buffer
      - .actual_access:  read_only
        .address_space:  global
        .offset:         32
        .size:           8
        .value_kind:     global_buffer
      - .offset:         40
        .size:           4
        .value_kind:     by_value
      - .offset:         44
        .size:           4
        .value_kind:     by_value
      - .actual_access:  read_only
        .address_space:  global
        .offset:         48
        .size:           8
        .value_kind:     global_buffer
      - .offset:         56
        .size:           8
        .value_kind:     by_value
      - .address_space:  global
        .offset:         64
        .size:           8
        .value_kind:     global_buffer
      - .offset:         72
        .size:           4
        .value_kind:     by_value
      - .offset:         76
        .size:           1
        .value_kind:     by_value
    .group_segment_fixed_size: 0
    .kernarg_segment_align: 8
    .kernarg_segment_size: 80
    .language:       OpenCL C
    .language_version:
      - 2
      - 0
    .max_flat_workgroup_size: 96
    .name:           _ZN9rocsparseL23gebsrmvn_general_kernelILj96ELj32EfEEvi20rocsparse_direction_NS_24const_host_device_scalarIT1_EEPKiS6_PKS3_iiS8_S4_PS3_21rocsparse_index_base_b
    .private_segment_fixed_size: 0
    .sgpr_count:     46
    .sgpr_spill_count: 0
    .symbol:         _ZN9rocsparseL23gebsrmvn_general_kernelILj96ELj32EfEEvi20rocsparse_direction_NS_24const_host_device_scalarIT1_EEPKiS6_PKS3_iiS8_S4_PS3_21rocsparse_index_base_b.kd
    .uniform_work_group_size: 1
    .uses_dynamic_stack: false
    .vgpr_count:     9
    .vgpr_spill_count: 0
    .wavefront_size: 64
  - .agpr_count:     0
    .args:
      - .offset:         0
        .size:           4
        .value_kind:     by_value
      - .offset:         4
        .size:           4
        .value_kind:     by_value
      - .offset:         8
        .size:           8
        .value_kind:     by_value
      - .actual_access:  read_only
        .address_space:  global
        .offset:         16
        .size:           8
        .value_kind:     global_buffer
      - .actual_access:  read_only
        .address_space:  global
        .offset:         24
        .size:           8
        .value_kind:     global_buffer
      - .actual_access:  read_only
        .address_space:  global
        .offset:         32
        .size:           8
        .value_kind:     global_buffer
      - .actual_access:  read_only
        .address_space:  global
        .offset:         40
        .size:           8
        .value_kind:     global_buffer
      - .offset:         48
        .size:           8
        .value_kind:     by_value
      - .address_space:  global
        .offset:         56
        .size:           8
        .value_kind:     global_buffer
      - .offset:         64
        .size:           4
        .value_kind:     by_value
      - .offset:         68
        .size:           1
        .value_kind:     by_value
    .group_segment_fixed_size: 0
    .kernarg_segment_align: 8
    .kernarg_segment_size: 72
    .language:       OpenCL C
    .language_version:
      - 2
      - 0
    .max_flat_workgroup_size: 128
    .name:           _ZN9rocsparseL19gebsrmvn_3xn_kernelILj128ELj1ELj4EdEEvi20rocsparse_direction_NS_24const_host_device_scalarIT2_EEPKiS6_PKS3_S8_S4_PS3_21rocsparse_index_base_b
    .private_segment_fixed_size: 0
    .sgpr_count:     24
    .sgpr_spill_count: 0
    .symbol:         _ZN9rocsparseL19gebsrmvn_3xn_kernelILj128ELj1ELj4EdEEvi20rocsparse_direction_NS_24const_host_device_scalarIT2_EEPKiS6_PKS3_S8_S4_PS3_21rocsparse_index_base_b.kd
    .uniform_work_group_size: 1
    .uses_dynamic_stack: false
    .vgpr_count:     32
    .vgpr_spill_count: 0
    .wavefront_size: 64
  - .agpr_count:     0
    .args:
      - .offset:         0
        .size:           4
        .value_kind:     by_value
      - .offset:         4
        .size:           4
        .value_kind:     by_value
      - .offset:         8
        .size:           8
        .value_kind:     by_value
      - .actual_access:  read_only
        .address_space:  global
        .offset:         16
        .size:           8
        .value_kind:     global_buffer
      - .actual_access:  read_only
        .address_space:  global
        .offset:         24
        .size:           8
        .value_kind:     global_buffer
      - .actual_access:  read_only
        .address_space:  global
        .offset:         32
        .size:           8
        .value_kind:     global_buffer
      - .actual_access:  read_only
        .address_space:  global
        .offset:         40
        .size:           8
        .value_kind:     global_buffer
      - .offset:         48
        .size:           8
        .value_kind:     by_value
      - .address_space:  global
        .offset:         56
        .size:           8
        .value_kind:     global_buffer
      - .offset:         64
        .size:           4
        .value_kind:     by_value
      - .offset:         68
        .size:           1
        .value_kind:     by_value
    .group_segment_fixed_size: 0
    .kernarg_segment_align: 8
    .kernarg_segment_size: 72
    .language:       OpenCL C
    .language_version:
      - 2
      - 0
    .max_flat_workgroup_size: 128
    .name:           _ZN9rocsparseL19gebsrmvn_3xn_kernelILj128ELj1ELj8EdEEvi20rocsparse_direction_NS_24const_host_device_scalarIT2_EEPKiS6_PKS3_S8_S4_PS3_21rocsparse_index_base_b
    .private_segment_fixed_size: 0
    .sgpr_count:     24
    .sgpr_spill_count: 0
    .symbol:         _ZN9rocsparseL19gebsrmvn_3xn_kernelILj128ELj1ELj8EdEEvi20rocsparse_direction_NS_24const_host_device_scalarIT2_EEPKiS6_PKS3_S8_S4_PS3_21rocsparse_index_base_b.kd
    .uniform_work_group_size: 1
    .uses_dynamic_stack: false
    .vgpr_count:     32
    .vgpr_spill_count: 0
    .wavefront_size: 64
  - .agpr_count:     0
    .args:
      - .offset:         0
        .size:           4
        .value_kind:     by_value
      - .offset:         4
        .size:           4
        .value_kind:     by_value
      - .offset:         8
        .size:           8
        .value_kind:     by_value
      - .actual_access:  read_only
        .address_space:  global
        .offset:         16
        .size:           8
        .value_kind:     global_buffer
      - .actual_access:  read_only
        .address_space:  global
        .offset:         24
        .size:           8
        .value_kind:     global_buffer
      - .actual_access:  read_only
        .address_space:  global
        .offset:         32
        .size:           8
        .value_kind:     global_buffer
      - .actual_access:  read_only
        .address_space:  global
        .offset:         40
        .size:           8
        .value_kind:     global_buffer
      - .offset:         48
        .size:           8
        .value_kind:     by_value
      - .address_space:  global
        .offset:         56
        .size:           8
        .value_kind:     global_buffer
      - .offset:         64
        .size:           4
        .value_kind:     by_value
      - .offset:         68
        .size:           1
        .value_kind:     by_value
    .group_segment_fixed_size: 0
    .kernarg_segment_align: 8
    .kernarg_segment_size: 72
    .language:       OpenCL C
    .language_version:
      - 2
      - 0
    .max_flat_workgroup_size: 128
    .name:           _ZN9rocsparseL19gebsrmvn_3xn_kernelILj128ELj1ELj16EdEEvi20rocsparse_direction_NS_24const_host_device_scalarIT2_EEPKiS6_PKS3_S8_S4_PS3_21rocsparse_index_base_b
    .private_segment_fixed_size: 0
    .sgpr_count:     24
    .sgpr_spill_count: 0
    .symbol:         _ZN9rocsparseL19gebsrmvn_3xn_kernelILj128ELj1ELj16EdEEvi20rocsparse_direction_NS_24const_host_device_scalarIT2_EEPKiS6_PKS3_S8_S4_PS3_21rocsparse_index_base_b.kd
    .uniform_work_group_size: 1
    .uses_dynamic_stack: false
    .vgpr_count:     32
    .vgpr_spill_count: 0
    .wavefront_size: 64
  - .agpr_count:     0
    .args:
      - .offset:         0
        .size:           4
        .value_kind:     by_value
      - .offset:         4
        .size:           4
        .value_kind:     by_value
      - .offset:         8
        .size:           8
        .value_kind:     by_value
      - .actual_access:  read_only
        .address_space:  global
        .offset:         16
        .size:           8
        .value_kind:     global_buffer
      - .actual_access:  read_only
        .address_space:  global
        .offset:         24
        .size:           8
        .value_kind:     global_buffer
      - .actual_access:  read_only
        .address_space:  global
        .offset:         32
        .size:           8
        .value_kind:     global_buffer
      - .actual_access:  read_only
        .address_space:  global
        .offset:         40
        .size:           8
        .value_kind:     global_buffer
      - .offset:         48
        .size:           8
        .value_kind:     by_value
      - .address_space:  global
        .offset:         56
        .size:           8
        .value_kind:     global_buffer
      - .offset:         64
        .size:           4
        .value_kind:     by_value
      - .offset:         68
        .size:           1
        .value_kind:     by_value
    .group_segment_fixed_size: 0
    .kernarg_segment_align: 8
    .kernarg_segment_size: 72
    .language:       OpenCL C
    .language_version:
      - 2
      - 0
    .max_flat_workgroup_size: 128
    .name:           _ZN9rocsparseL19gebsrmvn_3xn_kernelILj128ELj1ELj32EdEEvi20rocsparse_direction_NS_24const_host_device_scalarIT2_EEPKiS6_PKS3_S8_S4_PS3_21rocsparse_index_base_b
    .private_segment_fixed_size: 0
    .sgpr_count:     24
    .sgpr_spill_count: 0
    .symbol:         _ZN9rocsparseL19gebsrmvn_3xn_kernelILj128ELj1ELj32EdEEvi20rocsparse_direction_NS_24const_host_device_scalarIT2_EEPKiS6_PKS3_S8_S4_PS3_21rocsparse_index_base_b.kd
    .uniform_work_group_size: 1
    .uses_dynamic_stack: false
    .vgpr_count:     32
    .vgpr_spill_count: 0
    .wavefront_size: 64
  - .agpr_count:     0
    .args:
      - .offset:         0
        .size:           4
        .value_kind:     by_value
      - .offset:         4
        .size:           4
        .value_kind:     by_value
      - .offset:         8
        .size:           8
        .value_kind:     by_value
      - .actual_access:  read_only
        .address_space:  global
        .offset:         16
        .size:           8
        .value_kind:     global_buffer
      - .actual_access:  read_only
        .address_space:  global
        .offset:         24
        .size:           8
        .value_kind:     global_buffer
      - .actual_access:  read_only
        .address_space:  global
        .offset:         32
        .size:           8
        .value_kind:     global_buffer
      - .actual_access:  read_only
        .address_space:  global
        .offset:         40
        .size:           8
        .value_kind:     global_buffer
      - .offset:         48
        .size:           8
        .value_kind:     by_value
      - .address_space:  global
        .offset:         56
        .size:           8
        .value_kind:     global_buffer
      - .offset:         64
        .size:           4
        .value_kind:     by_value
      - .offset:         68
        .size:           1
        .value_kind:     by_value
    .group_segment_fixed_size: 0
    .kernarg_segment_align: 8
    .kernarg_segment_size: 72
    .language:       OpenCL C
    .language_version:
      - 2
      - 0
    .max_flat_workgroup_size: 128
    .name:           _ZN9rocsparseL19gebsrmvn_3xn_kernelILj128ELj1ELj64EdEEvi20rocsparse_direction_NS_24const_host_device_scalarIT2_EEPKiS6_PKS3_S8_S4_PS3_21rocsparse_index_base_b
    .private_segment_fixed_size: 0
    .sgpr_count:     24
    .sgpr_spill_count: 0
    .symbol:         _ZN9rocsparseL19gebsrmvn_3xn_kernelILj128ELj1ELj64EdEEvi20rocsparse_direction_NS_24const_host_device_scalarIT2_EEPKiS6_PKS3_S8_S4_PS3_21rocsparse_index_base_b.kd
    .uniform_work_group_size: 1
    .uses_dynamic_stack: false
    .vgpr_count:     32
    .vgpr_spill_count: 0
    .wavefront_size: 64
  - .agpr_count:     0
    .args:
      - .offset:         0
        .size:           4
        .value_kind:     by_value
      - .offset:         4
        .size:           4
        .value_kind:     by_value
      - .offset:         8
        .size:           8
        .value_kind:     by_value
      - .actual_access:  read_only
        .address_space:  global
        .offset:         16
        .size:           8
        .value_kind:     global_buffer
      - .actual_access:  read_only
        .address_space:  global
        .offset:         24
        .size:           8
        .value_kind:     global_buffer
      - .actual_access:  read_only
        .address_space:  global
        .offset:         32
        .size:           8
        .value_kind:     global_buffer
      - .actual_access:  read_only
        .address_space:  global
        .offset:         40
        .size:           8
        .value_kind:     global_buffer
      - .offset:         48
        .size:           8
        .value_kind:     by_value
      - .address_space:  global
        .offset:         56
        .size:           8
        .value_kind:     global_buffer
      - .offset:         64
        .size:           4
        .value_kind:     by_value
      - .offset:         68
        .size:           1
        .value_kind:     by_value
    .group_segment_fixed_size: 0
    .kernarg_segment_align: 8
    .kernarg_segment_size: 72
    .language:       OpenCL C
    .language_version:
      - 2
      - 0
    .max_flat_workgroup_size: 128
    .name:           _ZN9rocsparseL19gebsrmvn_3xn_kernelILj128ELj2ELj4EdEEvi20rocsparse_direction_NS_24const_host_device_scalarIT2_EEPKiS6_PKS3_S8_S4_PS3_21rocsparse_index_base_b
    .private_segment_fixed_size: 0
    .sgpr_count:     24
    .sgpr_spill_count: 0
    .symbol:         _ZN9rocsparseL19gebsrmvn_3xn_kernelILj128ELj2ELj4EdEEvi20rocsparse_direction_NS_24const_host_device_scalarIT2_EEPKiS6_PKS3_S8_S4_PS3_21rocsparse_index_base_b.kd
    .uniform_work_group_size: 1
    .uses_dynamic_stack: false
    .vgpr_count:     42
    .vgpr_spill_count: 0
    .wavefront_size: 64
  - .agpr_count:     0
    .args:
      - .offset:         0
        .size:           4
        .value_kind:     by_value
      - .offset:         4
        .size:           4
        .value_kind:     by_value
      - .offset:         8
        .size:           8
        .value_kind:     by_value
      - .actual_access:  read_only
        .address_space:  global
        .offset:         16
        .size:           8
        .value_kind:     global_buffer
      - .actual_access:  read_only
        .address_space:  global
        .offset:         24
        .size:           8
        .value_kind:     global_buffer
      - .actual_access:  read_only
        .address_space:  global
        .offset:         32
        .size:           8
        .value_kind:     global_buffer
      - .actual_access:  read_only
        .address_space:  global
        .offset:         40
        .size:           8
        .value_kind:     global_buffer
      - .offset:         48
        .size:           8
        .value_kind:     by_value
      - .address_space:  global
        .offset:         56
        .size:           8
        .value_kind:     global_buffer
      - .offset:         64
        .size:           4
        .value_kind:     by_value
      - .offset:         68
        .size:           1
        .value_kind:     by_value
    .group_segment_fixed_size: 0
    .kernarg_segment_align: 8
    .kernarg_segment_size: 72
    .language:       OpenCL C
    .language_version:
      - 2
      - 0
    .max_flat_workgroup_size: 128
    .name:           _ZN9rocsparseL19gebsrmvn_3xn_kernelILj128ELj2ELj8EdEEvi20rocsparse_direction_NS_24const_host_device_scalarIT2_EEPKiS6_PKS3_S8_S4_PS3_21rocsparse_index_base_b
    .private_segment_fixed_size: 0
    .sgpr_count:     24
    .sgpr_spill_count: 0
    .symbol:         _ZN9rocsparseL19gebsrmvn_3xn_kernelILj128ELj2ELj8EdEEvi20rocsparse_direction_NS_24const_host_device_scalarIT2_EEPKiS6_PKS3_S8_S4_PS3_21rocsparse_index_base_b.kd
    .uniform_work_group_size: 1
    .uses_dynamic_stack: false
    .vgpr_count:     42
    .vgpr_spill_count: 0
    .wavefront_size: 64
  - .agpr_count:     0
    .args:
      - .offset:         0
        .size:           4
        .value_kind:     by_value
      - .offset:         4
        .size:           4
        .value_kind:     by_value
      - .offset:         8
        .size:           8
        .value_kind:     by_value
      - .actual_access:  read_only
        .address_space:  global
        .offset:         16
        .size:           8
        .value_kind:     global_buffer
      - .actual_access:  read_only
        .address_space:  global
        .offset:         24
        .size:           8
        .value_kind:     global_buffer
      - .actual_access:  read_only
        .address_space:  global
        .offset:         32
        .size:           8
        .value_kind:     global_buffer
      - .actual_access:  read_only
        .address_space:  global
        .offset:         40
        .size:           8
        .value_kind:     global_buffer
      - .offset:         48
        .size:           8
        .value_kind:     by_value
      - .address_space:  global
        .offset:         56
        .size:           8
        .value_kind:     global_buffer
      - .offset:         64
        .size:           4
        .value_kind:     by_value
      - .offset:         68
        .size:           1
        .value_kind:     by_value
    .group_segment_fixed_size: 0
    .kernarg_segment_align: 8
    .kernarg_segment_size: 72
    .language:       OpenCL C
    .language_version:
      - 2
      - 0
    .max_flat_workgroup_size: 128
    .name:           _ZN9rocsparseL19gebsrmvn_3xn_kernelILj128ELj2ELj16EdEEvi20rocsparse_direction_NS_24const_host_device_scalarIT2_EEPKiS6_PKS3_S8_S4_PS3_21rocsparse_index_base_b
    .private_segment_fixed_size: 0
    .sgpr_count:     24
    .sgpr_spill_count: 0
    .symbol:         _ZN9rocsparseL19gebsrmvn_3xn_kernelILj128ELj2ELj16EdEEvi20rocsparse_direction_NS_24const_host_device_scalarIT2_EEPKiS6_PKS3_S8_S4_PS3_21rocsparse_index_base_b.kd
    .uniform_work_group_size: 1
    .uses_dynamic_stack: false
    .vgpr_count:     42
    .vgpr_spill_count: 0
    .wavefront_size: 64
  - .agpr_count:     0
    .args:
      - .offset:         0
        .size:           4
        .value_kind:     by_value
      - .offset:         4
        .size:           4
        .value_kind:     by_value
      - .offset:         8
        .size:           8
        .value_kind:     by_value
      - .actual_access:  read_only
        .address_space:  global
        .offset:         16
        .size:           8
        .value_kind:     global_buffer
      - .actual_access:  read_only
        .address_space:  global
        .offset:         24
        .size:           8
        .value_kind:     global_buffer
      - .actual_access:  read_only
        .address_space:  global
        .offset:         32
        .size:           8
        .value_kind:     global_buffer
      - .actual_access:  read_only
        .address_space:  global
        .offset:         40
        .size:           8
        .value_kind:     global_buffer
      - .offset:         48
        .size:           8
        .value_kind:     by_value
      - .address_space:  global
        .offset:         56
        .size:           8
        .value_kind:     global_buffer
      - .offset:         64
        .size:           4
        .value_kind:     by_value
      - .offset:         68
        .size:           1
        .value_kind:     by_value
    .group_segment_fixed_size: 0
    .kernarg_segment_align: 8
    .kernarg_segment_size: 72
    .language:       OpenCL C
    .language_version:
      - 2
      - 0
    .max_flat_workgroup_size: 128
    .name:           _ZN9rocsparseL19gebsrmvn_3xn_kernelILj128ELj2ELj32EdEEvi20rocsparse_direction_NS_24const_host_device_scalarIT2_EEPKiS6_PKS3_S8_S4_PS3_21rocsparse_index_base_b
    .private_segment_fixed_size: 0
    .sgpr_count:     24
    .sgpr_spill_count: 0
    .symbol:         _ZN9rocsparseL19gebsrmvn_3xn_kernelILj128ELj2ELj32EdEEvi20rocsparse_direction_NS_24const_host_device_scalarIT2_EEPKiS6_PKS3_S8_S4_PS3_21rocsparse_index_base_b.kd
    .uniform_work_group_size: 1
    .uses_dynamic_stack: false
    .vgpr_count:     42
    .vgpr_spill_count: 0
    .wavefront_size: 64
  - .agpr_count:     0
    .args:
      - .offset:         0
        .size:           4
        .value_kind:     by_value
      - .offset:         4
        .size:           4
        .value_kind:     by_value
      - .offset:         8
        .size:           8
        .value_kind:     by_value
      - .actual_access:  read_only
        .address_space:  global
        .offset:         16
        .size:           8
        .value_kind:     global_buffer
      - .actual_access:  read_only
        .address_space:  global
        .offset:         24
        .size:           8
        .value_kind:     global_buffer
      - .actual_access:  read_only
        .address_space:  global
        .offset:         32
        .size:           8
        .value_kind:     global_buffer
      - .actual_access:  read_only
        .address_space:  global
        .offset:         40
        .size:           8
        .value_kind:     global_buffer
      - .offset:         48
        .size:           8
        .value_kind:     by_value
      - .address_space:  global
        .offset:         56
        .size:           8
        .value_kind:     global_buffer
      - .offset:         64
        .size:           4
        .value_kind:     by_value
      - .offset:         68
        .size:           1
        .value_kind:     by_value
    .group_segment_fixed_size: 0
    .kernarg_segment_align: 8
    .kernarg_segment_size: 72
    .language:       OpenCL C
    .language_version:
      - 2
      - 0
    .max_flat_workgroup_size: 128
    .name:           _ZN9rocsparseL19gebsrmvn_3xn_kernelILj128ELj2ELj64EdEEvi20rocsparse_direction_NS_24const_host_device_scalarIT2_EEPKiS6_PKS3_S8_S4_PS3_21rocsparse_index_base_b
    .private_segment_fixed_size: 0
    .sgpr_count:     24
    .sgpr_spill_count: 0
    .symbol:         _ZN9rocsparseL19gebsrmvn_3xn_kernelILj128ELj2ELj64EdEEvi20rocsparse_direction_NS_24const_host_device_scalarIT2_EEPKiS6_PKS3_S8_S4_PS3_21rocsparse_index_base_b.kd
    .uniform_work_group_size: 1
    .uses_dynamic_stack: false
    .vgpr_count:     42
    .vgpr_spill_count: 0
    .wavefront_size: 64
  - .agpr_count:     0
    .args:
      - .offset:         0
        .size:           4
        .value_kind:     by_value
      - .offset:         4
        .size:           4
        .value_kind:     by_value
      - .offset:         8
        .size:           8
        .value_kind:     by_value
      - .actual_access:  read_only
        .address_space:  global
        .offset:         16
        .size:           8
        .value_kind:     global_buffer
      - .actual_access:  read_only
        .address_space:  global
        .offset:         24
        .size:           8
        .value_kind:     global_buffer
      - .actual_access:  read_only
        .address_space:  global
        .offset:         32
        .size:           8
        .value_kind:     global_buffer
      - .actual_access:  read_only
        .address_space:  global
        .offset:         40
        .size:           8
        .value_kind:     global_buffer
      - .offset:         48
        .size:           8
        .value_kind:     by_value
      - .address_space:  global
        .offset:         56
        .size:           8
        .value_kind:     global_buffer
      - .offset:         64
        .size:           4
        .value_kind:     by_value
      - .offset:         68
        .size:           1
        .value_kind:     by_value
    .group_segment_fixed_size: 0
    .kernarg_segment_align: 8
    .kernarg_segment_size: 72
    .language:       OpenCL C
    .language_version:
      - 2
      - 0
    .max_flat_workgroup_size: 128
    .name:           _ZN9rocsparseL19gebsrmvn_3xn_kernelILj128ELj4ELj4EdEEvi20rocsparse_direction_NS_24const_host_device_scalarIT2_EEPKiS6_PKS3_S8_S4_PS3_21rocsparse_index_base_b
    .private_segment_fixed_size: 0
    .sgpr_count:     24
    .sgpr_spill_count: 0
    .symbol:         _ZN9rocsparseL19gebsrmvn_3xn_kernelILj128ELj4ELj4EdEEvi20rocsparse_direction_NS_24const_host_device_scalarIT2_EEPKiS6_PKS3_S8_S4_PS3_21rocsparse_index_base_b.kd
    .uniform_work_group_size: 1
    .uses_dynamic_stack: false
    .vgpr_count:     62
    .vgpr_spill_count: 0
    .wavefront_size: 64
  - .agpr_count:     0
    .args:
      - .offset:         0
        .size:           4
        .value_kind:     by_value
      - .offset:         4
        .size:           4
        .value_kind:     by_value
      - .offset:         8
        .size:           8
        .value_kind:     by_value
      - .actual_access:  read_only
        .address_space:  global
        .offset:         16
        .size:           8
        .value_kind:     global_buffer
      - .actual_access:  read_only
        .address_space:  global
        .offset:         24
        .size:           8
        .value_kind:     global_buffer
      - .actual_access:  read_only
        .address_space:  global
        .offset:         32
        .size:           8
        .value_kind:     global_buffer
      - .actual_access:  read_only
        .address_space:  global
        .offset:         40
        .size:           8
        .value_kind:     global_buffer
      - .offset:         48
        .size:           8
        .value_kind:     by_value
      - .address_space:  global
        .offset:         56
        .size:           8
        .value_kind:     global_buffer
      - .offset:         64
        .size:           4
        .value_kind:     by_value
      - .offset:         68
        .size:           1
        .value_kind:     by_value
    .group_segment_fixed_size: 0
    .kernarg_segment_align: 8
    .kernarg_segment_size: 72
    .language:       OpenCL C
    .language_version:
      - 2
      - 0
    .max_flat_workgroup_size: 128
    .name:           _ZN9rocsparseL19gebsrmvn_3xn_kernelILj128ELj4ELj8EdEEvi20rocsparse_direction_NS_24const_host_device_scalarIT2_EEPKiS6_PKS3_S8_S4_PS3_21rocsparse_index_base_b
    .private_segment_fixed_size: 0
    .sgpr_count:     24
    .sgpr_spill_count: 0
    .symbol:         _ZN9rocsparseL19gebsrmvn_3xn_kernelILj128ELj4ELj8EdEEvi20rocsparse_direction_NS_24const_host_device_scalarIT2_EEPKiS6_PKS3_S8_S4_PS3_21rocsparse_index_base_b.kd
    .uniform_work_group_size: 1
    .uses_dynamic_stack: false
    .vgpr_count:     62
    .vgpr_spill_count: 0
    .wavefront_size: 64
  - .agpr_count:     0
    .args:
      - .offset:         0
        .size:           4
        .value_kind:     by_value
      - .offset:         4
        .size:           4
        .value_kind:     by_value
      - .offset:         8
        .size:           8
        .value_kind:     by_value
      - .actual_access:  read_only
        .address_space:  global
        .offset:         16
        .size:           8
        .value_kind:     global_buffer
      - .actual_access:  read_only
        .address_space:  global
        .offset:         24
        .size:           8
        .value_kind:     global_buffer
      - .actual_access:  read_only
        .address_space:  global
        .offset:         32
        .size:           8
        .value_kind:     global_buffer
      - .actual_access:  read_only
        .address_space:  global
        .offset:         40
        .size:           8
        .value_kind:     global_buffer
      - .offset:         48
        .size:           8
        .value_kind:     by_value
      - .address_space:  global
        .offset:         56
        .size:           8
        .value_kind:     global_buffer
      - .offset:         64
        .size:           4
        .value_kind:     by_value
      - .offset:         68
        .size:           1
        .value_kind:     by_value
    .group_segment_fixed_size: 0
    .kernarg_segment_align: 8
    .kernarg_segment_size: 72
    .language:       OpenCL C
    .language_version:
      - 2
      - 0
    .max_flat_workgroup_size: 128
    .name:           _ZN9rocsparseL19gebsrmvn_3xn_kernelILj128ELj4ELj16EdEEvi20rocsparse_direction_NS_24const_host_device_scalarIT2_EEPKiS6_PKS3_S8_S4_PS3_21rocsparse_index_base_b
    .private_segment_fixed_size: 0
    .sgpr_count:     24
    .sgpr_spill_count: 0
    .symbol:         _ZN9rocsparseL19gebsrmvn_3xn_kernelILj128ELj4ELj16EdEEvi20rocsparse_direction_NS_24const_host_device_scalarIT2_EEPKiS6_PKS3_S8_S4_PS3_21rocsparse_index_base_b.kd
    .uniform_work_group_size: 1
    .uses_dynamic_stack: false
    .vgpr_count:     62
    .vgpr_spill_count: 0
    .wavefront_size: 64
  - .agpr_count:     0
    .args:
      - .offset:         0
        .size:           4
        .value_kind:     by_value
      - .offset:         4
        .size:           4
        .value_kind:     by_value
      - .offset:         8
        .size:           8
        .value_kind:     by_value
      - .actual_access:  read_only
        .address_space:  global
        .offset:         16
        .size:           8
        .value_kind:     global_buffer
      - .actual_access:  read_only
        .address_space:  global
        .offset:         24
        .size:           8
        .value_kind:     global_buffer
      - .actual_access:  read_only
        .address_space:  global
        .offset:         32
        .size:           8
        .value_kind:     global_buffer
      - .actual_access:  read_only
        .address_space:  global
        .offset:         40
        .size:           8
        .value_kind:     global_buffer
      - .offset:         48
        .size:           8
        .value_kind:     by_value
      - .address_space:  global
        .offset:         56
        .size:           8
        .value_kind:     global_buffer
      - .offset:         64
        .size:           4
        .value_kind:     by_value
      - .offset:         68
        .size:           1
        .value_kind:     by_value
    .group_segment_fixed_size: 0
    .kernarg_segment_align: 8
    .kernarg_segment_size: 72
    .language:       OpenCL C
    .language_version:
      - 2
      - 0
    .max_flat_workgroup_size: 128
    .name:           _ZN9rocsparseL19gebsrmvn_3xn_kernelILj128ELj4ELj32EdEEvi20rocsparse_direction_NS_24const_host_device_scalarIT2_EEPKiS6_PKS3_S8_S4_PS3_21rocsparse_index_base_b
    .private_segment_fixed_size: 0
    .sgpr_count:     24
    .sgpr_spill_count: 0
    .symbol:         _ZN9rocsparseL19gebsrmvn_3xn_kernelILj128ELj4ELj32EdEEvi20rocsparse_direction_NS_24const_host_device_scalarIT2_EEPKiS6_PKS3_S8_S4_PS3_21rocsparse_index_base_b.kd
    .uniform_work_group_size: 1
    .uses_dynamic_stack: false
    .vgpr_count:     62
    .vgpr_spill_count: 0
    .wavefront_size: 64
  - .agpr_count:     0
    .args:
      - .offset:         0
        .size:           4
        .value_kind:     by_value
      - .offset:         4
        .size:           4
        .value_kind:     by_value
      - .offset:         8
        .size:           8
        .value_kind:     by_value
      - .actual_access:  read_only
        .address_space:  global
        .offset:         16
        .size:           8
        .value_kind:     global_buffer
      - .actual_access:  read_only
        .address_space:  global
        .offset:         24
        .size:           8
        .value_kind:     global_buffer
      - .actual_access:  read_only
        .address_space:  global
        .offset:         32
        .size:           8
        .value_kind:     global_buffer
      - .actual_access:  read_only
        .address_space:  global
        .offset:         40
        .size:           8
        .value_kind:     global_buffer
      - .offset:         48
        .size:           8
        .value_kind:     by_value
      - .address_space:  global
        .offset:         56
        .size:           8
        .value_kind:     global_buffer
      - .offset:         64
        .size:           4
        .value_kind:     by_value
      - .offset:         68
        .size:           1
        .value_kind:     by_value
    .group_segment_fixed_size: 0
    .kernarg_segment_align: 8
    .kernarg_segment_size: 72
    .language:       OpenCL C
    .language_version:
      - 2
      - 0
    .max_flat_workgroup_size: 128
    .name:           _ZN9rocsparseL19gebsrmvn_3xn_kernelILj128ELj4ELj64EdEEvi20rocsparse_direction_NS_24const_host_device_scalarIT2_EEPKiS6_PKS3_S8_S4_PS3_21rocsparse_index_base_b
    .private_segment_fixed_size: 0
    .sgpr_count:     24
    .sgpr_spill_count: 0
    .symbol:         _ZN9rocsparseL19gebsrmvn_3xn_kernelILj128ELj4ELj64EdEEvi20rocsparse_direction_NS_24const_host_device_scalarIT2_EEPKiS6_PKS3_S8_S4_PS3_21rocsparse_index_base_b.kd
    .uniform_work_group_size: 1
    .uses_dynamic_stack: false
    .vgpr_count:     62
    .vgpr_spill_count: 0
    .wavefront_size: 64
  - .agpr_count:     0
    .args:
      - .offset:         0
        .size:           4
        .value_kind:     by_value
      - .offset:         4
        .size:           4
        .value_kind:     by_value
      - .offset:         8
        .size:           8
        .value_kind:     by_value
      - .actual_access:  read_only
        .address_space:  global
        .offset:         16
        .size:           8
        .value_kind:     global_buffer
      - .actual_access:  read_only
        .address_space:  global
        .offset:         24
        .size:           8
        .value_kind:     global_buffer
      - .actual_access:  read_only
        .address_space:  global
        .offset:         32
        .size:           8
        .value_kind:     global_buffer
      - .actual_access:  read_only
        .address_space:  global
        .offset:         40
        .size:           8
        .value_kind:     global_buffer
      - .offset:         48
        .size:           8
        .value_kind:     by_value
      - .address_space:  global
        .offset:         56
        .size:           8
        .value_kind:     global_buffer
      - .offset:         64
        .size:           4
        .value_kind:     by_value
      - .offset:         68
        .size:           1
        .value_kind:     by_value
    .group_segment_fixed_size: 0
    .kernarg_segment_align: 8
    .kernarg_segment_size: 72
    .language:       OpenCL C
    .language_version:
      - 2
      - 0
    .max_flat_workgroup_size: 128
    .name:           _ZN9rocsparseL19gebsrmvn_3xn_kernelILj128ELj5ELj4EdEEvi20rocsparse_direction_NS_24const_host_device_scalarIT2_EEPKiS6_PKS3_S8_S4_PS3_21rocsparse_index_base_b
    .private_segment_fixed_size: 0
    .sgpr_count:     24
    .sgpr_spill_count: 0
    .symbol:         _ZN9rocsparseL19gebsrmvn_3xn_kernelILj128ELj5ELj4EdEEvi20rocsparse_direction_NS_24const_host_device_scalarIT2_EEPKiS6_PKS3_S8_S4_PS3_21rocsparse_index_base_b.kd
    .uniform_work_group_size: 1
    .uses_dynamic_stack: false
    .vgpr_count:     66
    .vgpr_spill_count: 0
    .wavefront_size: 64
  - .agpr_count:     0
    .args:
      - .offset:         0
        .size:           4
        .value_kind:     by_value
      - .offset:         4
        .size:           4
        .value_kind:     by_value
      - .offset:         8
        .size:           8
        .value_kind:     by_value
      - .actual_access:  read_only
        .address_space:  global
        .offset:         16
        .size:           8
        .value_kind:     global_buffer
      - .actual_access:  read_only
        .address_space:  global
        .offset:         24
        .size:           8
        .value_kind:     global_buffer
      - .actual_access:  read_only
        .address_space:  global
        .offset:         32
        .size:           8
        .value_kind:     global_buffer
      - .actual_access:  read_only
        .address_space:  global
        .offset:         40
        .size:           8
        .value_kind:     global_buffer
      - .offset:         48
        .size:           8
        .value_kind:     by_value
      - .address_space:  global
        .offset:         56
        .size:           8
        .value_kind:     global_buffer
      - .offset:         64
        .size:           4
        .value_kind:     by_value
      - .offset:         68
        .size:           1
        .value_kind:     by_value
    .group_segment_fixed_size: 0
    .kernarg_segment_align: 8
    .kernarg_segment_size: 72
    .language:       OpenCL C
    .language_version:
      - 2
      - 0
    .max_flat_workgroup_size: 128
    .name:           _ZN9rocsparseL19gebsrmvn_3xn_kernelILj128ELj5ELj8EdEEvi20rocsparse_direction_NS_24const_host_device_scalarIT2_EEPKiS6_PKS3_S8_S4_PS3_21rocsparse_index_base_b
    .private_segment_fixed_size: 0
    .sgpr_count:     24
    .sgpr_spill_count: 0
    .symbol:         _ZN9rocsparseL19gebsrmvn_3xn_kernelILj128ELj5ELj8EdEEvi20rocsparse_direction_NS_24const_host_device_scalarIT2_EEPKiS6_PKS3_S8_S4_PS3_21rocsparse_index_base_b.kd
    .uniform_work_group_size: 1
    .uses_dynamic_stack: false
    .vgpr_count:     66
    .vgpr_spill_count: 0
    .wavefront_size: 64
  - .agpr_count:     0
    .args:
      - .offset:         0
        .size:           4
        .value_kind:     by_value
      - .offset:         4
        .size:           4
        .value_kind:     by_value
      - .offset:         8
        .size:           8
        .value_kind:     by_value
      - .actual_access:  read_only
        .address_space:  global
        .offset:         16
        .size:           8
        .value_kind:     global_buffer
      - .actual_access:  read_only
        .address_space:  global
        .offset:         24
        .size:           8
        .value_kind:     global_buffer
      - .actual_access:  read_only
        .address_space:  global
        .offset:         32
        .size:           8
        .value_kind:     global_buffer
      - .actual_access:  read_only
        .address_space:  global
        .offset:         40
        .size:           8
        .value_kind:     global_buffer
      - .offset:         48
        .size:           8
        .value_kind:     by_value
      - .address_space:  global
        .offset:         56
        .size:           8
        .value_kind:     global_buffer
      - .offset:         64
        .size:           4
        .value_kind:     by_value
      - .offset:         68
        .size:           1
        .value_kind:     by_value
    .group_segment_fixed_size: 0
    .kernarg_segment_align: 8
    .kernarg_segment_size: 72
    .language:       OpenCL C
    .language_version:
      - 2
      - 0
    .max_flat_workgroup_size: 128
    .name:           _ZN9rocsparseL19gebsrmvn_3xn_kernelILj128ELj5ELj16EdEEvi20rocsparse_direction_NS_24const_host_device_scalarIT2_EEPKiS6_PKS3_S8_S4_PS3_21rocsparse_index_base_b
    .private_segment_fixed_size: 0
    .sgpr_count:     24
    .sgpr_spill_count: 0
    .symbol:         _ZN9rocsparseL19gebsrmvn_3xn_kernelILj128ELj5ELj16EdEEvi20rocsparse_direction_NS_24const_host_device_scalarIT2_EEPKiS6_PKS3_S8_S4_PS3_21rocsparse_index_base_b.kd
    .uniform_work_group_size: 1
    .uses_dynamic_stack: false
    .vgpr_count:     66
    .vgpr_spill_count: 0
    .wavefront_size: 64
  - .agpr_count:     0
    .args:
      - .offset:         0
        .size:           4
        .value_kind:     by_value
      - .offset:         4
        .size:           4
        .value_kind:     by_value
      - .offset:         8
        .size:           8
        .value_kind:     by_value
      - .actual_access:  read_only
        .address_space:  global
        .offset:         16
        .size:           8
        .value_kind:     global_buffer
      - .actual_access:  read_only
        .address_space:  global
        .offset:         24
        .size:           8
        .value_kind:     global_buffer
      - .actual_access:  read_only
        .address_space:  global
        .offset:         32
        .size:           8
        .value_kind:     global_buffer
      - .actual_access:  read_only
        .address_space:  global
        .offset:         40
        .size:           8
        .value_kind:     global_buffer
      - .offset:         48
        .size:           8
        .value_kind:     by_value
      - .address_space:  global
        .offset:         56
        .size:           8
        .value_kind:     global_buffer
      - .offset:         64
        .size:           4
        .value_kind:     by_value
      - .offset:         68
        .size:           1
        .value_kind:     by_value
    .group_segment_fixed_size: 0
    .kernarg_segment_align: 8
    .kernarg_segment_size: 72
    .language:       OpenCL C
    .language_version:
      - 2
      - 0
    .max_flat_workgroup_size: 128
    .name:           _ZN9rocsparseL19gebsrmvn_3xn_kernelILj128ELj5ELj32EdEEvi20rocsparse_direction_NS_24const_host_device_scalarIT2_EEPKiS6_PKS3_S8_S4_PS3_21rocsparse_index_base_b
    .private_segment_fixed_size: 0
    .sgpr_count:     24
    .sgpr_spill_count: 0
    .symbol:         _ZN9rocsparseL19gebsrmvn_3xn_kernelILj128ELj5ELj32EdEEvi20rocsparse_direction_NS_24const_host_device_scalarIT2_EEPKiS6_PKS3_S8_S4_PS3_21rocsparse_index_base_b.kd
    .uniform_work_group_size: 1
    .uses_dynamic_stack: false
    .vgpr_count:     66
    .vgpr_spill_count: 0
    .wavefront_size: 64
  - .agpr_count:     0
    .args:
      - .offset:         0
        .size:           4
        .value_kind:     by_value
      - .offset:         4
        .size:           4
        .value_kind:     by_value
      - .offset:         8
        .size:           8
        .value_kind:     by_value
      - .actual_access:  read_only
        .address_space:  global
        .offset:         16
        .size:           8
        .value_kind:     global_buffer
      - .actual_access:  read_only
        .address_space:  global
        .offset:         24
        .size:           8
        .value_kind:     global_buffer
      - .actual_access:  read_only
        .address_space:  global
        .offset:         32
        .size:           8
        .value_kind:     global_buffer
      - .actual_access:  read_only
        .address_space:  global
        .offset:         40
        .size:           8
        .value_kind:     global_buffer
      - .offset:         48
        .size:           8
        .value_kind:     by_value
      - .address_space:  global
        .offset:         56
        .size:           8
        .value_kind:     global_buffer
      - .offset:         64
        .size:           4
        .value_kind:     by_value
      - .offset:         68
        .size:           1
        .value_kind:     by_value
    .group_segment_fixed_size: 0
    .kernarg_segment_align: 8
    .kernarg_segment_size: 72
    .language:       OpenCL C
    .language_version:
      - 2
      - 0
    .max_flat_workgroup_size: 128
    .name:           _ZN9rocsparseL19gebsrmvn_3xn_kernelILj128ELj5ELj64EdEEvi20rocsparse_direction_NS_24const_host_device_scalarIT2_EEPKiS6_PKS3_S8_S4_PS3_21rocsparse_index_base_b
    .private_segment_fixed_size: 0
    .sgpr_count:     24
    .sgpr_spill_count: 0
    .symbol:         _ZN9rocsparseL19gebsrmvn_3xn_kernelILj128ELj5ELj64EdEEvi20rocsparse_direction_NS_24const_host_device_scalarIT2_EEPKiS6_PKS3_S8_S4_PS3_21rocsparse_index_base_b.kd
    .uniform_work_group_size: 1
    .uses_dynamic_stack: false
    .vgpr_count:     66
    .vgpr_spill_count: 0
    .wavefront_size: 64
  - .agpr_count:     0
    .args:
      - .offset:         0
        .size:           4
        .value_kind:     by_value
      - .offset:         4
        .size:           4
        .value_kind:     by_value
      - .offset:         8
        .size:           8
        .value_kind:     by_value
      - .actual_access:  read_only
        .address_space:  global
        .offset:         16
        .size:           8
        .value_kind:     global_buffer
      - .actual_access:  read_only
        .address_space:  global
        .offset:         24
        .size:           8
        .value_kind:     global_buffer
      - .actual_access:  read_only
        .address_space:  global
        .offset:         32
        .size:           8
        .value_kind:     global_buffer
      - .actual_access:  read_only
        .address_space:  global
        .offset:         40
        .size:           8
        .value_kind:     global_buffer
      - .offset:         48
        .size:           8
        .value_kind:     by_value
      - .address_space:  global
        .offset:         56
        .size:           8
        .value_kind:     global_buffer
      - .offset:         64
        .size:           4
        .value_kind:     by_value
      - .offset:         68
        .size:           1
        .value_kind:     by_value
    .group_segment_fixed_size: 0
    .kernarg_segment_align: 8
    .kernarg_segment_size: 72
    .language:       OpenCL C
    .language_version:
      - 2
      - 0
    .max_flat_workgroup_size: 128
    .name:           _ZN9rocsparseL19gebsrmvn_3xn_kernelILj128ELj6ELj4EdEEvi20rocsparse_direction_NS_24const_host_device_scalarIT2_EEPKiS6_PKS3_S8_S4_PS3_21rocsparse_index_base_b
    .private_segment_fixed_size: 0
    .sgpr_count:     24
    .sgpr_spill_count: 0
    .symbol:         _ZN9rocsparseL19gebsrmvn_3xn_kernelILj128ELj6ELj4EdEEvi20rocsparse_direction_NS_24const_host_device_scalarIT2_EEPKiS6_PKS3_S8_S4_PS3_21rocsparse_index_base_b.kd
    .uniform_work_group_size: 1
    .uses_dynamic_stack: false
    .vgpr_count:     64
    .vgpr_spill_count: 0
    .wavefront_size: 64
  - .agpr_count:     0
    .args:
      - .offset:         0
        .size:           4
        .value_kind:     by_value
      - .offset:         4
        .size:           4
        .value_kind:     by_value
      - .offset:         8
        .size:           8
        .value_kind:     by_value
      - .actual_access:  read_only
        .address_space:  global
        .offset:         16
        .size:           8
        .value_kind:     global_buffer
      - .actual_access:  read_only
        .address_space:  global
        .offset:         24
        .size:           8
        .value_kind:     global_buffer
      - .actual_access:  read_only
        .address_space:  global
        .offset:         32
        .size:           8
        .value_kind:     global_buffer
      - .actual_access:  read_only
        .address_space:  global
        .offset:         40
        .size:           8
        .value_kind:     global_buffer
      - .offset:         48
        .size:           8
        .value_kind:     by_value
      - .address_space:  global
        .offset:         56
        .size:           8
        .value_kind:     global_buffer
      - .offset:         64
        .size:           4
        .value_kind:     by_value
      - .offset:         68
        .size:           1
        .value_kind:     by_value
    .group_segment_fixed_size: 0
    .kernarg_segment_align: 8
    .kernarg_segment_size: 72
    .language:       OpenCL C
    .language_version:
      - 2
      - 0
    .max_flat_workgroup_size: 128
    .name:           _ZN9rocsparseL19gebsrmvn_3xn_kernelILj128ELj6ELj8EdEEvi20rocsparse_direction_NS_24const_host_device_scalarIT2_EEPKiS6_PKS3_S8_S4_PS3_21rocsparse_index_base_b
    .private_segment_fixed_size: 0
    .sgpr_count:     24
    .sgpr_spill_count: 0
    .symbol:         _ZN9rocsparseL19gebsrmvn_3xn_kernelILj128ELj6ELj8EdEEvi20rocsparse_direction_NS_24const_host_device_scalarIT2_EEPKiS6_PKS3_S8_S4_PS3_21rocsparse_index_base_b.kd
    .uniform_work_group_size: 1
    .uses_dynamic_stack: false
    .vgpr_count:     64
    .vgpr_spill_count: 0
    .wavefront_size: 64
  - .agpr_count:     0
    .args:
      - .offset:         0
        .size:           4
        .value_kind:     by_value
      - .offset:         4
        .size:           4
        .value_kind:     by_value
      - .offset:         8
        .size:           8
        .value_kind:     by_value
      - .actual_access:  read_only
        .address_space:  global
        .offset:         16
        .size:           8
        .value_kind:     global_buffer
      - .actual_access:  read_only
        .address_space:  global
        .offset:         24
        .size:           8
        .value_kind:     global_buffer
      - .actual_access:  read_only
        .address_space:  global
        .offset:         32
        .size:           8
        .value_kind:     global_buffer
      - .actual_access:  read_only
        .address_space:  global
        .offset:         40
        .size:           8
        .value_kind:     global_buffer
      - .offset:         48
        .size:           8
        .value_kind:     by_value
      - .address_space:  global
        .offset:         56
        .size:           8
        .value_kind:     global_buffer
      - .offset:         64
        .size:           4
        .value_kind:     by_value
      - .offset:         68
        .size:           1
        .value_kind:     by_value
    .group_segment_fixed_size: 0
    .kernarg_segment_align: 8
    .kernarg_segment_size: 72
    .language:       OpenCL C
    .language_version:
      - 2
      - 0
    .max_flat_workgroup_size: 128
    .name:           _ZN9rocsparseL19gebsrmvn_3xn_kernelILj128ELj6ELj16EdEEvi20rocsparse_direction_NS_24const_host_device_scalarIT2_EEPKiS6_PKS3_S8_S4_PS3_21rocsparse_index_base_b
    .private_segment_fixed_size: 0
    .sgpr_count:     24
    .sgpr_spill_count: 0
    .symbol:         _ZN9rocsparseL19gebsrmvn_3xn_kernelILj128ELj6ELj16EdEEvi20rocsparse_direction_NS_24const_host_device_scalarIT2_EEPKiS6_PKS3_S8_S4_PS3_21rocsparse_index_base_b.kd
    .uniform_work_group_size: 1
    .uses_dynamic_stack: false
    .vgpr_count:     64
    .vgpr_spill_count: 0
    .wavefront_size: 64
  - .agpr_count:     0
    .args:
      - .offset:         0
        .size:           4
        .value_kind:     by_value
      - .offset:         4
        .size:           4
        .value_kind:     by_value
      - .offset:         8
        .size:           8
        .value_kind:     by_value
      - .actual_access:  read_only
        .address_space:  global
        .offset:         16
        .size:           8
        .value_kind:     global_buffer
      - .actual_access:  read_only
        .address_space:  global
        .offset:         24
        .size:           8
        .value_kind:     global_buffer
      - .actual_access:  read_only
        .address_space:  global
        .offset:         32
        .size:           8
        .value_kind:     global_buffer
      - .actual_access:  read_only
        .address_space:  global
        .offset:         40
        .size:           8
        .value_kind:     global_buffer
      - .offset:         48
        .size:           8
        .value_kind:     by_value
      - .address_space:  global
        .offset:         56
        .size:           8
        .value_kind:     global_buffer
      - .offset:         64
        .size:           4
        .value_kind:     by_value
      - .offset:         68
        .size:           1
        .value_kind:     by_value
    .group_segment_fixed_size: 0
    .kernarg_segment_align: 8
    .kernarg_segment_size: 72
    .language:       OpenCL C
    .language_version:
      - 2
      - 0
    .max_flat_workgroup_size: 128
    .name:           _ZN9rocsparseL19gebsrmvn_3xn_kernelILj128ELj6ELj32EdEEvi20rocsparse_direction_NS_24const_host_device_scalarIT2_EEPKiS6_PKS3_S8_S4_PS3_21rocsparse_index_base_b
    .private_segment_fixed_size: 0
    .sgpr_count:     24
    .sgpr_spill_count: 0
    .symbol:         _ZN9rocsparseL19gebsrmvn_3xn_kernelILj128ELj6ELj32EdEEvi20rocsparse_direction_NS_24const_host_device_scalarIT2_EEPKiS6_PKS3_S8_S4_PS3_21rocsparse_index_base_b.kd
    .uniform_work_group_size: 1
    .uses_dynamic_stack: false
    .vgpr_count:     64
    .vgpr_spill_count: 0
    .wavefront_size: 64
  - .agpr_count:     0
    .args:
      - .offset:         0
        .size:           4
        .value_kind:     by_value
      - .offset:         4
        .size:           4
        .value_kind:     by_value
      - .offset:         8
        .size:           8
        .value_kind:     by_value
      - .actual_access:  read_only
        .address_space:  global
        .offset:         16
        .size:           8
        .value_kind:     global_buffer
      - .actual_access:  read_only
        .address_space:  global
        .offset:         24
        .size:           8
        .value_kind:     global_buffer
      - .actual_access:  read_only
        .address_space:  global
        .offset:         32
        .size:           8
        .value_kind:     global_buffer
      - .actual_access:  read_only
        .address_space:  global
        .offset:         40
        .size:           8
        .value_kind:     global_buffer
      - .offset:         48
        .size:           8
        .value_kind:     by_value
      - .address_space:  global
        .offset:         56
        .size:           8
        .value_kind:     global_buffer
      - .offset:         64
        .size:           4
        .value_kind:     by_value
      - .offset:         68
        .size:           1
        .value_kind:     by_value
    .group_segment_fixed_size: 0
    .kernarg_segment_align: 8
    .kernarg_segment_size: 72
    .language:       OpenCL C
    .language_version:
      - 2
      - 0
    .max_flat_workgroup_size: 128
    .name:           _ZN9rocsparseL19gebsrmvn_3xn_kernelILj128ELj6ELj64EdEEvi20rocsparse_direction_NS_24const_host_device_scalarIT2_EEPKiS6_PKS3_S8_S4_PS3_21rocsparse_index_base_b
    .private_segment_fixed_size: 0
    .sgpr_count:     24
    .sgpr_spill_count: 0
    .symbol:         _ZN9rocsparseL19gebsrmvn_3xn_kernelILj128ELj6ELj64EdEEvi20rocsparse_direction_NS_24const_host_device_scalarIT2_EEPKiS6_PKS3_S8_S4_PS3_21rocsparse_index_base_b.kd
    .uniform_work_group_size: 1
    .uses_dynamic_stack: false
    .vgpr_count:     64
    .vgpr_spill_count: 0
    .wavefront_size: 64
  - .agpr_count:     0
    .args:
      - .offset:         0
        .size:           4
        .value_kind:     by_value
      - .offset:         4
        .size:           4
        .value_kind:     by_value
      - .offset:         8
        .size:           8
        .value_kind:     by_value
      - .actual_access:  read_only
        .address_space:  global
        .offset:         16
        .size:           8
        .value_kind:     global_buffer
      - .actual_access:  read_only
        .address_space:  global
        .offset:         24
        .size:           8
        .value_kind:     global_buffer
      - .actual_access:  read_only
        .address_space:  global
        .offset:         32
        .size:           8
        .value_kind:     global_buffer
      - .actual_access:  read_only
        .address_space:  global
        .offset:         40
        .size:           8
        .value_kind:     global_buffer
      - .offset:         48
        .size:           8
        .value_kind:     by_value
      - .address_space:  global
        .offset:         56
        .size:           8
        .value_kind:     global_buffer
      - .offset:         64
        .size:           4
        .value_kind:     by_value
      - .offset:         68
        .size:           1
        .value_kind:     by_value
    .group_segment_fixed_size: 0
    .kernarg_segment_align: 8
    .kernarg_segment_size: 72
    .language:       OpenCL C
    .language_version:
      - 2
      - 0
    .max_flat_workgroup_size: 128
    .name:           _ZN9rocsparseL19gebsrmvn_3xn_kernelILj128ELj7ELj4EdEEvi20rocsparse_direction_NS_24const_host_device_scalarIT2_EEPKiS6_PKS3_S8_S4_PS3_21rocsparse_index_base_b
    .private_segment_fixed_size: 0
    .sgpr_count:     24
    .sgpr_spill_count: 0
    .symbol:         _ZN9rocsparseL19gebsrmvn_3xn_kernelILj128ELj7ELj4EdEEvi20rocsparse_direction_NS_24const_host_device_scalarIT2_EEPKiS6_PKS3_S8_S4_PS3_21rocsparse_index_base_b.kd
    .uniform_work_group_size: 1
    .uses_dynamic_stack: false
    .vgpr_count:     82
    .vgpr_spill_count: 0
    .wavefront_size: 64
  - .agpr_count:     0
    .args:
      - .offset:         0
        .size:           4
        .value_kind:     by_value
      - .offset:         4
        .size:           4
        .value_kind:     by_value
      - .offset:         8
        .size:           8
        .value_kind:     by_value
      - .actual_access:  read_only
        .address_space:  global
        .offset:         16
        .size:           8
        .value_kind:     global_buffer
      - .actual_access:  read_only
        .address_space:  global
        .offset:         24
        .size:           8
        .value_kind:     global_buffer
      - .actual_access:  read_only
        .address_space:  global
        .offset:         32
        .size:           8
        .value_kind:     global_buffer
      - .actual_access:  read_only
        .address_space:  global
        .offset:         40
        .size:           8
        .value_kind:     global_buffer
      - .offset:         48
        .size:           8
        .value_kind:     by_value
      - .address_space:  global
        .offset:         56
        .size:           8
        .value_kind:     global_buffer
      - .offset:         64
        .size:           4
        .value_kind:     by_value
      - .offset:         68
        .size:           1
        .value_kind:     by_value
    .group_segment_fixed_size: 0
    .kernarg_segment_align: 8
    .kernarg_segment_size: 72
    .language:       OpenCL C
    .language_version:
      - 2
      - 0
    .max_flat_workgroup_size: 128
    .name:           _ZN9rocsparseL19gebsrmvn_3xn_kernelILj128ELj7ELj8EdEEvi20rocsparse_direction_NS_24const_host_device_scalarIT2_EEPKiS6_PKS3_S8_S4_PS3_21rocsparse_index_base_b
    .private_segment_fixed_size: 0
    .sgpr_count:     24
    .sgpr_spill_count: 0
    .symbol:         _ZN9rocsparseL19gebsrmvn_3xn_kernelILj128ELj7ELj8EdEEvi20rocsparse_direction_NS_24const_host_device_scalarIT2_EEPKiS6_PKS3_S8_S4_PS3_21rocsparse_index_base_b.kd
    .uniform_work_group_size: 1
    .uses_dynamic_stack: false
    .vgpr_count:     82
    .vgpr_spill_count: 0
    .wavefront_size: 64
  - .agpr_count:     0
    .args:
      - .offset:         0
        .size:           4
        .value_kind:     by_value
      - .offset:         4
        .size:           4
        .value_kind:     by_value
      - .offset:         8
        .size:           8
        .value_kind:     by_value
      - .actual_access:  read_only
        .address_space:  global
        .offset:         16
        .size:           8
        .value_kind:     global_buffer
      - .actual_access:  read_only
        .address_space:  global
        .offset:         24
        .size:           8
        .value_kind:     global_buffer
      - .actual_access:  read_only
        .address_space:  global
        .offset:         32
        .size:           8
        .value_kind:     global_buffer
      - .actual_access:  read_only
        .address_space:  global
        .offset:         40
        .size:           8
        .value_kind:     global_buffer
      - .offset:         48
        .size:           8
        .value_kind:     by_value
      - .address_space:  global
        .offset:         56
        .size:           8
        .value_kind:     global_buffer
      - .offset:         64
        .size:           4
        .value_kind:     by_value
      - .offset:         68
        .size:           1
        .value_kind:     by_value
    .group_segment_fixed_size: 0
    .kernarg_segment_align: 8
    .kernarg_segment_size: 72
    .language:       OpenCL C
    .language_version:
      - 2
      - 0
    .max_flat_workgroup_size: 128
    .name:           _ZN9rocsparseL19gebsrmvn_3xn_kernelILj128ELj7ELj16EdEEvi20rocsparse_direction_NS_24const_host_device_scalarIT2_EEPKiS6_PKS3_S8_S4_PS3_21rocsparse_index_base_b
    .private_segment_fixed_size: 0
    .sgpr_count:     24
    .sgpr_spill_count: 0
    .symbol:         _ZN9rocsparseL19gebsrmvn_3xn_kernelILj128ELj7ELj16EdEEvi20rocsparse_direction_NS_24const_host_device_scalarIT2_EEPKiS6_PKS3_S8_S4_PS3_21rocsparse_index_base_b.kd
    .uniform_work_group_size: 1
    .uses_dynamic_stack: false
    .vgpr_count:     82
    .vgpr_spill_count: 0
    .wavefront_size: 64
  - .agpr_count:     0
    .args:
      - .offset:         0
        .size:           4
        .value_kind:     by_value
      - .offset:         4
        .size:           4
        .value_kind:     by_value
      - .offset:         8
        .size:           8
        .value_kind:     by_value
      - .actual_access:  read_only
        .address_space:  global
        .offset:         16
        .size:           8
        .value_kind:     global_buffer
      - .actual_access:  read_only
        .address_space:  global
        .offset:         24
        .size:           8
        .value_kind:     global_buffer
      - .actual_access:  read_only
        .address_space:  global
        .offset:         32
        .size:           8
        .value_kind:     global_buffer
      - .actual_access:  read_only
        .address_space:  global
        .offset:         40
        .size:           8
        .value_kind:     global_buffer
      - .offset:         48
        .size:           8
        .value_kind:     by_value
      - .address_space:  global
        .offset:         56
        .size:           8
        .value_kind:     global_buffer
      - .offset:         64
        .size:           4
        .value_kind:     by_value
      - .offset:         68
        .size:           1
        .value_kind:     by_value
    .group_segment_fixed_size: 0
    .kernarg_segment_align: 8
    .kernarg_segment_size: 72
    .language:       OpenCL C
    .language_version:
      - 2
      - 0
    .max_flat_workgroup_size: 128
    .name:           _ZN9rocsparseL19gebsrmvn_3xn_kernelILj128ELj7ELj32EdEEvi20rocsparse_direction_NS_24const_host_device_scalarIT2_EEPKiS6_PKS3_S8_S4_PS3_21rocsparse_index_base_b
    .private_segment_fixed_size: 0
    .sgpr_count:     24
    .sgpr_spill_count: 0
    .symbol:         _ZN9rocsparseL19gebsrmvn_3xn_kernelILj128ELj7ELj32EdEEvi20rocsparse_direction_NS_24const_host_device_scalarIT2_EEPKiS6_PKS3_S8_S4_PS3_21rocsparse_index_base_b.kd
    .uniform_work_group_size: 1
    .uses_dynamic_stack: false
    .vgpr_count:     82
    .vgpr_spill_count: 0
    .wavefront_size: 64
  - .agpr_count:     0
    .args:
      - .offset:         0
        .size:           4
        .value_kind:     by_value
      - .offset:         4
        .size:           4
        .value_kind:     by_value
      - .offset:         8
        .size:           8
        .value_kind:     by_value
      - .actual_access:  read_only
        .address_space:  global
        .offset:         16
        .size:           8
        .value_kind:     global_buffer
      - .actual_access:  read_only
        .address_space:  global
        .offset:         24
        .size:           8
        .value_kind:     global_buffer
      - .actual_access:  read_only
        .address_space:  global
        .offset:         32
        .size:           8
        .value_kind:     global_buffer
      - .actual_access:  read_only
        .address_space:  global
        .offset:         40
        .size:           8
        .value_kind:     global_buffer
      - .offset:         48
        .size:           8
        .value_kind:     by_value
      - .address_space:  global
        .offset:         56
        .size:           8
        .value_kind:     global_buffer
      - .offset:         64
        .size:           4
        .value_kind:     by_value
      - .offset:         68
        .size:           1
        .value_kind:     by_value
    .group_segment_fixed_size: 0
    .kernarg_segment_align: 8
    .kernarg_segment_size: 72
    .language:       OpenCL C
    .language_version:
      - 2
      - 0
    .max_flat_workgroup_size: 128
    .name:           _ZN9rocsparseL19gebsrmvn_3xn_kernelILj128ELj7ELj64EdEEvi20rocsparse_direction_NS_24const_host_device_scalarIT2_EEPKiS6_PKS3_S8_S4_PS3_21rocsparse_index_base_b
    .private_segment_fixed_size: 0
    .sgpr_count:     24
    .sgpr_spill_count: 0
    .symbol:         _ZN9rocsparseL19gebsrmvn_3xn_kernelILj128ELj7ELj64EdEEvi20rocsparse_direction_NS_24const_host_device_scalarIT2_EEPKiS6_PKS3_S8_S4_PS3_21rocsparse_index_base_b.kd
    .uniform_work_group_size: 1
    .uses_dynamic_stack: false
    .vgpr_count:     82
    .vgpr_spill_count: 0
    .wavefront_size: 64
  - .agpr_count:     0
    .args:
      - .offset:         0
        .size:           4
        .value_kind:     by_value
      - .offset:         4
        .size:           4
        .value_kind:     by_value
      - .offset:         8
        .size:           8
        .value_kind:     by_value
      - .actual_access:  read_only
        .address_space:  global
        .offset:         16
        .size:           8
        .value_kind:     global_buffer
      - .actual_access:  read_only
        .address_space:  global
        .offset:         24
        .size:           8
        .value_kind:     global_buffer
      - .actual_access:  read_only
        .address_space:  global
        .offset:         32
        .size:           8
        .value_kind:     global_buffer
      - .actual_access:  read_only
        .address_space:  global
        .offset:         40
        .size:           8
        .value_kind:     global_buffer
      - .offset:         48
        .size:           8
        .value_kind:     by_value
      - .address_space:  global
        .offset:         56
        .size:           8
        .value_kind:     global_buffer
      - .offset:         64
        .size:           4
        .value_kind:     by_value
      - .offset:         68
        .size:           1
        .value_kind:     by_value
    .group_segment_fixed_size: 0
    .kernarg_segment_align: 8
    .kernarg_segment_size: 72
    .language:       OpenCL C
    .language_version:
      - 2
      - 0
    .max_flat_workgroup_size: 128
    .name:           _ZN9rocsparseL19gebsrmvn_3xn_kernelILj128ELj8ELj4EdEEvi20rocsparse_direction_NS_24const_host_device_scalarIT2_EEPKiS6_PKS3_S8_S4_PS3_21rocsparse_index_base_b
    .private_segment_fixed_size: 0
    .sgpr_count:     24
    .sgpr_spill_count: 0
    .symbol:         _ZN9rocsparseL19gebsrmvn_3xn_kernelILj128ELj8ELj4EdEEvi20rocsparse_direction_NS_24const_host_device_scalarIT2_EEPKiS6_PKS3_S8_S4_PS3_21rocsparse_index_base_b.kd
    .uniform_work_group_size: 1
    .uses_dynamic_stack: false
    .vgpr_count:     68
    .vgpr_spill_count: 0
    .wavefront_size: 64
  - .agpr_count:     0
    .args:
      - .offset:         0
        .size:           4
        .value_kind:     by_value
      - .offset:         4
        .size:           4
        .value_kind:     by_value
      - .offset:         8
        .size:           8
        .value_kind:     by_value
      - .actual_access:  read_only
        .address_space:  global
        .offset:         16
        .size:           8
        .value_kind:     global_buffer
      - .actual_access:  read_only
        .address_space:  global
        .offset:         24
        .size:           8
        .value_kind:     global_buffer
      - .actual_access:  read_only
        .address_space:  global
        .offset:         32
        .size:           8
        .value_kind:     global_buffer
      - .actual_access:  read_only
        .address_space:  global
        .offset:         40
        .size:           8
        .value_kind:     global_buffer
      - .offset:         48
        .size:           8
        .value_kind:     by_value
      - .address_space:  global
        .offset:         56
        .size:           8
        .value_kind:     global_buffer
      - .offset:         64
        .size:           4
        .value_kind:     by_value
      - .offset:         68
        .size:           1
        .value_kind:     by_value
    .group_segment_fixed_size: 0
    .kernarg_segment_align: 8
    .kernarg_segment_size: 72
    .language:       OpenCL C
    .language_version:
      - 2
      - 0
    .max_flat_workgroup_size: 128
    .name:           _ZN9rocsparseL19gebsrmvn_3xn_kernelILj128ELj8ELj8EdEEvi20rocsparse_direction_NS_24const_host_device_scalarIT2_EEPKiS6_PKS3_S8_S4_PS3_21rocsparse_index_base_b
    .private_segment_fixed_size: 0
    .sgpr_count:     24
    .sgpr_spill_count: 0
    .symbol:         _ZN9rocsparseL19gebsrmvn_3xn_kernelILj128ELj8ELj8EdEEvi20rocsparse_direction_NS_24const_host_device_scalarIT2_EEPKiS6_PKS3_S8_S4_PS3_21rocsparse_index_base_b.kd
    .uniform_work_group_size: 1
    .uses_dynamic_stack: false
    .vgpr_count:     68
    .vgpr_spill_count: 0
    .wavefront_size: 64
  - .agpr_count:     0
    .args:
      - .offset:         0
        .size:           4
        .value_kind:     by_value
      - .offset:         4
        .size:           4
        .value_kind:     by_value
      - .offset:         8
        .size:           8
        .value_kind:     by_value
      - .actual_access:  read_only
        .address_space:  global
        .offset:         16
        .size:           8
        .value_kind:     global_buffer
      - .actual_access:  read_only
        .address_space:  global
        .offset:         24
        .size:           8
        .value_kind:     global_buffer
      - .actual_access:  read_only
        .address_space:  global
        .offset:         32
        .size:           8
        .value_kind:     global_buffer
      - .actual_access:  read_only
        .address_space:  global
        .offset:         40
        .size:           8
        .value_kind:     global_buffer
      - .offset:         48
        .size:           8
        .value_kind:     by_value
      - .address_space:  global
        .offset:         56
        .size:           8
        .value_kind:     global_buffer
      - .offset:         64
        .size:           4
        .value_kind:     by_value
      - .offset:         68
        .size:           1
        .value_kind:     by_value
    .group_segment_fixed_size: 0
    .kernarg_segment_align: 8
    .kernarg_segment_size: 72
    .language:       OpenCL C
    .language_version:
      - 2
      - 0
    .max_flat_workgroup_size: 128
    .name:           _ZN9rocsparseL19gebsrmvn_3xn_kernelILj128ELj8ELj16EdEEvi20rocsparse_direction_NS_24const_host_device_scalarIT2_EEPKiS6_PKS3_S8_S4_PS3_21rocsparse_index_base_b
    .private_segment_fixed_size: 0
    .sgpr_count:     24
    .sgpr_spill_count: 0
    .symbol:         _ZN9rocsparseL19gebsrmvn_3xn_kernelILj128ELj8ELj16EdEEvi20rocsparse_direction_NS_24const_host_device_scalarIT2_EEPKiS6_PKS3_S8_S4_PS3_21rocsparse_index_base_b.kd
    .uniform_work_group_size: 1
    .uses_dynamic_stack: false
    .vgpr_count:     68
    .vgpr_spill_count: 0
    .wavefront_size: 64
  - .agpr_count:     0
    .args:
      - .offset:         0
        .size:           4
        .value_kind:     by_value
      - .offset:         4
        .size:           4
        .value_kind:     by_value
      - .offset:         8
        .size:           8
        .value_kind:     by_value
      - .actual_access:  read_only
        .address_space:  global
        .offset:         16
        .size:           8
        .value_kind:     global_buffer
      - .actual_access:  read_only
        .address_space:  global
        .offset:         24
        .size:           8
        .value_kind:     global_buffer
      - .actual_access:  read_only
        .address_space:  global
        .offset:         32
        .size:           8
        .value_kind:     global_buffer
      - .actual_access:  read_only
        .address_space:  global
        .offset:         40
        .size:           8
        .value_kind:     global_buffer
      - .offset:         48
        .size:           8
        .value_kind:     by_value
      - .address_space:  global
        .offset:         56
        .size:           8
        .value_kind:     global_buffer
      - .offset:         64
        .size:           4
        .value_kind:     by_value
      - .offset:         68
        .size:           1
        .value_kind:     by_value
    .group_segment_fixed_size: 0
    .kernarg_segment_align: 8
    .kernarg_segment_size: 72
    .language:       OpenCL C
    .language_version:
      - 2
      - 0
    .max_flat_workgroup_size: 128
    .name:           _ZN9rocsparseL19gebsrmvn_3xn_kernelILj128ELj8ELj32EdEEvi20rocsparse_direction_NS_24const_host_device_scalarIT2_EEPKiS6_PKS3_S8_S4_PS3_21rocsparse_index_base_b
    .private_segment_fixed_size: 0
    .sgpr_count:     24
    .sgpr_spill_count: 0
    .symbol:         _ZN9rocsparseL19gebsrmvn_3xn_kernelILj128ELj8ELj32EdEEvi20rocsparse_direction_NS_24const_host_device_scalarIT2_EEPKiS6_PKS3_S8_S4_PS3_21rocsparse_index_base_b.kd
    .uniform_work_group_size: 1
    .uses_dynamic_stack: false
    .vgpr_count:     68
    .vgpr_spill_count: 0
    .wavefront_size: 64
  - .agpr_count:     0
    .args:
      - .offset:         0
        .size:           4
        .value_kind:     by_value
      - .offset:         4
        .size:           4
        .value_kind:     by_value
      - .offset:         8
        .size:           8
        .value_kind:     by_value
      - .actual_access:  read_only
        .address_space:  global
        .offset:         16
        .size:           8
        .value_kind:     global_buffer
      - .actual_access:  read_only
        .address_space:  global
        .offset:         24
        .size:           8
        .value_kind:     global_buffer
      - .actual_access:  read_only
        .address_space:  global
        .offset:         32
        .size:           8
        .value_kind:     global_buffer
      - .actual_access:  read_only
        .address_space:  global
        .offset:         40
        .size:           8
        .value_kind:     global_buffer
      - .offset:         48
        .size:           8
        .value_kind:     by_value
      - .address_space:  global
        .offset:         56
        .size:           8
        .value_kind:     global_buffer
      - .offset:         64
        .size:           4
        .value_kind:     by_value
      - .offset:         68
        .size:           1
        .value_kind:     by_value
    .group_segment_fixed_size: 0
    .kernarg_segment_align: 8
    .kernarg_segment_size: 72
    .language:       OpenCL C
    .language_version:
      - 2
      - 0
    .max_flat_workgroup_size: 128
    .name:           _ZN9rocsparseL19gebsrmvn_3xn_kernelILj128ELj8ELj64EdEEvi20rocsparse_direction_NS_24const_host_device_scalarIT2_EEPKiS6_PKS3_S8_S4_PS3_21rocsparse_index_base_b
    .private_segment_fixed_size: 0
    .sgpr_count:     24
    .sgpr_spill_count: 0
    .symbol:         _ZN9rocsparseL19gebsrmvn_3xn_kernelILj128ELj8ELj64EdEEvi20rocsparse_direction_NS_24const_host_device_scalarIT2_EEPKiS6_PKS3_S8_S4_PS3_21rocsparse_index_base_b.kd
    .uniform_work_group_size: 1
    .uses_dynamic_stack: false
    .vgpr_count:     68
    .vgpr_spill_count: 0
    .wavefront_size: 64
  - .agpr_count:     0
    .args:
      - .offset:         0
        .size:           4
        .value_kind:     by_value
      - .offset:         4
        .size:           4
        .value_kind:     by_value
      - .offset:         8
        .size:           8
        .value_kind:     by_value
      - .actual_access:  read_only
        .address_space:  global
        .offset:         16
        .size:           8
        .value_kind:     global_buffer
      - .actual_access:  read_only
        .address_space:  global
        .offset:         24
        .size:           8
        .value_kind:     global_buffer
      - .actual_access:  read_only
        .address_space:  global
        .offset:         32
        .size:           8
        .value_kind:     global_buffer
      - .offset:         40
        .size:           4
        .value_kind:     by_value
      - .offset:         44
        .size:           4
        .value_kind:     by_value
      - .actual_access:  read_only
        .address_space:  global
        .offset:         48
        .size:           8
        .value_kind:     global_buffer
      - .offset:         56
        .size:           8
        .value_kind:     by_value
      - .address_space:  global
        .offset:         64
        .size:           8
        .value_kind:     global_buffer
      - .offset:         72
        .size:           4
        .value_kind:     by_value
      - .offset:         76
        .size:           1
        .value_kind:     by_value
    .group_segment_fixed_size: 0
    .kernarg_segment_align: 8
    .kernarg_segment_size: 80
    .language:       OpenCL C
    .language_version:
      - 2
      - 0
    .max_flat_workgroup_size: 48
    .name:           _ZN9rocsparseL23gebsrmvn_general_kernelILj48ELj16EdEEvi20rocsparse_direction_NS_24const_host_device_scalarIT1_EEPKiS6_PKS3_iiS8_S4_PS3_21rocsparse_index_base_b
    .private_segment_fixed_size: 0
    .sgpr_count:     44
    .sgpr_spill_count: 0
    .symbol:         _ZN9rocsparseL23gebsrmvn_general_kernelILj48ELj16EdEEvi20rocsparse_direction_NS_24const_host_device_scalarIT1_EEPKiS6_PKS3_iiS8_S4_PS3_21rocsparse_index_base_b.kd
    .uniform_work_group_size: 1
    .uses_dynamic_stack: false
    .vgpr_count:     16
    .vgpr_spill_count: 0
    .wavefront_size: 64
  - .agpr_count:     0
    .args:
      - .offset:         0
        .size:           4
        .value_kind:     by_value
      - .offset:         4
        .size:           4
        .value_kind:     by_value
      - .offset:         8
        .size:           8
        .value_kind:     by_value
      - .actual_access:  read_only
        .address_space:  global
        .offset:         16
        .size:           8
        .value_kind:     global_buffer
      - .actual_access:  read_only
        .address_space:  global
        .offset:         24
        .size:           8
        .value_kind:     global_buffer
      - .actual_access:  read_only
        .address_space:  global
        .offset:         32
        .size:           8
        .value_kind:     global_buffer
      - .offset:         40
        .size:           4
        .value_kind:     by_value
      - .offset:         44
        .size:           4
        .value_kind:     by_value
      - .actual_access:  read_only
        .address_space:  global
        .offset:         48
        .size:           8
        .value_kind:     global_buffer
      - .offset:         56
        .size:           8
        .value_kind:     by_value
      - .address_space:  global
        .offset:         64
        .size:           8
        .value_kind:     global_buffer
      - .offset:         72
        .size:           4
        .value_kind:     by_value
      - .offset:         76
        .size:           1
        .value_kind:     by_value
    .group_segment_fixed_size: 0
    .kernarg_segment_align: 8
    .kernarg_segment_size: 80
    .language:       OpenCL C
    .language_version:
      - 2
      - 0
    .max_flat_workgroup_size: 96
    .name:           _ZN9rocsparseL23gebsrmvn_general_kernelILj96ELj32EdEEvi20rocsparse_direction_NS_24const_host_device_scalarIT1_EEPKiS6_PKS3_iiS8_S4_PS3_21rocsparse_index_base_b
    .private_segment_fixed_size: 0
    .sgpr_count:     44
    .sgpr_spill_count: 0
    .symbol:         _ZN9rocsparseL23gebsrmvn_general_kernelILj96ELj32EdEEvi20rocsparse_direction_NS_24const_host_device_scalarIT1_EEPKiS6_PKS3_iiS8_S4_PS3_21rocsparse_index_base_b.kd
    .uniform_work_group_size: 1
    .uses_dynamic_stack: false
    .vgpr_count:     16
    .vgpr_spill_count: 0
    .wavefront_size: 64
  - .agpr_count:     0
    .args:
      - .offset:         0
        .size:           4
        .value_kind:     by_value
      - .offset:         4
        .size:           4
        .value_kind:     by_value
      - .offset:         8
        .size:           8
        .value_kind:     by_value
      - .actual_access:  read_only
        .address_space:  global
        .offset:         16
        .size:           8
        .value_kind:     global_buffer
      - .actual_access:  read_only
        .address_space:  global
        .offset:         24
        .size:           8
        .value_kind:     global_buffer
      - .actual_access:  read_only
        .address_space:  global
        .offset:         32
        .size:           8
        .value_kind:     global_buffer
      - .actual_access:  read_only
        .address_space:  global
        .offset:         40
        .size:           8
        .value_kind:     global_buffer
      - .offset:         48
        .size:           8
        .value_kind:     by_value
      - .address_space:  global
        .offset:         56
        .size:           8
        .value_kind:     global_buffer
      - .offset:         64
        .size:           4
        .value_kind:     by_value
      - .offset:         68
        .size:           1
        .value_kind:     by_value
    .group_segment_fixed_size: 0
    .kernarg_segment_align: 8
    .kernarg_segment_size: 72
    .language:       OpenCL C
    .language_version:
      - 2
      - 0
    .max_flat_workgroup_size: 128
    .name:           _ZN9rocsparseL19gebsrmvn_3xn_kernelILj128ELj1ELj4E21rocsparse_complex_numIfEEEvi20rocsparse_direction_NS_24const_host_device_scalarIT2_EEPKiS8_PKS5_SA_S6_PS5_21rocsparse_index_base_b
    .private_segment_fixed_size: 0
    .sgpr_count:     22
    .sgpr_spill_count: 0
    .symbol:         _ZN9rocsparseL19gebsrmvn_3xn_kernelILj128ELj1ELj4E21rocsparse_complex_numIfEEEvi20rocsparse_direction_NS_24const_host_device_scalarIT2_EEPKiS8_PKS5_SA_S6_PS5_21rocsparse_index_base_b.kd
    .uniform_work_group_size: 1
    .uses_dynamic_stack: false
    .vgpr_count:     32
    .vgpr_spill_count: 0
    .wavefront_size: 64
  - .agpr_count:     0
    .args:
      - .offset:         0
        .size:           4
        .value_kind:     by_value
      - .offset:         4
        .size:           4
        .value_kind:     by_value
      - .offset:         8
        .size:           8
        .value_kind:     by_value
      - .actual_access:  read_only
        .address_space:  global
        .offset:         16
        .size:           8
        .value_kind:     global_buffer
      - .actual_access:  read_only
        .address_space:  global
        .offset:         24
        .size:           8
        .value_kind:     global_buffer
      - .actual_access:  read_only
        .address_space:  global
        .offset:         32
        .size:           8
        .value_kind:     global_buffer
      - .actual_access:  read_only
        .address_space:  global
        .offset:         40
        .size:           8
        .value_kind:     global_buffer
      - .offset:         48
        .size:           8
        .value_kind:     by_value
      - .address_space:  global
        .offset:         56
        .size:           8
        .value_kind:     global_buffer
      - .offset:         64
        .size:           4
        .value_kind:     by_value
      - .offset:         68
        .size:           1
        .value_kind:     by_value
    .group_segment_fixed_size: 0
    .kernarg_segment_align: 8
    .kernarg_segment_size: 72
    .language:       OpenCL C
    .language_version:
      - 2
      - 0
    .max_flat_workgroup_size: 128
    .name:           _ZN9rocsparseL19gebsrmvn_3xn_kernelILj128ELj1ELj8E21rocsparse_complex_numIfEEEvi20rocsparse_direction_NS_24const_host_device_scalarIT2_EEPKiS8_PKS5_SA_S6_PS5_21rocsparse_index_base_b
    .private_segment_fixed_size: 0
    .sgpr_count:     22
    .sgpr_spill_count: 0
    .symbol:         _ZN9rocsparseL19gebsrmvn_3xn_kernelILj128ELj1ELj8E21rocsparse_complex_numIfEEEvi20rocsparse_direction_NS_24const_host_device_scalarIT2_EEPKiS8_PKS5_SA_S6_PS5_21rocsparse_index_base_b.kd
    .uniform_work_group_size: 1
    .uses_dynamic_stack: false
    .vgpr_count:     32
    .vgpr_spill_count: 0
    .wavefront_size: 64
  - .agpr_count:     0
    .args:
      - .offset:         0
        .size:           4
        .value_kind:     by_value
      - .offset:         4
        .size:           4
        .value_kind:     by_value
      - .offset:         8
        .size:           8
        .value_kind:     by_value
      - .actual_access:  read_only
        .address_space:  global
        .offset:         16
        .size:           8
        .value_kind:     global_buffer
      - .actual_access:  read_only
        .address_space:  global
        .offset:         24
        .size:           8
        .value_kind:     global_buffer
      - .actual_access:  read_only
        .address_space:  global
        .offset:         32
        .size:           8
        .value_kind:     global_buffer
      - .actual_access:  read_only
        .address_space:  global
        .offset:         40
        .size:           8
        .value_kind:     global_buffer
      - .offset:         48
        .size:           8
        .value_kind:     by_value
      - .address_space:  global
        .offset:         56
        .size:           8
        .value_kind:     global_buffer
      - .offset:         64
        .size:           4
        .value_kind:     by_value
      - .offset:         68
        .size:           1
        .value_kind:     by_value
    .group_segment_fixed_size: 0
    .kernarg_segment_align: 8
    .kernarg_segment_size: 72
    .language:       OpenCL C
    .language_version:
      - 2
      - 0
    .max_flat_workgroup_size: 128
    .name:           _ZN9rocsparseL19gebsrmvn_3xn_kernelILj128ELj1ELj16E21rocsparse_complex_numIfEEEvi20rocsparse_direction_NS_24const_host_device_scalarIT2_EEPKiS8_PKS5_SA_S6_PS5_21rocsparse_index_base_b
    .private_segment_fixed_size: 0
    .sgpr_count:     22
    .sgpr_spill_count: 0
    .symbol:         _ZN9rocsparseL19gebsrmvn_3xn_kernelILj128ELj1ELj16E21rocsparse_complex_numIfEEEvi20rocsparse_direction_NS_24const_host_device_scalarIT2_EEPKiS8_PKS5_SA_S6_PS5_21rocsparse_index_base_b.kd
    .uniform_work_group_size: 1
    .uses_dynamic_stack: false
    .vgpr_count:     32
    .vgpr_spill_count: 0
    .wavefront_size: 64
  - .agpr_count:     0
    .args:
      - .offset:         0
        .size:           4
        .value_kind:     by_value
      - .offset:         4
        .size:           4
        .value_kind:     by_value
      - .offset:         8
        .size:           8
        .value_kind:     by_value
      - .actual_access:  read_only
        .address_space:  global
        .offset:         16
        .size:           8
        .value_kind:     global_buffer
      - .actual_access:  read_only
        .address_space:  global
        .offset:         24
        .size:           8
        .value_kind:     global_buffer
      - .actual_access:  read_only
        .address_space:  global
        .offset:         32
        .size:           8
        .value_kind:     global_buffer
      - .actual_access:  read_only
        .address_space:  global
        .offset:         40
        .size:           8
        .value_kind:     global_buffer
      - .offset:         48
        .size:           8
        .value_kind:     by_value
      - .address_space:  global
        .offset:         56
        .size:           8
        .value_kind:     global_buffer
      - .offset:         64
        .size:           4
        .value_kind:     by_value
      - .offset:         68
        .size:           1
        .value_kind:     by_value
    .group_segment_fixed_size: 0
    .kernarg_segment_align: 8
    .kernarg_segment_size: 72
    .language:       OpenCL C
    .language_version:
      - 2
      - 0
    .max_flat_workgroup_size: 128
    .name:           _ZN9rocsparseL19gebsrmvn_3xn_kernelILj128ELj1ELj32E21rocsparse_complex_numIfEEEvi20rocsparse_direction_NS_24const_host_device_scalarIT2_EEPKiS8_PKS5_SA_S6_PS5_21rocsparse_index_base_b
    .private_segment_fixed_size: 0
    .sgpr_count:     22
    .sgpr_spill_count: 0
    .symbol:         _ZN9rocsparseL19gebsrmvn_3xn_kernelILj128ELj1ELj32E21rocsparse_complex_numIfEEEvi20rocsparse_direction_NS_24const_host_device_scalarIT2_EEPKiS8_PKS5_SA_S6_PS5_21rocsparse_index_base_b.kd
    .uniform_work_group_size: 1
    .uses_dynamic_stack: false
    .vgpr_count:     32
    .vgpr_spill_count: 0
    .wavefront_size: 64
  - .agpr_count:     0
    .args:
      - .offset:         0
        .size:           4
        .value_kind:     by_value
      - .offset:         4
        .size:           4
        .value_kind:     by_value
      - .offset:         8
        .size:           8
        .value_kind:     by_value
      - .actual_access:  read_only
        .address_space:  global
        .offset:         16
        .size:           8
        .value_kind:     global_buffer
      - .actual_access:  read_only
        .address_space:  global
        .offset:         24
        .size:           8
        .value_kind:     global_buffer
      - .actual_access:  read_only
        .address_space:  global
        .offset:         32
        .size:           8
        .value_kind:     global_buffer
      - .actual_access:  read_only
        .address_space:  global
        .offset:         40
        .size:           8
        .value_kind:     global_buffer
      - .offset:         48
        .size:           8
        .value_kind:     by_value
      - .address_space:  global
        .offset:         56
        .size:           8
        .value_kind:     global_buffer
      - .offset:         64
        .size:           4
        .value_kind:     by_value
      - .offset:         68
        .size:           1
        .value_kind:     by_value
    .group_segment_fixed_size: 0
    .kernarg_segment_align: 8
    .kernarg_segment_size: 72
    .language:       OpenCL C
    .language_version:
      - 2
      - 0
    .max_flat_workgroup_size: 128
    .name:           _ZN9rocsparseL19gebsrmvn_3xn_kernelILj128ELj1ELj64E21rocsparse_complex_numIfEEEvi20rocsparse_direction_NS_24const_host_device_scalarIT2_EEPKiS8_PKS5_SA_S6_PS5_21rocsparse_index_base_b
    .private_segment_fixed_size: 0
    .sgpr_count:     22
    .sgpr_spill_count: 0
    .symbol:         _ZN9rocsparseL19gebsrmvn_3xn_kernelILj128ELj1ELj64E21rocsparse_complex_numIfEEEvi20rocsparse_direction_NS_24const_host_device_scalarIT2_EEPKiS8_PKS5_SA_S6_PS5_21rocsparse_index_base_b.kd
    .uniform_work_group_size: 1
    .uses_dynamic_stack: false
    .vgpr_count:     32
    .vgpr_spill_count: 0
    .wavefront_size: 64
  - .agpr_count:     0
    .args:
      - .offset:         0
        .size:           4
        .value_kind:     by_value
      - .offset:         4
        .size:           4
        .value_kind:     by_value
      - .offset:         8
        .size:           8
        .value_kind:     by_value
      - .actual_access:  read_only
        .address_space:  global
        .offset:         16
        .size:           8
        .value_kind:     global_buffer
      - .actual_access:  read_only
        .address_space:  global
        .offset:         24
        .size:           8
        .value_kind:     global_buffer
      - .actual_access:  read_only
        .address_space:  global
        .offset:         32
        .size:           8
        .value_kind:     global_buffer
      - .actual_access:  read_only
        .address_space:  global
        .offset:         40
        .size:           8
        .value_kind:     global_buffer
      - .offset:         48
        .size:           8
        .value_kind:     by_value
      - .address_space:  global
        .offset:         56
        .size:           8
        .value_kind:     global_buffer
      - .offset:         64
        .size:           4
        .value_kind:     by_value
      - .offset:         68
        .size:           1
        .value_kind:     by_value
    .group_segment_fixed_size: 0
    .kernarg_segment_align: 8
    .kernarg_segment_size: 72
    .language:       OpenCL C
    .language_version:
      - 2
      - 0
    .max_flat_workgroup_size: 128
    .name:           _ZN9rocsparseL19gebsrmvn_3xn_kernelILj128ELj2ELj4E21rocsparse_complex_numIfEEEvi20rocsparse_direction_NS_24const_host_device_scalarIT2_EEPKiS8_PKS5_SA_S6_PS5_21rocsparse_index_base_b
    .private_segment_fixed_size: 0
    .sgpr_count:     22
    .sgpr_spill_count: 0
    .symbol:         _ZN9rocsparseL19gebsrmvn_3xn_kernelILj128ELj2ELj4E21rocsparse_complex_numIfEEEvi20rocsparse_direction_NS_24const_host_device_scalarIT2_EEPKiS8_PKS5_SA_S6_PS5_21rocsparse_index_base_b.kd
    .uniform_work_group_size: 1
    .uses_dynamic_stack: false
    .vgpr_count:     44
    .vgpr_spill_count: 0
    .wavefront_size: 64
  - .agpr_count:     0
    .args:
      - .offset:         0
        .size:           4
        .value_kind:     by_value
      - .offset:         4
        .size:           4
        .value_kind:     by_value
      - .offset:         8
        .size:           8
        .value_kind:     by_value
      - .actual_access:  read_only
        .address_space:  global
        .offset:         16
        .size:           8
        .value_kind:     global_buffer
      - .actual_access:  read_only
        .address_space:  global
        .offset:         24
        .size:           8
        .value_kind:     global_buffer
      - .actual_access:  read_only
        .address_space:  global
        .offset:         32
        .size:           8
        .value_kind:     global_buffer
      - .actual_access:  read_only
        .address_space:  global
        .offset:         40
        .size:           8
        .value_kind:     global_buffer
      - .offset:         48
        .size:           8
        .value_kind:     by_value
      - .address_space:  global
        .offset:         56
        .size:           8
        .value_kind:     global_buffer
      - .offset:         64
        .size:           4
        .value_kind:     by_value
      - .offset:         68
        .size:           1
        .value_kind:     by_value
    .group_segment_fixed_size: 0
    .kernarg_segment_align: 8
    .kernarg_segment_size: 72
    .language:       OpenCL C
    .language_version:
      - 2
      - 0
    .max_flat_workgroup_size: 128
    .name:           _ZN9rocsparseL19gebsrmvn_3xn_kernelILj128ELj2ELj8E21rocsparse_complex_numIfEEEvi20rocsparse_direction_NS_24const_host_device_scalarIT2_EEPKiS8_PKS5_SA_S6_PS5_21rocsparse_index_base_b
    .private_segment_fixed_size: 0
    .sgpr_count:     22
    .sgpr_spill_count: 0
    .symbol:         _ZN9rocsparseL19gebsrmvn_3xn_kernelILj128ELj2ELj8E21rocsparse_complex_numIfEEEvi20rocsparse_direction_NS_24const_host_device_scalarIT2_EEPKiS8_PKS5_SA_S6_PS5_21rocsparse_index_base_b.kd
    .uniform_work_group_size: 1
    .uses_dynamic_stack: false
    .vgpr_count:     44
    .vgpr_spill_count: 0
    .wavefront_size: 64
  - .agpr_count:     0
    .args:
      - .offset:         0
        .size:           4
        .value_kind:     by_value
      - .offset:         4
        .size:           4
        .value_kind:     by_value
      - .offset:         8
        .size:           8
        .value_kind:     by_value
      - .actual_access:  read_only
        .address_space:  global
        .offset:         16
        .size:           8
        .value_kind:     global_buffer
      - .actual_access:  read_only
        .address_space:  global
        .offset:         24
        .size:           8
        .value_kind:     global_buffer
      - .actual_access:  read_only
        .address_space:  global
        .offset:         32
        .size:           8
        .value_kind:     global_buffer
      - .actual_access:  read_only
        .address_space:  global
        .offset:         40
        .size:           8
        .value_kind:     global_buffer
      - .offset:         48
        .size:           8
        .value_kind:     by_value
      - .address_space:  global
        .offset:         56
        .size:           8
        .value_kind:     global_buffer
      - .offset:         64
        .size:           4
        .value_kind:     by_value
      - .offset:         68
        .size:           1
        .value_kind:     by_value
    .group_segment_fixed_size: 0
    .kernarg_segment_align: 8
    .kernarg_segment_size: 72
    .language:       OpenCL C
    .language_version:
      - 2
      - 0
    .max_flat_workgroup_size: 128
    .name:           _ZN9rocsparseL19gebsrmvn_3xn_kernelILj128ELj2ELj16E21rocsparse_complex_numIfEEEvi20rocsparse_direction_NS_24const_host_device_scalarIT2_EEPKiS8_PKS5_SA_S6_PS5_21rocsparse_index_base_b
    .private_segment_fixed_size: 0
    .sgpr_count:     22
    .sgpr_spill_count: 0
    .symbol:         _ZN9rocsparseL19gebsrmvn_3xn_kernelILj128ELj2ELj16E21rocsparse_complex_numIfEEEvi20rocsparse_direction_NS_24const_host_device_scalarIT2_EEPKiS8_PKS5_SA_S6_PS5_21rocsparse_index_base_b.kd
    .uniform_work_group_size: 1
    .uses_dynamic_stack: false
    .vgpr_count:     44
    .vgpr_spill_count: 0
    .wavefront_size: 64
  - .agpr_count:     0
    .args:
      - .offset:         0
        .size:           4
        .value_kind:     by_value
      - .offset:         4
        .size:           4
        .value_kind:     by_value
      - .offset:         8
        .size:           8
        .value_kind:     by_value
      - .actual_access:  read_only
        .address_space:  global
        .offset:         16
        .size:           8
        .value_kind:     global_buffer
      - .actual_access:  read_only
        .address_space:  global
        .offset:         24
        .size:           8
        .value_kind:     global_buffer
      - .actual_access:  read_only
        .address_space:  global
        .offset:         32
        .size:           8
        .value_kind:     global_buffer
      - .actual_access:  read_only
        .address_space:  global
        .offset:         40
        .size:           8
        .value_kind:     global_buffer
      - .offset:         48
        .size:           8
        .value_kind:     by_value
      - .address_space:  global
        .offset:         56
        .size:           8
        .value_kind:     global_buffer
      - .offset:         64
        .size:           4
        .value_kind:     by_value
      - .offset:         68
        .size:           1
        .value_kind:     by_value
    .group_segment_fixed_size: 0
    .kernarg_segment_align: 8
    .kernarg_segment_size: 72
    .language:       OpenCL C
    .language_version:
      - 2
      - 0
    .max_flat_workgroup_size: 128
    .name:           _ZN9rocsparseL19gebsrmvn_3xn_kernelILj128ELj2ELj32E21rocsparse_complex_numIfEEEvi20rocsparse_direction_NS_24const_host_device_scalarIT2_EEPKiS8_PKS5_SA_S6_PS5_21rocsparse_index_base_b
    .private_segment_fixed_size: 0
    .sgpr_count:     22
    .sgpr_spill_count: 0
    .symbol:         _ZN9rocsparseL19gebsrmvn_3xn_kernelILj128ELj2ELj32E21rocsparse_complex_numIfEEEvi20rocsparse_direction_NS_24const_host_device_scalarIT2_EEPKiS8_PKS5_SA_S6_PS5_21rocsparse_index_base_b.kd
    .uniform_work_group_size: 1
    .uses_dynamic_stack: false
    .vgpr_count:     44
    .vgpr_spill_count: 0
    .wavefront_size: 64
  - .agpr_count:     0
    .args:
      - .offset:         0
        .size:           4
        .value_kind:     by_value
      - .offset:         4
        .size:           4
        .value_kind:     by_value
      - .offset:         8
        .size:           8
        .value_kind:     by_value
      - .actual_access:  read_only
        .address_space:  global
        .offset:         16
        .size:           8
        .value_kind:     global_buffer
      - .actual_access:  read_only
        .address_space:  global
        .offset:         24
        .size:           8
        .value_kind:     global_buffer
      - .actual_access:  read_only
        .address_space:  global
        .offset:         32
        .size:           8
        .value_kind:     global_buffer
      - .actual_access:  read_only
        .address_space:  global
        .offset:         40
        .size:           8
        .value_kind:     global_buffer
      - .offset:         48
        .size:           8
        .value_kind:     by_value
      - .address_space:  global
        .offset:         56
        .size:           8
        .value_kind:     global_buffer
      - .offset:         64
        .size:           4
        .value_kind:     by_value
      - .offset:         68
        .size:           1
        .value_kind:     by_value
    .group_segment_fixed_size: 0
    .kernarg_segment_align: 8
    .kernarg_segment_size: 72
    .language:       OpenCL C
    .language_version:
      - 2
      - 0
    .max_flat_workgroup_size: 128
    .name:           _ZN9rocsparseL19gebsrmvn_3xn_kernelILj128ELj2ELj64E21rocsparse_complex_numIfEEEvi20rocsparse_direction_NS_24const_host_device_scalarIT2_EEPKiS8_PKS5_SA_S6_PS5_21rocsparse_index_base_b
    .private_segment_fixed_size: 0
    .sgpr_count:     22
    .sgpr_spill_count: 0
    .symbol:         _ZN9rocsparseL19gebsrmvn_3xn_kernelILj128ELj2ELj64E21rocsparse_complex_numIfEEEvi20rocsparse_direction_NS_24const_host_device_scalarIT2_EEPKiS8_PKS5_SA_S6_PS5_21rocsparse_index_base_b.kd
    .uniform_work_group_size: 1
    .uses_dynamic_stack: false
    .vgpr_count:     44
    .vgpr_spill_count: 0
    .wavefront_size: 64
  - .agpr_count:     0
    .args:
      - .offset:         0
        .size:           4
        .value_kind:     by_value
      - .offset:         4
        .size:           4
        .value_kind:     by_value
      - .offset:         8
        .size:           8
        .value_kind:     by_value
      - .actual_access:  read_only
        .address_space:  global
        .offset:         16
        .size:           8
        .value_kind:     global_buffer
      - .actual_access:  read_only
        .address_space:  global
        .offset:         24
        .size:           8
        .value_kind:     global_buffer
      - .actual_access:  read_only
        .address_space:  global
        .offset:         32
        .size:           8
        .value_kind:     global_buffer
      - .actual_access:  read_only
        .address_space:  global
        .offset:         40
        .size:           8
        .value_kind:     global_buffer
      - .offset:         48
        .size:           8
        .value_kind:     by_value
      - .address_space:  global
        .offset:         56
        .size:           8
        .value_kind:     global_buffer
      - .offset:         64
        .size:           4
        .value_kind:     by_value
      - .offset:         68
        .size:           1
        .value_kind:     by_value
    .group_segment_fixed_size: 0
    .kernarg_segment_align: 8
    .kernarg_segment_size: 72
    .language:       OpenCL C
    .language_version:
      - 2
      - 0
    .max_flat_workgroup_size: 128
    .name:           _ZN9rocsparseL19gebsrmvn_3xn_kernelILj128ELj4ELj4E21rocsparse_complex_numIfEEEvi20rocsparse_direction_NS_24const_host_device_scalarIT2_EEPKiS8_PKS5_SA_S6_PS5_21rocsparse_index_base_b
    .private_segment_fixed_size: 0
    .sgpr_count:     22
    .sgpr_spill_count: 0
    .symbol:         _ZN9rocsparseL19gebsrmvn_3xn_kernelILj128ELj4ELj4E21rocsparse_complex_numIfEEEvi20rocsparse_direction_NS_24const_host_device_scalarIT2_EEPKiS8_PKS5_SA_S6_PS5_21rocsparse_index_base_b.kd
    .uniform_work_group_size: 1
    .uses_dynamic_stack: false
    .vgpr_count:     60
    .vgpr_spill_count: 0
    .wavefront_size: 64
  - .agpr_count:     0
    .args:
      - .offset:         0
        .size:           4
        .value_kind:     by_value
      - .offset:         4
        .size:           4
        .value_kind:     by_value
      - .offset:         8
        .size:           8
        .value_kind:     by_value
      - .actual_access:  read_only
        .address_space:  global
        .offset:         16
        .size:           8
        .value_kind:     global_buffer
      - .actual_access:  read_only
        .address_space:  global
        .offset:         24
        .size:           8
        .value_kind:     global_buffer
      - .actual_access:  read_only
        .address_space:  global
        .offset:         32
        .size:           8
        .value_kind:     global_buffer
      - .actual_access:  read_only
        .address_space:  global
        .offset:         40
        .size:           8
        .value_kind:     global_buffer
      - .offset:         48
        .size:           8
        .value_kind:     by_value
      - .address_space:  global
        .offset:         56
        .size:           8
        .value_kind:     global_buffer
      - .offset:         64
        .size:           4
        .value_kind:     by_value
      - .offset:         68
        .size:           1
        .value_kind:     by_value
    .group_segment_fixed_size: 0
    .kernarg_segment_align: 8
    .kernarg_segment_size: 72
    .language:       OpenCL C
    .language_version:
      - 2
      - 0
    .max_flat_workgroup_size: 128
    .name:           _ZN9rocsparseL19gebsrmvn_3xn_kernelILj128ELj4ELj8E21rocsparse_complex_numIfEEEvi20rocsparse_direction_NS_24const_host_device_scalarIT2_EEPKiS8_PKS5_SA_S6_PS5_21rocsparse_index_base_b
    .private_segment_fixed_size: 0
    .sgpr_count:     22
    .sgpr_spill_count: 0
    .symbol:         _ZN9rocsparseL19gebsrmvn_3xn_kernelILj128ELj4ELj8E21rocsparse_complex_numIfEEEvi20rocsparse_direction_NS_24const_host_device_scalarIT2_EEPKiS8_PKS5_SA_S6_PS5_21rocsparse_index_base_b.kd
    .uniform_work_group_size: 1
    .uses_dynamic_stack: false
    .vgpr_count:     60
    .vgpr_spill_count: 0
    .wavefront_size: 64
  - .agpr_count:     0
    .args:
      - .offset:         0
        .size:           4
        .value_kind:     by_value
      - .offset:         4
        .size:           4
        .value_kind:     by_value
      - .offset:         8
        .size:           8
        .value_kind:     by_value
      - .actual_access:  read_only
        .address_space:  global
        .offset:         16
        .size:           8
        .value_kind:     global_buffer
      - .actual_access:  read_only
        .address_space:  global
        .offset:         24
        .size:           8
        .value_kind:     global_buffer
      - .actual_access:  read_only
        .address_space:  global
        .offset:         32
        .size:           8
        .value_kind:     global_buffer
      - .actual_access:  read_only
        .address_space:  global
        .offset:         40
        .size:           8
        .value_kind:     global_buffer
      - .offset:         48
        .size:           8
        .value_kind:     by_value
      - .address_space:  global
        .offset:         56
        .size:           8
        .value_kind:     global_buffer
      - .offset:         64
        .size:           4
        .value_kind:     by_value
      - .offset:         68
        .size:           1
        .value_kind:     by_value
    .group_segment_fixed_size: 0
    .kernarg_segment_align: 8
    .kernarg_segment_size: 72
    .language:       OpenCL C
    .language_version:
      - 2
      - 0
    .max_flat_workgroup_size: 128
    .name:           _ZN9rocsparseL19gebsrmvn_3xn_kernelILj128ELj4ELj16E21rocsparse_complex_numIfEEEvi20rocsparse_direction_NS_24const_host_device_scalarIT2_EEPKiS8_PKS5_SA_S6_PS5_21rocsparse_index_base_b
    .private_segment_fixed_size: 0
    .sgpr_count:     22
    .sgpr_spill_count: 0
    .symbol:         _ZN9rocsparseL19gebsrmvn_3xn_kernelILj128ELj4ELj16E21rocsparse_complex_numIfEEEvi20rocsparse_direction_NS_24const_host_device_scalarIT2_EEPKiS8_PKS5_SA_S6_PS5_21rocsparse_index_base_b.kd
    .uniform_work_group_size: 1
    .uses_dynamic_stack: false
    .vgpr_count:     60
    .vgpr_spill_count: 0
    .wavefront_size: 64
  - .agpr_count:     0
    .args:
      - .offset:         0
        .size:           4
        .value_kind:     by_value
      - .offset:         4
        .size:           4
        .value_kind:     by_value
      - .offset:         8
        .size:           8
        .value_kind:     by_value
      - .actual_access:  read_only
        .address_space:  global
        .offset:         16
        .size:           8
        .value_kind:     global_buffer
      - .actual_access:  read_only
        .address_space:  global
        .offset:         24
        .size:           8
        .value_kind:     global_buffer
      - .actual_access:  read_only
        .address_space:  global
        .offset:         32
        .size:           8
        .value_kind:     global_buffer
      - .actual_access:  read_only
        .address_space:  global
        .offset:         40
        .size:           8
        .value_kind:     global_buffer
      - .offset:         48
        .size:           8
        .value_kind:     by_value
      - .address_space:  global
        .offset:         56
        .size:           8
        .value_kind:     global_buffer
      - .offset:         64
        .size:           4
        .value_kind:     by_value
      - .offset:         68
        .size:           1
        .value_kind:     by_value
    .group_segment_fixed_size: 0
    .kernarg_segment_align: 8
    .kernarg_segment_size: 72
    .language:       OpenCL C
    .language_version:
      - 2
      - 0
    .max_flat_workgroup_size: 128
    .name:           _ZN9rocsparseL19gebsrmvn_3xn_kernelILj128ELj4ELj32E21rocsparse_complex_numIfEEEvi20rocsparse_direction_NS_24const_host_device_scalarIT2_EEPKiS8_PKS5_SA_S6_PS5_21rocsparse_index_base_b
    .private_segment_fixed_size: 0
    .sgpr_count:     22
    .sgpr_spill_count: 0
    .symbol:         _ZN9rocsparseL19gebsrmvn_3xn_kernelILj128ELj4ELj32E21rocsparse_complex_numIfEEEvi20rocsparse_direction_NS_24const_host_device_scalarIT2_EEPKiS8_PKS5_SA_S6_PS5_21rocsparse_index_base_b.kd
    .uniform_work_group_size: 1
    .uses_dynamic_stack: false
    .vgpr_count:     60
    .vgpr_spill_count: 0
    .wavefront_size: 64
  - .agpr_count:     0
    .args:
      - .offset:         0
        .size:           4
        .value_kind:     by_value
      - .offset:         4
        .size:           4
        .value_kind:     by_value
      - .offset:         8
        .size:           8
        .value_kind:     by_value
      - .actual_access:  read_only
        .address_space:  global
        .offset:         16
        .size:           8
        .value_kind:     global_buffer
      - .actual_access:  read_only
        .address_space:  global
        .offset:         24
        .size:           8
        .value_kind:     global_buffer
      - .actual_access:  read_only
        .address_space:  global
        .offset:         32
        .size:           8
        .value_kind:     global_buffer
      - .actual_access:  read_only
        .address_space:  global
        .offset:         40
        .size:           8
        .value_kind:     global_buffer
      - .offset:         48
        .size:           8
        .value_kind:     by_value
      - .address_space:  global
        .offset:         56
        .size:           8
        .value_kind:     global_buffer
      - .offset:         64
        .size:           4
        .value_kind:     by_value
      - .offset:         68
        .size:           1
        .value_kind:     by_value
    .group_segment_fixed_size: 0
    .kernarg_segment_align: 8
    .kernarg_segment_size: 72
    .language:       OpenCL C
    .language_version:
      - 2
      - 0
    .max_flat_workgroup_size: 128
    .name:           _ZN9rocsparseL19gebsrmvn_3xn_kernelILj128ELj4ELj64E21rocsparse_complex_numIfEEEvi20rocsparse_direction_NS_24const_host_device_scalarIT2_EEPKiS8_PKS5_SA_S6_PS5_21rocsparse_index_base_b
    .private_segment_fixed_size: 0
    .sgpr_count:     22
    .sgpr_spill_count: 0
    .symbol:         _ZN9rocsparseL19gebsrmvn_3xn_kernelILj128ELj4ELj64E21rocsparse_complex_numIfEEEvi20rocsparse_direction_NS_24const_host_device_scalarIT2_EEPKiS8_PKS5_SA_S6_PS5_21rocsparse_index_base_b.kd
    .uniform_work_group_size: 1
    .uses_dynamic_stack: false
    .vgpr_count:     60
    .vgpr_spill_count: 0
    .wavefront_size: 64
  - .agpr_count:     0
    .args:
      - .offset:         0
        .size:           4
        .value_kind:     by_value
      - .offset:         4
        .size:           4
        .value_kind:     by_value
      - .offset:         8
        .size:           8
        .value_kind:     by_value
      - .actual_access:  read_only
        .address_space:  global
        .offset:         16
        .size:           8
        .value_kind:     global_buffer
      - .actual_access:  read_only
        .address_space:  global
        .offset:         24
        .size:           8
        .value_kind:     global_buffer
      - .actual_access:  read_only
        .address_space:  global
        .offset:         32
        .size:           8
        .value_kind:     global_buffer
      - .actual_access:  read_only
        .address_space:  global
        .offset:         40
        .size:           8
        .value_kind:     global_buffer
      - .offset:         48
        .size:           8
        .value_kind:     by_value
      - .address_space:  global
        .offset:         56
        .size:           8
        .value_kind:     global_buffer
      - .offset:         64
        .size:           4
        .value_kind:     by_value
      - .offset:         68
        .size:           1
        .value_kind:     by_value
    .group_segment_fixed_size: 0
    .kernarg_segment_align: 8
    .kernarg_segment_size: 72
    .language:       OpenCL C
    .language_version:
      - 2
      - 0
    .max_flat_workgroup_size: 128
    .name:           _ZN9rocsparseL19gebsrmvn_3xn_kernelILj128ELj5ELj4E21rocsparse_complex_numIfEEEvi20rocsparse_direction_NS_24const_host_device_scalarIT2_EEPKiS8_PKS5_SA_S6_PS5_21rocsparse_index_base_b
    .private_segment_fixed_size: 0
    .sgpr_count:     22
    .sgpr_spill_count: 0
    .symbol:         _ZN9rocsparseL19gebsrmvn_3xn_kernelILj128ELj5ELj4E21rocsparse_complex_numIfEEEvi20rocsparse_direction_NS_24const_host_device_scalarIT2_EEPKiS8_PKS5_SA_S6_PS5_21rocsparse_index_base_b.kd
    .uniform_work_group_size: 1
    .uses_dynamic_stack: false
    .vgpr_count:     68
    .vgpr_spill_count: 0
    .wavefront_size: 64
  - .agpr_count:     0
    .args:
      - .offset:         0
        .size:           4
        .value_kind:     by_value
      - .offset:         4
        .size:           4
        .value_kind:     by_value
      - .offset:         8
        .size:           8
        .value_kind:     by_value
      - .actual_access:  read_only
        .address_space:  global
        .offset:         16
        .size:           8
        .value_kind:     global_buffer
      - .actual_access:  read_only
        .address_space:  global
        .offset:         24
        .size:           8
        .value_kind:     global_buffer
      - .actual_access:  read_only
        .address_space:  global
        .offset:         32
        .size:           8
        .value_kind:     global_buffer
      - .actual_access:  read_only
        .address_space:  global
        .offset:         40
        .size:           8
        .value_kind:     global_buffer
      - .offset:         48
        .size:           8
        .value_kind:     by_value
      - .address_space:  global
        .offset:         56
        .size:           8
        .value_kind:     global_buffer
      - .offset:         64
        .size:           4
        .value_kind:     by_value
      - .offset:         68
        .size:           1
        .value_kind:     by_value
    .group_segment_fixed_size: 0
    .kernarg_segment_align: 8
    .kernarg_segment_size: 72
    .language:       OpenCL C
    .language_version:
      - 2
      - 0
    .max_flat_workgroup_size: 128
    .name:           _ZN9rocsparseL19gebsrmvn_3xn_kernelILj128ELj5ELj8E21rocsparse_complex_numIfEEEvi20rocsparse_direction_NS_24const_host_device_scalarIT2_EEPKiS8_PKS5_SA_S6_PS5_21rocsparse_index_base_b
    .private_segment_fixed_size: 0
    .sgpr_count:     22
    .sgpr_spill_count: 0
    .symbol:         _ZN9rocsparseL19gebsrmvn_3xn_kernelILj128ELj5ELj8E21rocsparse_complex_numIfEEEvi20rocsparse_direction_NS_24const_host_device_scalarIT2_EEPKiS8_PKS5_SA_S6_PS5_21rocsparse_index_base_b.kd
    .uniform_work_group_size: 1
    .uses_dynamic_stack: false
    .vgpr_count:     68
    .vgpr_spill_count: 0
    .wavefront_size: 64
  - .agpr_count:     0
    .args:
      - .offset:         0
        .size:           4
        .value_kind:     by_value
      - .offset:         4
        .size:           4
        .value_kind:     by_value
      - .offset:         8
        .size:           8
        .value_kind:     by_value
      - .actual_access:  read_only
        .address_space:  global
        .offset:         16
        .size:           8
        .value_kind:     global_buffer
      - .actual_access:  read_only
        .address_space:  global
        .offset:         24
        .size:           8
        .value_kind:     global_buffer
      - .actual_access:  read_only
        .address_space:  global
        .offset:         32
        .size:           8
        .value_kind:     global_buffer
      - .actual_access:  read_only
        .address_space:  global
        .offset:         40
        .size:           8
        .value_kind:     global_buffer
      - .offset:         48
        .size:           8
        .value_kind:     by_value
      - .address_space:  global
        .offset:         56
        .size:           8
        .value_kind:     global_buffer
      - .offset:         64
        .size:           4
        .value_kind:     by_value
      - .offset:         68
        .size:           1
        .value_kind:     by_value
    .group_segment_fixed_size: 0
    .kernarg_segment_align: 8
    .kernarg_segment_size: 72
    .language:       OpenCL C
    .language_version:
      - 2
      - 0
    .max_flat_workgroup_size: 128
    .name:           _ZN9rocsparseL19gebsrmvn_3xn_kernelILj128ELj5ELj16E21rocsparse_complex_numIfEEEvi20rocsparse_direction_NS_24const_host_device_scalarIT2_EEPKiS8_PKS5_SA_S6_PS5_21rocsparse_index_base_b
    .private_segment_fixed_size: 0
    .sgpr_count:     22
    .sgpr_spill_count: 0
    .symbol:         _ZN9rocsparseL19gebsrmvn_3xn_kernelILj128ELj5ELj16E21rocsparse_complex_numIfEEEvi20rocsparse_direction_NS_24const_host_device_scalarIT2_EEPKiS8_PKS5_SA_S6_PS5_21rocsparse_index_base_b.kd
    .uniform_work_group_size: 1
    .uses_dynamic_stack: false
    .vgpr_count:     68
    .vgpr_spill_count: 0
    .wavefront_size: 64
  - .agpr_count:     0
    .args:
      - .offset:         0
        .size:           4
        .value_kind:     by_value
      - .offset:         4
        .size:           4
        .value_kind:     by_value
      - .offset:         8
        .size:           8
        .value_kind:     by_value
      - .actual_access:  read_only
        .address_space:  global
        .offset:         16
        .size:           8
        .value_kind:     global_buffer
      - .actual_access:  read_only
        .address_space:  global
        .offset:         24
        .size:           8
        .value_kind:     global_buffer
      - .actual_access:  read_only
        .address_space:  global
        .offset:         32
        .size:           8
        .value_kind:     global_buffer
      - .actual_access:  read_only
        .address_space:  global
        .offset:         40
        .size:           8
        .value_kind:     global_buffer
      - .offset:         48
        .size:           8
        .value_kind:     by_value
      - .address_space:  global
        .offset:         56
        .size:           8
        .value_kind:     global_buffer
      - .offset:         64
        .size:           4
        .value_kind:     by_value
      - .offset:         68
        .size:           1
        .value_kind:     by_value
    .group_segment_fixed_size: 0
    .kernarg_segment_align: 8
    .kernarg_segment_size: 72
    .language:       OpenCL C
    .language_version:
      - 2
      - 0
    .max_flat_workgroup_size: 128
    .name:           _ZN9rocsparseL19gebsrmvn_3xn_kernelILj128ELj5ELj32E21rocsparse_complex_numIfEEEvi20rocsparse_direction_NS_24const_host_device_scalarIT2_EEPKiS8_PKS5_SA_S6_PS5_21rocsparse_index_base_b
    .private_segment_fixed_size: 0
    .sgpr_count:     22
    .sgpr_spill_count: 0
    .symbol:         _ZN9rocsparseL19gebsrmvn_3xn_kernelILj128ELj5ELj32E21rocsparse_complex_numIfEEEvi20rocsparse_direction_NS_24const_host_device_scalarIT2_EEPKiS8_PKS5_SA_S6_PS5_21rocsparse_index_base_b.kd
    .uniform_work_group_size: 1
    .uses_dynamic_stack: false
    .vgpr_count:     68
    .vgpr_spill_count: 0
    .wavefront_size: 64
  - .agpr_count:     0
    .args:
      - .offset:         0
        .size:           4
        .value_kind:     by_value
      - .offset:         4
        .size:           4
        .value_kind:     by_value
      - .offset:         8
        .size:           8
        .value_kind:     by_value
      - .actual_access:  read_only
        .address_space:  global
        .offset:         16
        .size:           8
        .value_kind:     global_buffer
      - .actual_access:  read_only
        .address_space:  global
        .offset:         24
        .size:           8
        .value_kind:     global_buffer
      - .actual_access:  read_only
        .address_space:  global
        .offset:         32
        .size:           8
        .value_kind:     global_buffer
      - .actual_access:  read_only
        .address_space:  global
        .offset:         40
        .size:           8
        .value_kind:     global_buffer
      - .offset:         48
        .size:           8
        .value_kind:     by_value
      - .address_space:  global
        .offset:         56
        .size:           8
        .value_kind:     global_buffer
      - .offset:         64
        .size:           4
        .value_kind:     by_value
      - .offset:         68
        .size:           1
        .value_kind:     by_value
    .group_segment_fixed_size: 0
    .kernarg_segment_align: 8
    .kernarg_segment_size: 72
    .language:       OpenCL C
    .language_version:
      - 2
      - 0
    .max_flat_workgroup_size: 128
    .name:           _ZN9rocsparseL19gebsrmvn_3xn_kernelILj128ELj5ELj64E21rocsparse_complex_numIfEEEvi20rocsparse_direction_NS_24const_host_device_scalarIT2_EEPKiS8_PKS5_SA_S6_PS5_21rocsparse_index_base_b
    .private_segment_fixed_size: 0
    .sgpr_count:     22
    .sgpr_spill_count: 0
    .symbol:         _ZN9rocsparseL19gebsrmvn_3xn_kernelILj128ELj5ELj64E21rocsparse_complex_numIfEEEvi20rocsparse_direction_NS_24const_host_device_scalarIT2_EEPKiS8_PKS5_SA_S6_PS5_21rocsparse_index_base_b.kd
    .uniform_work_group_size: 1
    .uses_dynamic_stack: false
    .vgpr_count:     68
    .vgpr_spill_count: 0
    .wavefront_size: 64
  - .agpr_count:     0
    .args:
      - .offset:         0
        .size:           4
        .value_kind:     by_value
      - .offset:         4
        .size:           4
        .value_kind:     by_value
      - .offset:         8
        .size:           8
        .value_kind:     by_value
      - .actual_access:  read_only
        .address_space:  global
        .offset:         16
        .size:           8
        .value_kind:     global_buffer
      - .actual_access:  read_only
        .address_space:  global
        .offset:         24
        .size:           8
        .value_kind:     global_buffer
      - .actual_access:  read_only
        .address_space:  global
        .offset:         32
        .size:           8
        .value_kind:     global_buffer
      - .actual_access:  read_only
        .address_space:  global
        .offset:         40
        .size:           8
        .value_kind:     global_buffer
      - .offset:         48
        .size:           8
        .value_kind:     by_value
      - .address_space:  global
        .offset:         56
        .size:           8
        .value_kind:     global_buffer
      - .offset:         64
        .size:           4
        .value_kind:     by_value
      - .offset:         68
        .size:           1
        .value_kind:     by_value
    .group_segment_fixed_size: 0
    .kernarg_segment_align: 8
    .kernarg_segment_size: 72
    .language:       OpenCL C
    .language_version:
      - 2
      - 0
    .max_flat_workgroup_size: 128
    .name:           _ZN9rocsparseL19gebsrmvn_3xn_kernelILj128ELj6ELj4E21rocsparse_complex_numIfEEEvi20rocsparse_direction_NS_24const_host_device_scalarIT2_EEPKiS8_PKS5_SA_S6_PS5_21rocsparse_index_base_b
    .private_segment_fixed_size: 0
    .sgpr_count:     22
    .sgpr_spill_count: 0
    .symbol:         _ZN9rocsparseL19gebsrmvn_3xn_kernelILj128ELj6ELj4E21rocsparse_complex_numIfEEEvi20rocsparse_direction_NS_24const_host_device_scalarIT2_EEPKiS8_PKS5_SA_S6_PS5_21rocsparse_index_base_b.kd
    .uniform_work_group_size: 1
    .uses_dynamic_stack: false
    .vgpr_count:     64
    .vgpr_spill_count: 0
    .wavefront_size: 64
  - .agpr_count:     0
    .args:
      - .offset:         0
        .size:           4
        .value_kind:     by_value
      - .offset:         4
        .size:           4
        .value_kind:     by_value
      - .offset:         8
        .size:           8
        .value_kind:     by_value
      - .actual_access:  read_only
        .address_space:  global
        .offset:         16
        .size:           8
        .value_kind:     global_buffer
      - .actual_access:  read_only
        .address_space:  global
        .offset:         24
        .size:           8
        .value_kind:     global_buffer
      - .actual_access:  read_only
        .address_space:  global
        .offset:         32
        .size:           8
        .value_kind:     global_buffer
      - .actual_access:  read_only
        .address_space:  global
        .offset:         40
        .size:           8
        .value_kind:     global_buffer
      - .offset:         48
        .size:           8
        .value_kind:     by_value
      - .address_space:  global
        .offset:         56
        .size:           8
        .value_kind:     global_buffer
      - .offset:         64
        .size:           4
        .value_kind:     by_value
      - .offset:         68
        .size:           1
        .value_kind:     by_value
    .group_segment_fixed_size: 0
    .kernarg_segment_align: 8
    .kernarg_segment_size: 72
    .language:       OpenCL C
    .language_version:
      - 2
      - 0
    .max_flat_workgroup_size: 128
    .name:           _ZN9rocsparseL19gebsrmvn_3xn_kernelILj128ELj6ELj8E21rocsparse_complex_numIfEEEvi20rocsparse_direction_NS_24const_host_device_scalarIT2_EEPKiS8_PKS5_SA_S6_PS5_21rocsparse_index_base_b
    .private_segment_fixed_size: 0
    .sgpr_count:     22
    .sgpr_spill_count: 0
    .symbol:         _ZN9rocsparseL19gebsrmvn_3xn_kernelILj128ELj6ELj8E21rocsparse_complex_numIfEEEvi20rocsparse_direction_NS_24const_host_device_scalarIT2_EEPKiS8_PKS5_SA_S6_PS5_21rocsparse_index_base_b.kd
    .uniform_work_group_size: 1
    .uses_dynamic_stack: false
    .vgpr_count:     64
    .vgpr_spill_count: 0
    .wavefront_size: 64
  - .agpr_count:     0
    .args:
      - .offset:         0
        .size:           4
        .value_kind:     by_value
      - .offset:         4
        .size:           4
        .value_kind:     by_value
      - .offset:         8
        .size:           8
        .value_kind:     by_value
      - .actual_access:  read_only
        .address_space:  global
        .offset:         16
        .size:           8
        .value_kind:     global_buffer
      - .actual_access:  read_only
        .address_space:  global
        .offset:         24
        .size:           8
        .value_kind:     global_buffer
      - .actual_access:  read_only
        .address_space:  global
        .offset:         32
        .size:           8
        .value_kind:     global_buffer
      - .actual_access:  read_only
        .address_space:  global
        .offset:         40
        .size:           8
        .value_kind:     global_buffer
      - .offset:         48
        .size:           8
        .value_kind:     by_value
      - .address_space:  global
        .offset:         56
        .size:           8
        .value_kind:     global_buffer
      - .offset:         64
        .size:           4
        .value_kind:     by_value
      - .offset:         68
        .size:           1
        .value_kind:     by_value
    .group_segment_fixed_size: 0
    .kernarg_segment_align: 8
    .kernarg_segment_size: 72
    .language:       OpenCL C
    .language_version:
      - 2
      - 0
    .max_flat_workgroup_size: 128
    .name:           _ZN9rocsparseL19gebsrmvn_3xn_kernelILj128ELj6ELj16E21rocsparse_complex_numIfEEEvi20rocsparse_direction_NS_24const_host_device_scalarIT2_EEPKiS8_PKS5_SA_S6_PS5_21rocsparse_index_base_b
    .private_segment_fixed_size: 0
    .sgpr_count:     22
    .sgpr_spill_count: 0
    .symbol:         _ZN9rocsparseL19gebsrmvn_3xn_kernelILj128ELj6ELj16E21rocsparse_complex_numIfEEEvi20rocsparse_direction_NS_24const_host_device_scalarIT2_EEPKiS8_PKS5_SA_S6_PS5_21rocsparse_index_base_b.kd
    .uniform_work_group_size: 1
    .uses_dynamic_stack: false
    .vgpr_count:     64
    .vgpr_spill_count: 0
    .wavefront_size: 64
  - .agpr_count:     0
    .args:
      - .offset:         0
        .size:           4
        .value_kind:     by_value
      - .offset:         4
        .size:           4
        .value_kind:     by_value
      - .offset:         8
        .size:           8
        .value_kind:     by_value
      - .actual_access:  read_only
        .address_space:  global
        .offset:         16
        .size:           8
        .value_kind:     global_buffer
      - .actual_access:  read_only
        .address_space:  global
        .offset:         24
        .size:           8
        .value_kind:     global_buffer
      - .actual_access:  read_only
        .address_space:  global
        .offset:         32
        .size:           8
        .value_kind:     global_buffer
      - .actual_access:  read_only
        .address_space:  global
        .offset:         40
        .size:           8
        .value_kind:     global_buffer
      - .offset:         48
        .size:           8
        .value_kind:     by_value
      - .address_space:  global
        .offset:         56
        .size:           8
        .value_kind:     global_buffer
      - .offset:         64
        .size:           4
        .value_kind:     by_value
      - .offset:         68
        .size:           1
        .value_kind:     by_value
    .group_segment_fixed_size: 0
    .kernarg_segment_align: 8
    .kernarg_segment_size: 72
    .language:       OpenCL C
    .language_version:
      - 2
      - 0
    .max_flat_workgroup_size: 128
    .name:           _ZN9rocsparseL19gebsrmvn_3xn_kernelILj128ELj6ELj32E21rocsparse_complex_numIfEEEvi20rocsparse_direction_NS_24const_host_device_scalarIT2_EEPKiS8_PKS5_SA_S6_PS5_21rocsparse_index_base_b
    .private_segment_fixed_size: 0
    .sgpr_count:     22
    .sgpr_spill_count: 0
    .symbol:         _ZN9rocsparseL19gebsrmvn_3xn_kernelILj128ELj6ELj32E21rocsparse_complex_numIfEEEvi20rocsparse_direction_NS_24const_host_device_scalarIT2_EEPKiS8_PKS5_SA_S6_PS5_21rocsparse_index_base_b.kd
    .uniform_work_group_size: 1
    .uses_dynamic_stack: false
    .vgpr_count:     64
    .vgpr_spill_count: 0
    .wavefront_size: 64
  - .agpr_count:     0
    .args:
      - .offset:         0
        .size:           4
        .value_kind:     by_value
      - .offset:         4
        .size:           4
        .value_kind:     by_value
      - .offset:         8
        .size:           8
        .value_kind:     by_value
      - .actual_access:  read_only
        .address_space:  global
        .offset:         16
        .size:           8
        .value_kind:     global_buffer
      - .actual_access:  read_only
        .address_space:  global
        .offset:         24
        .size:           8
        .value_kind:     global_buffer
      - .actual_access:  read_only
        .address_space:  global
        .offset:         32
        .size:           8
        .value_kind:     global_buffer
      - .actual_access:  read_only
        .address_space:  global
        .offset:         40
        .size:           8
        .value_kind:     global_buffer
      - .offset:         48
        .size:           8
        .value_kind:     by_value
      - .address_space:  global
        .offset:         56
        .size:           8
        .value_kind:     global_buffer
      - .offset:         64
        .size:           4
        .value_kind:     by_value
      - .offset:         68
        .size:           1
        .value_kind:     by_value
    .group_segment_fixed_size: 0
    .kernarg_segment_align: 8
    .kernarg_segment_size: 72
    .language:       OpenCL C
    .language_version:
      - 2
      - 0
    .max_flat_workgroup_size: 128
    .name:           _ZN9rocsparseL19gebsrmvn_3xn_kernelILj128ELj6ELj64E21rocsparse_complex_numIfEEEvi20rocsparse_direction_NS_24const_host_device_scalarIT2_EEPKiS8_PKS5_SA_S6_PS5_21rocsparse_index_base_b
    .private_segment_fixed_size: 0
    .sgpr_count:     22
    .sgpr_spill_count: 0
    .symbol:         _ZN9rocsparseL19gebsrmvn_3xn_kernelILj128ELj6ELj64E21rocsparse_complex_numIfEEEvi20rocsparse_direction_NS_24const_host_device_scalarIT2_EEPKiS8_PKS5_SA_S6_PS5_21rocsparse_index_base_b.kd
    .uniform_work_group_size: 1
    .uses_dynamic_stack: false
    .vgpr_count:     64
    .vgpr_spill_count: 0
    .wavefront_size: 64
  - .agpr_count:     0
    .args:
      - .offset:         0
        .size:           4
        .value_kind:     by_value
      - .offset:         4
        .size:           4
        .value_kind:     by_value
      - .offset:         8
        .size:           8
        .value_kind:     by_value
      - .actual_access:  read_only
        .address_space:  global
        .offset:         16
        .size:           8
        .value_kind:     global_buffer
      - .actual_access:  read_only
        .address_space:  global
        .offset:         24
        .size:           8
        .value_kind:     global_buffer
      - .actual_access:  read_only
        .address_space:  global
        .offset:         32
        .size:           8
        .value_kind:     global_buffer
      - .actual_access:  read_only
        .address_space:  global
        .offset:         40
        .size:           8
        .value_kind:     global_buffer
      - .offset:         48
        .size:           8
        .value_kind:     by_value
      - .address_space:  global
        .offset:         56
        .size:           8
        .value_kind:     global_buffer
      - .offset:         64
        .size:           4
        .value_kind:     by_value
      - .offset:         68
        .size:           1
        .value_kind:     by_value
    .group_segment_fixed_size: 0
    .kernarg_segment_align: 8
    .kernarg_segment_size: 72
    .language:       OpenCL C
    .language_version:
      - 2
      - 0
    .max_flat_workgroup_size: 128
    .name:           _ZN9rocsparseL19gebsrmvn_3xn_kernelILj128ELj7ELj4E21rocsparse_complex_numIfEEEvi20rocsparse_direction_NS_24const_host_device_scalarIT2_EEPKiS8_PKS5_SA_S6_PS5_21rocsparse_index_base_b
    .private_segment_fixed_size: 0
    .sgpr_count:     22
    .sgpr_spill_count: 0
    .symbol:         _ZN9rocsparseL19gebsrmvn_3xn_kernelILj128ELj7ELj4E21rocsparse_complex_numIfEEEvi20rocsparse_direction_NS_24const_host_device_scalarIT2_EEPKiS8_PKS5_SA_S6_PS5_21rocsparse_index_base_b.kd
    .uniform_work_group_size: 1
    .uses_dynamic_stack: false
    .vgpr_count:     82
    .vgpr_spill_count: 0
    .wavefront_size: 64
  - .agpr_count:     0
    .args:
      - .offset:         0
        .size:           4
        .value_kind:     by_value
      - .offset:         4
        .size:           4
        .value_kind:     by_value
      - .offset:         8
        .size:           8
        .value_kind:     by_value
      - .actual_access:  read_only
        .address_space:  global
        .offset:         16
        .size:           8
        .value_kind:     global_buffer
      - .actual_access:  read_only
        .address_space:  global
        .offset:         24
        .size:           8
        .value_kind:     global_buffer
      - .actual_access:  read_only
        .address_space:  global
        .offset:         32
        .size:           8
        .value_kind:     global_buffer
      - .actual_access:  read_only
        .address_space:  global
        .offset:         40
        .size:           8
        .value_kind:     global_buffer
      - .offset:         48
        .size:           8
        .value_kind:     by_value
      - .address_space:  global
        .offset:         56
        .size:           8
        .value_kind:     global_buffer
      - .offset:         64
        .size:           4
        .value_kind:     by_value
      - .offset:         68
        .size:           1
        .value_kind:     by_value
    .group_segment_fixed_size: 0
    .kernarg_segment_align: 8
    .kernarg_segment_size: 72
    .language:       OpenCL C
    .language_version:
      - 2
      - 0
    .max_flat_workgroup_size: 128
    .name:           _ZN9rocsparseL19gebsrmvn_3xn_kernelILj128ELj7ELj8E21rocsparse_complex_numIfEEEvi20rocsparse_direction_NS_24const_host_device_scalarIT2_EEPKiS8_PKS5_SA_S6_PS5_21rocsparse_index_base_b
    .private_segment_fixed_size: 0
    .sgpr_count:     22
    .sgpr_spill_count: 0
    .symbol:         _ZN9rocsparseL19gebsrmvn_3xn_kernelILj128ELj7ELj8E21rocsparse_complex_numIfEEEvi20rocsparse_direction_NS_24const_host_device_scalarIT2_EEPKiS8_PKS5_SA_S6_PS5_21rocsparse_index_base_b.kd
    .uniform_work_group_size: 1
    .uses_dynamic_stack: false
    .vgpr_count:     82
    .vgpr_spill_count: 0
    .wavefront_size: 64
  - .agpr_count:     0
    .args:
      - .offset:         0
        .size:           4
        .value_kind:     by_value
      - .offset:         4
        .size:           4
        .value_kind:     by_value
      - .offset:         8
        .size:           8
        .value_kind:     by_value
      - .actual_access:  read_only
        .address_space:  global
        .offset:         16
        .size:           8
        .value_kind:     global_buffer
      - .actual_access:  read_only
        .address_space:  global
        .offset:         24
        .size:           8
        .value_kind:     global_buffer
      - .actual_access:  read_only
        .address_space:  global
        .offset:         32
        .size:           8
        .value_kind:     global_buffer
      - .actual_access:  read_only
        .address_space:  global
        .offset:         40
        .size:           8
        .value_kind:     global_buffer
      - .offset:         48
        .size:           8
        .value_kind:     by_value
      - .address_space:  global
        .offset:         56
        .size:           8
        .value_kind:     global_buffer
      - .offset:         64
        .size:           4
        .value_kind:     by_value
      - .offset:         68
        .size:           1
        .value_kind:     by_value
    .group_segment_fixed_size: 0
    .kernarg_segment_align: 8
    .kernarg_segment_size: 72
    .language:       OpenCL C
    .language_version:
      - 2
      - 0
    .max_flat_workgroup_size: 128
    .name:           _ZN9rocsparseL19gebsrmvn_3xn_kernelILj128ELj7ELj16E21rocsparse_complex_numIfEEEvi20rocsparse_direction_NS_24const_host_device_scalarIT2_EEPKiS8_PKS5_SA_S6_PS5_21rocsparse_index_base_b
    .private_segment_fixed_size: 0
    .sgpr_count:     22
    .sgpr_spill_count: 0
    .symbol:         _ZN9rocsparseL19gebsrmvn_3xn_kernelILj128ELj7ELj16E21rocsparse_complex_numIfEEEvi20rocsparse_direction_NS_24const_host_device_scalarIT2_EEPKiS8_PKS5_SA_S6_PS5_21rocsparse_index_base_b.kd
    .uniform_work_group_size: 1
    .uses_dynamic_stack: false
    .vgpr_count:     82
    .vgpr_spill_count: 0
    .wavefront_size: 64
  - .agpr_count:     0
    .args:
      - .offset:         0
        .size:           4
        .value_kind:     by_value
      - .offset:         4
        .size:           4
        .value_kind:     by_value
      - .offset:         8
        .size:           8
        .value_kind:     by_value
      - .actual_access:  read_only
        .address_space:  global
        .offset:         16
        .size:           8
        .value_kind:     global_buffer
      - .actual_access:  read_only
        .address_space:  global
        .offset:         24
        .size:           8
        .value_kind:     global_buffer
      - .actual_access:  read_only
        .address_space:  global
        .offset:         32
        .size:           8
        .value_kind:     global_buffer
      - .actual_access:  read_only
        .address_space:  global
        .offset:         40
        .size:           8
        .value_kind:     global_buffer
      - .offset:         48
        .size:           8
        .value_kind:     by_value
      - .address_space:  global
        .offset:         56
        .size:           8
        .value_kind:     global_buffer
      - .offset:         64
        .size:           4
        .value_kind:     by_value
      - .offset:         68
        .size:           1
        .value_kind:     by_value
    .group_segment_fixed_size: 0
    .kernarg_segment_align: 8
    .kernarg_segment_size: 72
    .language:       OpenCL C
    .language_version:
      - 2
      - 0
    .max_flat_workgroup_size: 128
    .name:           _ZN9rocsparseL19gebsrmvn_3xn_kernelILj128ELj7ELj32E21rocsparse_complex_numIfEEEvi20rocsparse_direction_NS_24const_host_device_scalarIT2_EEPKiS8_PKS5_SA_S6_PS5_21rocsparse_index_base_b
    .private_segment_fixed_size: 0
    .sgpr_count:     22
    .sgpr_spill_count: 0
    .symbol:         _ZN9rocsparseL19gebsrmvn_3xn_kernelILj128ELj7ELj32E21rocsparse_complex_numIfEEEvi20rocsparse_direction_NS_24const_host_device_scalarIT2_EEPKiS8_PKS5_SA_S6_PS5_21rocsparse_index_base_b.kd
    .uniform_work_group_size: 1
    .uses_dynamic_stack: false
    .vgpr_count:     82
    .vgpr_spill_count: 0
    .wavefront_size: 64
  - .agpr_count:     0
    .args:
      - .offset:         0
        .size:           4
        .value_kind:     by_value
      - .offset:         4
        .size:           4
        .value_kind:     by_value
      - .offset:         8
        .size:           8
        .value_kind:     by_value
      - .actual_access:  read_only
        .address_space:  global
        .offset:         16
        .size:           8
        .value_kind:     global_buffer
      - .actual_access:  read_only
        .address_space:  global
        .offset:         24
        .size:           8
        .value_kind:     global_buffer
      - .actual_access:  read_only
        .address_space:  global
        .offset:         32
        .size:           8
        .value_kind:     global_buffer
      - .actual_access:  read_only
        .address_space:  global
        .offset:         40
        .size:           8
        .value_kind:     global_buffer
      - .offset:         48
        .size:           8
        .value_kind:     by_value
      - .address_space:  global
        .offset:         56
        .size:           8
        .value_kind:     global_buffer
      - .offset:         64
        .size:           4
        .value_kind:     by_value
      - .offset:         68
        .size:           1
        .value_kind:     by_value
    .group_segment_fixed_size: 0
    .kernarg_segment_align: 8
    .kernarg_segment_size: 72
    .language:       OpenCL C
    .language_version:
      - 2
      - 0
    .max_flat_workgroup_size: 128
    .name:           _ZN9rocsparseL19gebsrmvn_3xn_kernelILj128ELj7ELj64E21rocsparse_complex_numIfEEEvi20rocsparse_direction_NS_24const_host_device_scalarIT2_EEPKiS8_PKS5_SA_S6_PS5_21rocsparse_index_base_b
    .private_segment_fixed_size: 0
    .sgpr_count:     22
    .sgpr_spill_count: 0
    .symbol:         _ZN9rocsparseL19gebsrmvn_3xn_kernelILj128ELj7ELj64E21rocsparse_complex_numIfEEEvi20rocsparse_direction_NS_24const_host_device_scalarIT2_EEPKiS8_PKS5_SA_S6_PS5_21rocsparse_index_base_b.kd
    .uniform_work_group_size: 1
    .uses_dynamic_stack: false
    .vgpr_count:     82
    .vgpr_spill_count: 0
    .wavefront_size: 64
  - .agpr_count:     0
    .args:
      - .offset:         0
        .size:           4
        .value_kind:     by_value
      - .offset:         4
        .size:           4
        .value_kind:     by_value
      - .offset:         8
        .size:           8
        .value_kind:     by_value
      - .actual_access:  read_only
        .address_space:  global
        .offset:         16
        .size:           8
        .value_kind:     global_buffer
      - .actual_access:  read_only
        .address_space:  global
        .offset:         24
        .size:           8
        .value_kind:     global_buffer
      - .actual_access:  read_only
        .address_space:  global
        .offset:         32
        .size:           8
        .value_kind:     global_buffer
      - .actual_access:  read_only
        .address_space:  global
        .offset:         40
        .size:           8
        .value_kind:     global_buffer
      - .offset:         48
        .size:           8
        .value_kind:     by_value
      - .address_space:  global
        .offset:         56
        .size:           8
        .value_kind:     global_buffer
      - .offset:         64
        .size:           4
        .value_kind:     by_value
      - .offset:         68
        .size:           1
        .value_kind:     by_value
    .group_segment_fixed_size: 0
    .kernarg_segment_align: 8
    .kernarg_segment_size: 72
    .language:       OpenCL C
    .language_version:
      - 2
      - 0
    .max_flat_workgroup_size: 128
    .name:           _ZN9rocsparseL19gebsrmvn_3xn_kernelILj128ELj8ELj4E21rocsparse_complex_numIfEEEvi20rocsparse_direction_NS_24const_host_device_scalarIT2_EEPKiS8_PKS5_SA_S6_PS5_21rocsparse_index_base_b
    .private_segment_fixed_size: 0
    .sgpr_count:     22
    .sgpr_spill_count: 0
    .symbol:         _ZN9rocsparseL19gebsrmvn_3xn_kernelILj128ELj8ELj4E21rocsparse_complex_numIfEEEvi20rocsparse_direction_NS_24const_host_device_scalarIT2_EEPKiS8_PKS5_SA_S6_PS5_21rocsparse_index_base_b.kd
    .uniform_work_group_size: 1
    .uses_dynamic_stack: false
    .vgpr_count:     86
    .vgpr_spill_count: 0
    .wavefront_size: 64
  - .agpr_count:     0
    .args:
      - .offset:         0
        .size:           4
        .value_kind:     by_value
      - .offset:         4
        .size:           4
        .value_kind:     by_value
      - .offset:         8
        .size:           8
        .value_kind:     by_value
      - .actual_access:  read_only
        .address_space:  global
        .offset:         16
        .size:           8
        .value_kind:     global_buffer
      - .actual_access:  read_only
        .address_space:  global
        .offset:         24
        .size:           8
        .value_kind:     global_buffer
      - .actual_access:  read_only
        .address_space:  global
        .offset:         32
        .size:           8
        .value_kind:     global_buffer
      - .actual_access:  read_only
        .address_space:  global
        .offset:         40
        .size:           8
        .value_kind:     global_buffer
      - .offset:         48
        .size:           8
        .value_kind:     by_value
      - .address_space:  global
        .offset:         56
        .size:           8
        .value_kind:     global_buffer
      - .offset:         64
        .size:           4
        .value_kind:     by_value
      - .offset:         68
        .size:           1
        .value_kind:     by_value
    .group_segment_fixed_size: 0
    .kernarg_segment_align: 8
    .kernarg_segment_size: 72
    .language:       OpenCL C
    .language_version:
      - 2
      - 0
    .max_flat_workgroup_size: 128
    .name:           _ZN9rocsparseL19gebsrmvn_3xn_kernelILj128ELj8ELj8E21rocsparse_complex_numIfEEEvi20rocsparse_direction_NS_24const_host_device_scalarIT2_EEPKiS8_PKS5_SA_S6_PS5_21rocsparse_index_base_b
    .private_segment_fixed_size: 0
    .sgpr_count:     22
    .sgpr_spill_count: 0
    .symbol:         _ZN9rocsparseL19gebsrmvn_3xn_kernelILj128ELj8ELj8E21rocsparse_complex_numIfEEEvi20rocsparse_direction_NS_24const_host_device_scalarIT2_EEPKiS8_PKS5_SA_S6_PS5_21rocsparse_index_base_b.kd
    .uniform_work_group_size: 1
    .uses_dynamic_stack: false
    .vgpr_count:     86
    .vgpr_spill_count: 0
    .wavefront_size: 64
  - .agpr_count:     0
    .args:
      - .offset:         0
        .size:           4
        .value_kind:     by_value
      - .offset:         4
        .size:           4
        .value_kind:     by_value
      - .offset:         8
        .size:           8
        .value_kind:     by_value
      - .actual_access:  read_only
        .address_space:  global
        .offset:         16
        .size:           8
        .value_kind:     global_buffer
      - .actual_access:  read_only
        .address_space:  global
        .offset:         24
        .size:           8
        .value_kind:     global_buffer
      - .actual_access:  read_only
        .address_space:  global
        .offset:         32
        .size:           8
        .value_kind:     global_buffer
      - .actual_access:  read_only
        .address_space:  global
        .offset:         40
        .size:           8
        .value_kind:     global_buffer
      - .offset:         48
        .size:           8
        .value_kind:     by_value
      - .address_space:  global
        .offset:         56
        .size:           8
        .value_kind:     global_buffer
      - .offset:         64
        .size:           4
        .value_kind:     by_value
      - .offset:         68
        .size:           1
        .value_kind:     by_value
    .group_segment_fixed_size: 0
    .kernarg_segment_align: 8
    .kernarg_segment_size: 72
    .language:       OpenCL C
    .language_version:
      - 2
      - 0
    .max_flat_workgroup_size: 128
    .name:           _ZN9rocsparseL19gebsrmvn_3xn_kernelILj128ELj8ELj16E21rocsparse_complex_numIfEEEvi20rocsparse_direction_NS_24const_host_device_scalarIT2_EEPKiS8_PKS5_SA_S6_PS5_21rocsparse_index_base_b
    .private_segment_fixed_size: 0
    .sgpr_count:     22
    .sgpr_spill_count: 0
    .symbol:         _ZN9rocsparseL19gebsrmvn_3xn_kernelILj128ELj8ELj16E21rocsparse_complex_numIfEEEvi20rocsparse_direction_NS_24const_host_device_scalarIT2_EEPKiS8_PKS5_SA_S6_PS5_21rocsparse_index_base_b.kd
    .uniform_work_group_size: 1
    .uses_dynamic_stack: false
    .vgpr_count:     86
    .vgpr_spill_count: 0
    .wavefront_size: 64
  - .agpr_count:     0
    .args:
      - .offset:         0
        .size:           4
        .value_kind:     by_value
      - .offset:         4
        .size:           4
        .value_kind:     by_value
      - .offset:         8
        .size:           8
        .value_kind:     by_value
      - .actual_access:  read_only
        .address_space:  global
        .offset:         16
        .size:           8
        .value_kind:     global_buffer
      - .actual_access:  read_only
        .address_space:  global
        .offset:         24
        .size:           8
        .value_kind:     global_buffer
      - .actual_access:  read_only
        .address_space:  global
        .offset:         32
        .size:           8
        .value_kind:     global_buffer
      - .actual_access:  read_only
        .address_space:  global
        .offset:         40
        .size:           8
        .value_kind:     global_buffer
      - .offset:         48
        .size:           8
        .value_kind:     by_value
      - .address_space:  global
        .offset:         56
        .size:           8
        .value_kind:     global_buffer
      - .offset:         64
        .size:           4
        .value_kind:     by_value
      - .offset:         68
        .size:           1
        .value_kind:     by_value
    .group_segment_fixed_size: 0
    .kernarg_segment_align: 8
    .kernarg_segment_size: 72
    .language:       OpenCL C
    .language_version:
      - 2
      - 0
    .max_flat_workgroup_size: 128
    .name:           _ZN9rocsparseL19gebsrmvn_3xn_kernelILj128ELj8ELj32E21rocsparse_complex_numIfEEEvi20rocsparse_direction_NS_24const_host_device_scalarIT2_EEPKiS8_PKS5_SA_S6_PS5_21rocsparse_index_base_b
    .private_segment_fixed_size: 0
    .sgpr_count:     22
    .sgpr_spill_count: 0
    .symbol:         _ZN9rocsparseL19gebsrmvn_3xn_kernelILj128ELj8ELj32E21rocsparse_complex_numIfEEEvi20rocsparse_direction_NS_24const_host_device_scalarIT2_EEPKiS8_PKS5_SA_S6_PS5_21rocsparse_index_base_b.kd
    .uniform_work_group_size: 1
    .uses_dynamic_stack: false
    .vgpr_count:     86
    .vgpr_spill_count: 0
    .wavefront_size: 64
  - .agpr_count:     0
    .args:
      - .offset:         0
        .size:           4
        .value_kind:     by_value
      - .offset:         4
        .size:           4
        .value_kind:     by_value
      - .offset:         8
        .size:           8
        .value_kind:     by_value
      - .actual_access:  read_only
        .address_space:  global
        .offset:         16
        .size:           8
        .value_kind:     global_buffer
      - .actual_access:  read_only
        .address_space:  global
        .offset:         24
        .size:           8
        .value_kind:     global_buffer
      - .actual_access:  read_only
        .address_space:  global
        .offset:         32
        .size:           8
        .value_kind:     global_buffer
      - .actual_access:  read_only
        .address_space:  global
        .offset:         40
        .size:           8
        .value_kind:     global_buffer
      - .offset:         48
        .size:           8
        .value_kind:     by_value
      - .address_space:  global
        .offset:         56
        .size:           8
        .value_kind:     global_buffer
      - .offset:         64
        .size:           4
        .value_kind:     by_value
      - .offset:         68
        .size:           1
        .value_kind:     by_value
    .group_segment_fixed_size: 0
    .kernarg_segment_align: 8
    .kernarg_segment_size: 72
    .language:       OpenCL C
    .language_version:
      - 2
      - 0
    .max_flat_workgroup_size: 128
    .name:           _ZN9rocsparseL19gebsrmvn_3xn_kernelILj128ELj8ELj64E21rocsparse_complex_numIfEEEvi20rocsparse_direction_NS_24const_host_device_scalarIT2_EEPKiS8_PKS5_SA_S6_PS5_21rocsparse_index_base_b
    .private_segment_fixed_size: 0
    .sgpr_count:     22
    .sgpr_spill_count: 0
    .symbol:         _ZN9rocsparseL19gebsrmvn_3xn_kernelILj128ELj8ELj64E21rocsparse_complex_numIfEEEvi20rocsparse_direction_NS_24const_host_device_scalarIT2_EEPKiS8_PKS5_SA_S6_PS5_21rocsparse_index_base_b.kd
    .uniform_work_group_size: 1
    .uses_dynamic_stack: false
    .vgpr_count:     86
    .vgpr_spill_count: 0
    .wavefront_size: 64
  - .agpr_count:     0
    .args:
      - .offset:         0
        .size:           4
        .value_kind:     by_value
      - .offset:         4
        .size:           4
        .value_kind:     by_value
      - .offset:         8
        .size:           8
        .value_kind:     by_value
      - .actual_access:  read_only
        .address_space:  global
        .offset:         16
        .size:           8
        .value_kind:     global_buffer
      - .actual_access:  read_only
        .address_space:  global
        .offset:         24
        .size:           8
        .value_kind:     global_buffer
      - .actual_access:  read_only
        .address_space:  global
        .offset:         32
        .size:           8
        .value_kind:     global_buffer
      - .offset:         40
        .size:           4
        .value_kind:     by_value
      - .offset:         44
        .size:           4
        .value_kind:     by_value
      - .actual_access:  read_only
        .address_space:  global
        .offset:         48
        .size:           8
        .value_kind:     global_buffer
      - .offset:         56
        .size:           8
        .value_kind:     by_value
      - .address_space:  global
        .offset:         64
        .size:           8
        .value_kind:     global_buffer
      - .offset:         72
        .size:           4
        .value_kind:     by_value
      - .offset:         76
        .size:           1
        .value_kind:     by_value
    .group_segment_fixed_size: 0
    .kernarg_segment_align: 8
    .kernarg_segment_size: 80
    .language:       OpenCL C
    .language_version:
      - 2
      - 0
    .max_flat_workgroup_size: 48
    .name:           _ZN9rocsparseL23gebsrmvn_general_kernelILj48ELj16E21rocsparse_complex_numIfEEEvi20rocsparse_direction_NS_24const_host_device_scalarIT1_EEPKiS8_PKS5_iiSA_S6_PS5_21rocsparse_index_base_b
    .private_segment_fixed_size: 0
    .sgpr_count:     45
    .sgpr_spill_count: 0
    .symbol:         _ZN9rocsparseL23gebsrmvn_general_kernelILj48ELj16E21rocsparse_complex_numIfEEEvi20rocsparse_direction_NS_24const_host_device_scalarIT1_EEPKiS8_PKS5_iiSA_S6_PS5_21rocsparse_index_base_b.kd
    .uniform_work_group_size: 1
    .uses_dynamic_stack: false
    .vgpr_count:     24
    .vgpr_spill_count: 0
    .wavefront_size: 64
  - .agpr_count:     0
    .args:
      - .offset:         0
        .size:           4
        .value_kind:     by_value
      - .offset:         4
        .size:           4
        .value_kind:     by_value
      - .offset:         8
        .size:           8
        .value_kind:     by_value
      - .actual_access:  read_only
        .address_space:  global
        .offset:         16
        .size:           8
        .value_kind:     global_buffer
      - .actual_access:  read_only
        .address_space:  global
        .offset:         24
        .size:           8
        .value_kind:     global_buffer
      - .actual_access:  read_only
        .address_space:  global
        .offset:         32
        .size:           8
        .value_kind:     global_buffer
      - .offset:         40
        .size:           4
        .value_kind:     by_value
      - .offset:         44
        .size:           4
        .value_kind:     by_value
      - .actual_access:  read_only
        .address_space:  global
        .offset:         48
        .size:           8
        .value_kind:     global_buffer
      - .offset:         56
        .size:           8
        .value_kind:     by_value
      - .address_space:  global
        .offset:         64
        .size:           8
        .value_kind:     global_buffer
      - .offset:         72
        .size:           4
        .value_kind:     by_value
      - .offset:         76
        .size:           1
        .value_kind:     by_value
    .group_segment_fixed_size: 0
    .kernarg_segment_align: 8
    .kernarg_segment_size: 80
    .language:       OpenCL C
    .language_version:
      - 2
      - 0
    .max_flat_workgroup_size: 96
    .name:           _ZN9rocsparseL23gebsrmvn_general_kernelILj96ELj32E21rocsparse_complex_numIfEEEvi20rocsparse_direction_NS_24const_host_device_scalarIT1_EEPKiS8_PKS5_iiSA_S6_PS5_21rocsparse_index_base_b
    .private_segment_fixed_size: 0
    .sgpr_count:     45
    .sgpr_spill_count: 0
    .symbol:         _ZN9rocsparseL23gebsrmvn_general_kernelILj96ELj32E21rocsparse_complex_numIfEEEvi20rocsparse_direction_NS_24const_host_device_scalarIT1_EEPKiS8_PKS5_iiSA_S6_PS5_21rocsparse_index_base_b.kd
    .uniform_work_group_size: 1
    .uses_dynamic_stack: false
    .vgpr_count:     24
    .vgpr_spill_count: 0
    .wavefront_size: 64
  - .agpr_count:     0
    .args:
      - .offset:         0
        .size:           4
        .value_kind:     by_value
      - .offset:         4
        .size:           4
        .value_kind:     by_value
      - .offset:         8
        .size:           16
        .value_kind:     by_value
      - .actual_access:  read_only
        .address_space:  global
        .offset:         24
        .size:           8
        .value_kind:     global_buffer
      - .actual_access:  read_only
        .address_space:  global
        .offset:         32
        .size:           8
        .value_kind:     global_buffer
      - .actual_access:  read_only
        .address_space:  global
        .offset:         40
        .size:           8
        .value_kind:     global_buffer
      - .actual_access:  read_only
        .address_space:  global
        .offset:         48
        .size:           8
        .value_kind:     global_buffer
      - .offset:         56
        .size:           16
        .value_kind:     by_value
      - .address_space:  global
        .offset:         72
        .size:           8
        .value_kind:     global_buffer
      - .offset:         80
        .size:           4
        .value_kind:     by_value
      - .offset:         84
        .size:           1
        .value_kind:     by_value
    .group_segment_fixed_size: 2048
    .kernarg_segment_align: 8
    .kernarg_segment_size: 88
    .language:       OpenCL C
    .language_version:
      - 2
      - 0
    .max_flat_workgroup_size: 128
    .name:           _ZN9rocsparseL19gebsrmvn_3xn_kernelILj128ELj1ELj4E21rocsparse_complex_numIdEEEvi20rocsparse_direction_NS_24const_host_device_scalarIT2_EEPKiS8_PKS5_SA_S6_PS5_21rocsparse_index_base_b
    .private_segment_fixed_size: 0
    .sgpr_count:     26
    .sgpr_spill_count: 0
    .symbol:         _ZN9rocsparseL19gebsrmvn_3xn_kernelILj128ELj1ELj4E21rocsparse_complex_numIdEEEvi20rocsparse_direction_NS_24const_host_device_scalarIT2_EEPKiS8_PKS5_SA_S6_PS5_21rocsparse_index_base_b.kd
    .uniform_work_group_size: 1
    .uses_dynamic_stack: false
    .vgpr_count:     48
    .vgpr_spill_count: 0
    .wavefront_size: 64
  - .agpr_count:     0
    .args:
      - .offset:         0
        .size:           4
        .value_kind:     by_value
      - .offset:         4
        .size:           4
        .value_kind:     by_value
      - .offset:         8
        .size:           16
        .value_kind:     by_value
      - .actual_access:  read_only
        .address_space:  global
        .offset:         24
        .size:           8
        .value_kind:     global_buffer
      - .actual_access:  read_only
        .address_space:  global
        .offset:         32
        .size:           8
        .value_kind:     global_buffer
      - .actual_access:  read_only
        .address_space:  global
        .offset:         40
        .size:           8
        .value_kind:     global_buffer
      - .actual_access:  read_only
        .address_space:  global
        .offset:         48
        .size:           8
        .value_kind:     global_buffer
      - .offset:         56
        .size:           16
        .value_kind:     by_value
      - .address_space:  global
        .offset:         72
        .size:           8
        .value_kind:     global_buffer
      - .offset:         80
        .size:           4
        .value_kind:     by_value
      - .offset:         84
        .size:           1
        .value_kind:     by_value
    .group_segment_fixed_size: 2048
    .kernarg_segment_align: 8
    .kernarg_segment_size: 88
    .language:       OpenCL C
    .language_version:
      - 2
      - 0
    .max_flat_workgroup_size: 128
    .name:           _ZN9rocsparseL19gebsrmvn_3xn_kernelILj128ELj1ELj8E21rocsparse_complex_numIdEEEvi20rocsparse_direction_NS_24const_host_device_scalarIT2_EEPKiS8_PKS5_SA_S6_PS5_21rocsparse_index_base_b
    .private_segment_fixed_size: 0
    .sgpr_count:     26
    .sgpr_spill_count: 0
    .symbol:         _ZN9rocsparseL19gebsrmvn_3xn_kernelILj128ELj1ELj8E21rocsparse_complex_numIdEEEvi20rocsparse_direction_NS_24const_host_device_scalarIT2_EEPKiS8_PKS5_SA_S6_PS5_21rocsparse_index_base_b.kd
    .uniform_work_group_size: 1
    .uses_dynamic_stack: false
    .vgpr_count:     48
    .vgpr_spill_count: 0
    .wavefront_size: 64
  - .agpr_count:     0
    .args:
      - .offset:         0
        .size:           4
        .value_kind:     by_value
      - .offset:         4
        .size:           4
        .value_kind:     by_value
      - .offset:         8
        .size:           16
        .value_kind:     by_value
      - .actual_access:  read_only
        .address_space:  global
        .offset:         24
        .size:           8
        .value_kind:     global_buffer
      - .actual_access:  read_only
        .address_space:  global
        .offset:         32
        .size:           8
        .value_kind:     global_buffer
      - .actual_access:  read_only
        .address_space:  global
        .offset:         40
        .size:           8
        .value_kind:     global_buffer
      - .actual_access:  read_only
        .address_space:  global
        .offset:         48
        .size:           8
        .value_kind:     global_buffer
      - .offset:         56
        .size:           16
        .value_kind:     by_value
      - .address_space:  global
        .offset:         72
        .size:           8
        .value_kind:     global_buffer
      - .offset:         80
        .size:           4
        .value_kind:     by_value
      - .offset:         84
        .size:           1
        .value_kind:     by_value
    .group_segment_fixed_size: 2048
    .kernarg_segment_align: 8
    .kernarg_segment_size: 88
    .language:       OpenCL C
    .language_version:
      - 2
      - 0
    .max_flat_workgroup_size: 128
    .name:           _ZN9rocsparseL19gebsrmvn_3xn_kernelILj128ELj1ELj16E21rocsparse_complex_numIdEEEvi20rocsparse_direction_NS_24const_host_device_scalarIT2_EEPKiS8_PKS5_SA_S6_PS5_21rocsparse_index_base_b
    .private_segment_fixed_size: 0
    .sgpr_count:     26
    .sgpr_spill_count: 0
    .symbol:         _ZN9rocsparseL19gebsrmvn_3xn_kernelILj128ELj1ELj16E21rocsparse_complex_numIdEEEvi20rocsparse_direction_NS_24const_host_device_scalarIT2_EEPKiS8_PKS5_SA_S6_PS5_21rocsparse_index_base_b.kd
    .uniform_work_group_size: 1
    .uses_dynamic_stack: false
    .vgpr_count:     48
    .vgpr_spill_count: 0
    .wavefront_size: 64
  - .agpr_count:     0
    .args:
      - .offset:         0
        .size:           4
        .value_kind:     by_value
      - .offset:         4
        .size:           4
        .value_kind:     by_value
      - .offset:         8
        .size:           16
        .value_kind:     by_value
      - .actual_access:  read_only
        .address_space:  global
        .offset:         24
        .size:           8
        .value_kind:     global_buffer
      - .actual_access:  read_only
        .address_space:  global
        .offset:         32
        .size:           8
        .value_kind:     global_buffer
      - .actual_access:  read_only
        .address_space:  global
        .offset:         40
        .size:           8
        .value_kind:     global_buffer
      - .actual_access:  read_only
        .address_space:  global
        .offset:         48
        .size:           8
        .value_kind:     global_buffer
      - .offset:         56
        .size:           16
        .value_kind:     by_value
      - .address_space:  global
        .offset:         72
        .size:           8
        .value_kind:     global_buffer
      - .offset:         80
        .size:           4
        .value_kind:     by_value
      - .offset:         84
        .size:           1
        .value_kind:     by_value
    .group_segment_fixed_size: 2048
    .kernarg_segment_align: 8
    .kernarg_segment_size: 88
    .language:       OpenCL C
    .language_version:
      - 2
      - 0
    .max_flat_workgroup_size: 128
    .name:           _ZN9rocsparseL19gebsrmvn_3xn_kernelILj128ELj1ELj32E21rocsparse_complex_numIdEEEvi20rocsparse_direction_NS_24const_host_device_scalarIT2_EEPKiS8_PKS5_SA_S6_PS5_21rocsparse_index_base_b
    .private_segment_fixed_size: 0
    .sgpr_count:     26
    .sgpr_spill_count: 0
    .symbol:         _ZN9rocsparseL19gebsrmvn_3xn_kernelILj128ELj1ELj32E21rocsparse_complex_numIdEEEvi20rocsparse_direction_NS_24const_host_device_scalarIT2_EEPKiS8_PKS5_SA_S6_PS5_21rocsparse_index_base_b.kd
    .uniform_work_group_size: 1
    .uses_dynamic_stack: false
    .vgpr_count:     48
    .vgpr_spill_count: 0
    .wavefront_size: 64
  - .agpr_count:     0
    .args:
      - .offset:         0
        .size:           4
        .value_kind:     by_value
      - .offset:         4
        .size:           4
        .value_kind:     by_value
      - .offset:         8
        .size:           16
        .value_kind:     by_value
      - .actual_access:  read_only
        .address_space:  global
        .offset:         24
        .size:           8
        .value_kind:     global_buffer
      - .actual_access:  read_only
        .address_space:  global
        .offset:         32
        .size:           8
        .value_kind:     global_buffer
      - .actual_access:  read_only
        .address_space:  global
        .offset:         40
        .size:           8
        .value_kind:     global_buffer
      - .actual_access:  read_only
        .address_space:  global
        .offset:         48
        .size:           8
        .value_kind:     global_buffer
      - .offset:         56
        .size:           16
        .value_kind:     by_value
      - .address_space:  global
        .offset:         72
        .size:           8
        .value_kind:     global_buffer
      - .offset:         80
        .size:           4
        .value_kind:     by_value
      - .offset:         84
        .size:           1
        .value_kind:     by_value
    .group_segment_fixed_size: 2048
    .kernarg_segment_align: 8
    .kernarg_segment_size: 88
    .language:       OpenCL C
    .language_version:
      - 2
      - 0
    .max_flat_workgroup_size: 128
    .name:           _ZN9rocsparseL19gebsrmvn_3xn_kernelILj128ELj1ELj64E21rocsparse_complex_numIdEEEvi20rocsparse_direction_NS_24const_host_device_scalarIT2_EEPKiS8_PKS5_SA_S6_PS5_21rocsparse_index_base_b
    .private_segment_fixed_size: 0
    .sgpr_count:     26
    .sgpr_spill_count: 0
    .symbol:         _ZN9rocsparseL19gebsrmvn_3xn_kernelILj128ELj1ELj64E21rocsparse_complex_numIdEEEvi20rocsparse_direction_NS_24const_host_device_scalarIT2_EEPKiS8_PKS5_SA_S6_PS5_21rocsparse_index_base_b.kd
    .uniform_work_group_size: 1
    .uses_dynamic_stack: false
    .vgpr_count:     48
    .vgpr_spill_count: 0
    .wavefront_size: 64
  - .agpr_count:     0
    .args:
      - .offset:         0
        .size:           4
        .value_kind:     by_value
      - .offset:         4
        .size:           4
        .value_kind:     by_value
      - .offset:         8
        .size:           16
        .value_kind:     by_value
      - .actual_access:  read_only
        .address_space:  global
        .offset:         24
        .size:           8
        .value_kind:     global_buffer
      - .actual_access:  read_only
        .address_space:  global
        .offset:         32
        .size:           8
        .value_kind:     global_buffer
      - .actual_access:  read_only
        .address_space:  global
        .offset:         40
        .size:           8
        .value_kind:     global_buffer
      - .actual_access:  read_only
        .address_space:  global
        .offset:         48
        .size:           8
        .value_kind:     global_buffer
      - .offset:         56
        .size:           16
        .value_kind:     by_value
      - .address_space:  global
        .offset:         72
        .size:           8
        .value_kind:     global_buffer
      - .offset:         80
        .size:           4
        .value_kind:     by_value
      - .offset:         84
        .size:           1
        .value_kind:     by_value
    .group_segment_fixed_size: 2048
    .kernarg_segment_align: 8
    .kernarg_segment_size: 88
    .language:       OpenCL C
    .language_version:
      - 2
      - 0
    .max_flat_workgroup_size: 128
    .name:           _ZN9rocsparseL19gebsrmvn_3xn_kernelILj128ELj2ELj4E21rocsparse_complex_numIdEEEvi20rocsparse_direction_NS_24const_host_device_scalarIT2_EEPKiS8_PKS5_SA_S6_PS5_21rocsparse_index_base_b
    .private_segment_fixed_size: 0
    .sgpr_count:     26
    .sgpr_spill_count: 0
    .symbol:         _ZN9rocsparseL19gebsrmvn_3xn_kernelILj128ELj2ELj4E21rocsparse_complex_numIdEEEvi20rocsparse_direction_NS_24const_host_device_scalarIT2_EEPKiS8_PKS5_SA_S6_PS5_21rocsparse_index_base_b.kd
    .uniform_work_group_size: 1
    .uses_dynamic_stack: false
    .vgpr_count:     68
    .vgpr_spill_count: 0
    .wavefront_size: 64
  - .agpr_count:     0
    .args:
      - .offset:         0
        .size:           4
        .value_kind:     by_value
      - .offset:         4
        .size:           4
        .value_kind:     by_value
      - .offset:         8
        .size:           16
        .value_kind:     by_value
      - .actual_access:  read_only
        .address_space:  global
        .offset:         24
        .size:           8
        .value_kind:     global_buffer
      - .actual_access:  read_only
        .address_space:  global
        .offset:         32
        .size:           8
        .value_kind:     global_buffer
      - .actual_access:  read_only
        .address_space:  global
        .offset:         40
        .size:           8
        .value_kind:     global_buffer
      - .actual_access:  read_only
        .address_space:  global
        .offset:         48
        .size:           8
        .value_kind:     global_buffer
      - .offset:         56
        .size:           16
        .value_kind:     by_value
      - .address_space:  global
        .offset:         72
        .size:           8
        .value_kind:     global_buffer
      - .offset:         80
        .size:           4
        .value_kind:     by_value
      - .offset:         84
        .size:           1
        .value_kind:     by_value
    .group_segment_fixed_size: 2048
    .kernarg_segment_align: 8
    .kernarg_segment_size: 88
    .language:       OpenCL C
    .language_version:
      - 2
      - 0
    .max_flat_workgroup_size: 128
    .name:           _ZN9rocsparseL19gebsrmvn_3xn_kernelILj128ELj2ELj8E21rocsparse_complex_numIdEEEvi20rocsparse_direction_NS_24const_host_device_scalarIT2_EEPKiS8_PKS5_SA_S6_PS5_21rocsparse_index_base_b
    .private_segment_fixed_size: 0
    .sgpr_count:     26
    .sgpr_spill_count: 0
    .symbol:         _ZN9rocsparseL19gebsrmvn_3xn_kernelILj128ELj2ELj8E21rocsparse_complex_numIdEEEvi20rocsparse_direction_NS_24const_host_device_scalarIT2_EEPKiS8_PKS5_SA_S6_PS5_21rocsparse_index_base_b.kd
    .uniform_work_group_size: 1
    .uses_dynamic_stack: false
    .vgpr_count:     68
    .vgpr_spill_count: 0
    .wavefront_size: 64
  - .agpr_count:     0
    .args:
      - .offset:         0
        .size:           4
        .value_kind:     by_value
      - .offset:         4
        .size:           4
        .value_kind:     by_value
      - .offset:         8
        .size:           16
        .value_kind:     by_value
      - .actual_access:  read_only
        .address_space:  global
        .offset:         24
        .size:           8
        .value_kind:     global_buffer
      - .actual_access:  read_only
        .address_space:  global
        .offset:         32
        .size:           8
        .value_kind:     global_buffer
      - .actual_access:  read_only
        .address_space:  global
        .offset:         40
        .size:           8
        .value_kind:     global_buffer
      - .actual_access:  read_only
        .address_space:  global
        .offset:         48
        .size:           8
        .value_kind:     global_buffer
      - .offset:         56
        .size:           16
        .value_kind:     by_value
      - .address_space:  global
        .offset:         72
        .size:           8
        .value_kind:     global_buffer
      - .offset:         80
        .size:           4
        .value_kind:     by_value
      - .offset:         84
        .size:           1
        .value_kind:     by_value
    .group_segment_fixed_size: 2048
    .kernarg_segment_align: 8
    .kernarg_segment_size: 88
    .language:       OpenCL C
    .language_version:
      - 2
      - 0
    .max_flat_workgroup_size: 128
    .name:           _ZN9rocsparseL19gebsrmvn_3xn_kernelILj128ELj2ELj16E21rocsparse_complex_numIdEEEvi20rocsparse_direction_NS_24const_host_device_scalarIT2_EEPKiS8_PKS5_SA_S6_PS5_21rocsparse_index_base_b
    .private_segment_fixed_size: 0
    .sgpr_count:     26
    .sgpr_spill_count: 0
    .symbol:         _ZN9rocsparseL19gebsrmvn_3xn_kernelILj128ELj2ELj16E21rocsparse_complex_numIdEEEvi20rocsparse_direction_NS_24const_host_device_scalarIT2_EEPKiS8_PKS5_SA_S6_PS5_21rocsparse_index_base_b.kd
    .uniform_work_group_size: 1
    .uses_dynamic_stack: false
    .vgpr_count:     68
    .vgpr_spill_count: 0
    .wavefront_size: 64
  - .agpr_count:     0
    .args:
      - .offset:         0
        .size:           4
        .value_kind:     by_value
      - .offset:         4
        .size:           4
        .value_kind:     by_value
      - .offset:         8
        .size:           16
        .value_kind:     by_value
      - .actual_access:  read_only
        .address_space:  global
        .offset:         24
        .size:           8
        .value_kind:     global_buffer
      - .actual_access:  read_only
        .address_space:  global
        .offset:         32
        .size:           8
        .value_kind:     global_buffer
      - .actual_access:  read_only
        .address_space:  global
        .offset:         40
        .size:           8
        .value_kind:     global_buffer
      - .actual_access:  read_only
        .address_space:  global
        .offset:         48
        .size:           8
        .value_kind:     global_buffer
      - .offset:         56
        .size:           16
        .value_kind:     by_value
      - .address_space:  global
        .offset:         72
        .size:           8
        .value_kind:     global_buffer
      - .offset:         80
        .size:           4
        .value_kind:     by_value
      - .offset:         84
        .size:           1
        .value_kind:     by_value
    .group_segment_fixed_size: 2048
    .kernarg_segment_align: 8
    .kernarg_segment_size: 88
    .language:       OpenCL C
    .language_version:
      - 2
      - 0
    .max_flat_workgroup_size: 128
    .name:           _ZN9rocsparseL19gebsrmvn_3xn_kernelILj128ELj2ELj32E21rocsparse_complex_numIdEEEvi20rocsparse_direction_NS_24const_host_device_scalarIT2_EEPKiS8_PKS5_SA_S6_PS5_21rocsparse_index_base_b
    .private_segment_fixed_size: 0
    .sgpr_count:     26
    .sgpr_spill_count: 0
    .symbol:         _ZN9rocsparseL19gebsrmvn_3xn_kernelILj128ELj2ELj32E21rocsparse_complex_numIdEEEvi20rocsparse_direction_NS_24const_host_device_scalarIT2_EEPKiS8_PKS5_SA_S6_PS5_21rocsparse_index_base_b.kd
    .uniform_work_group_size: 1
    .uses_dynamic_stack: false
    .vgpr_count:     68
    .vgpr_spill_count: 0
    .wavefront_size: 64
  - .agpr_count:     0
    .args:
      - .offset:         0
        .size:           4
        .value_kind:     by_value
      - .offset:         4
        .size:           4
        .value_kind:     by_value
      - .offset:         8
        .size:           16
        .value_kind:     by_value
      - .actual_access:  read_only
        .address_space:  global
        .offset:         24
        .size:           8
        .value_kind:     global_buffer
      - .actual_access:  read_only
        .address_space:  global
        .offset:         32
        .size:           8
        .value_kind:     global_buffer
      - .actual_access:  read_only
        .address_space:  global
        .offset:         40
        .size:           8
        .value_kind:     global_buffer
      - .actual_access:  read_only
        .address_space:  global
        .offset:         48
        .size:           8
        .value_kind:     global_buffer
      - .offset:         56
        .size:           16
        .value_kind:     by_value
      - .address_space:  global
        .offset:         72
        .size:           8
        .value_kind:     global_buffer
      - .offset:         80
        .size:           4
        .value_kind:     by_value
      - .offset:         84
        .size:           1
        .value_kind:     by_value
    .group_segment_fixed_size: 2048
    .kernarg_segment_align: 8
    .kernarg_segment_size: 88
    .language:       OpenCL C
    .language_version:
      - 2
      - 0
    .max_flat_workgroup_size: 128
    .name:           _ZN9rocsparseL19gebsrmvn_3xn_kernelILj128ELj2ELj64E21rocsparse_complex_numIdEEEvi20rocsparse_direction_NS_24const_host_device_scalarIT2_EEPKiS8_PKS5_SA_S6_PS5_21rocsparse_index_base_b
    .private_segment_fixed_size: 0
    .sgpr_count:     26
    .sgpr_spill_count: 0
    .symbol:         _ZN9rocsparseL19gebsrmvn_3xn_kernelILj128ELj2ELj64E21rocsparse_complex_numIdEEEvi20rocsparse_direction_NS_24const_host_device_scalarIT2_EEPKiS8_PKS5_SA_S6_PS5_21rocsparse_index_base_b.kd
    .uniform_work_group_size: 1
    .uses_dynamic_stack: false
    .vgpr_count:     68
    .vgpr_spill_count: 0
    .wavefront_size: 64
  - .agpr_count:     0
    .args:
      - .offset:         0
        .size:           4
        .value_kind:     by_value
      - .offset:         4
        .size:           4
        .value_kind:     by_value
      - .offset:         8
        .size:           16
        .value_kind:     by_value
      - .actual_access:  read_only
        .address_space:  global
        .offset:         24
        .size:           8
        .value_kind:     global_buffer
      - .actual_access:  read_only
        .address_space:  global
        .offset:         32
        .size:           8
        .value_kind:     global_buffer
      - .actual_access:  read_only
        .address_space:  global
        .offset:         40
        .size:           8
        .value_kind:     global_buffer
      - .actual_access:  read_only
        .address_space:  global
        .offset:         48
        .size:           8
        .value_kind:     global_buffer
      - .offset:         56
        .size:           16
        .value_kind:     by_value
      - .address_space:  global
        .offset:         72
        .size:           8
        .value_kind:     global_buffer
      - .offset:         80
        .size:           4
        .value_kind:     by_value
      - .offset:         84
        .size:           1
        .value_kind:     by_value
    .group_segment_fixed_size: 2048
    .kernarg_segment_align: 8
    .kernarg_segment_size: 88
    .language:       OpenCL C
    .language_version:
      - 2
      - 0
    .max_flat_workgroup_size: 128
    .name:           _ZN9rocsparseL19gebsrmvn_3xn_kernelILj128ELj4ELj4E21rocsparse_complex_numIdEEEvi20rocsparse_direction_NS_24const_host_device_scalarIT2_EEPKiS8_PKS5_SA_S6_PS5_21rocsparse_index_base_b
    .private_segment_fixed_size: 0
    .sgpr_count:     26
    .sgpr_spill_count: 0
    .symbol:         _ZN9rocsparseL19gebsrmvn_3xn_kernelILj128ELj4ELj4E21rocsparse_complex_numIdEEEvi20rocsparse_direction_NS_24const_host_device_scalarIT2_EEPKiS8_PKS5_SA_S6_PS5_21rocsparse_index_base_b.kd
    .uniform_work_group_size: 1
    .uses_dynamic_stack: false
    .vgpr_count:     90
    .vgpr_spill_count: 0
    .wavefront_size: 64
  - .agpr_count:     0
    .args:
      - .offset:         0
        .size:           4
        .value_kind:     by_value
      - .offset:         4
        .size:           4
        .value_kind:     by_value
      - .offset:         8
        .size:           16
        .value_kind:     by_value
      - .actual_access:  read_only
        .address_space:  global
        .offset:         24
        .size:           8
        .value_kind:     global_buffer
      - .actual_access:  read_only
        .address_space:  global
        .offset:         32
        .size:           8
        .value_kind:     global_buffer
      - .actual_access:  read_only
        .address_space:  global
        .offset:         40
        .size:           8
        .value_kind:     global_buffer
      - .actual_access:  read_only
        .address_space:  global
        .offset:         48
        .size:           8
        .value_kind:     global_buffer
      - .offset:         56
        .size:           16
        .value_kind:     by_value
      - .address_space:  global
        .offset:         72
        .size:           8
        .value_kind:     global_buffer
      - .offset:         80
        .size:           4
        .value_kind:     by_value
      - .offset:         84
        .size:           1
        .value_kind:     by_value
    .group_segment_fixed_size: 2048
    .kernarg_segment_align: 8
    .kernarg_segment_size: 88
    .language:       OpenCL C
    .language_version:
      - 2
      - 0
    .max_flat_workgroup_size: 128
    .name:           _ZN9rocsparseL19gebsrmvn_3xn_kernelILj128ELj4ELj8E21rocsparse_complex_numIdEEEvi20rocsparse_direction_NS_24const_host_device_scalarIT2_EEPKiS8_PKS5_SA_S6_PS5_21rocsparse_index_base_b
    .private_segment_fixed_size: 0
    .sgpr_count:     26
    .sgpr_spill_count: 0
    .symbol:         _ZN9rocsparseL19gebsrmvn_3xn_kernelILj128ELj4ELj8E21rocsparse_complex_numIdEEEvi20rocsparse_direction_NS_24const_host_device_scalarIT2_EEPKiS8_PKS5_SA_S6_PS5_21rocsparse_index_base_b.kd
    .uniform_work_group_size: 1
    .uses_dynamic_stack: false
    .vgpr_count:     90
    .vgpr_spill_count: 0
    .wavefront_size: 64
  - .agpr_count:     0
    .args:
      - .offset:         0
        .size:           4
        .value_kind:     by_value
      - .offset:         4
        .size:           4
        .value_kind:     by_value
      - .offset:         8
        .size:           16
        .value_kind:     by_value
      - .actual_access:  read_only
        .address_space:  global
        .offset:         24
        .size:           8
        .value_kind:     global_buffer
      - .actual_access:  read_only
        .address_space:  global
        .offset:         32
        .size:           8
        .value_kind:     global_buffer
      - .actual_access:  read_only
        .address_space:  global
        .offset:         40
        .size:           8
        .value_kind:     global_buffer
      - .actual_access:  read_only
        .address_space:  global
        .offset:         48
        .size:           8
        .value_kind:     global_buffer
      - .offset:         56
        .size:           16
        .value_kind:     by_value
      - .address_space:  global
        .offset:         72
        .size:           8
        .value_kind:     global_buffer
      - .offset:         80
        .size:           4
        .value_kind:     by_value
      - .offset:         84
        .size:           1
        .value_kind:     by_value
    .group_segment_fixed_size: 2048
    .kernarg_segment_align: 8
    .kernarg_segment_size: 88
    .language:       OpenCL C
    .language_version:
      - 2
      - 0
    .max_flat_workgroup_size: 128
    .name:           _ZN9rocsparseL19gebsrmvn_3xn_kernelILj128ELj4ELj16E21rocsparse_complex_numIdEEEvi20rocsparse_direction_NS_24const_host_device_scalarIT2_EEPKiS8_PKS5_SA_S6_PS5_21rocsparse_index_base_b
    .private_segment_fixed_size: 0
    .sgpr_count:     26
    .sgpr_spill_count: 0
    .symbol:         _ZN9rocsparseL19gebsrmvn_3xn_kernelILj128ELj4ELj16E21rocsparse_complex_numIdEEEvi20rocsparse_direction_NS_24const_host_device_scalarIT2_EEPKiS8_PKS5_SA_S6_PS5_21rocsparse_index_base_b.kd
    .uniform_work_group_size: 1
    .uses_dynamic_stack: false
    .vgpr_count:     90
    .vgpr_spill_count: 0
    .wavefront_size: 64
  - .agpr_count:     0
    .args:
      - .offset:         0
        .size:           4
        .value_kind:     by_value
      - .offset:         4
        .size:           4
        .value_kind:     by_value
      - .offset:         8
        .size:           16
        .value_kind:     by_value
      - .actual_access:  read_only
        .address_space:  global
        .offset:         24
        .size:           8
        .value_kind:     global_buffer
      - .actual_access:  read_only
        .address_space:  global
        .offset:         32
        .size:           8
        .value_kind:     global_buffer
      - .actual_access:  read_only
        .address_space:  global
        .offset:         40
        .size:           8
        .value_kind:     global_buffer
      - .actual_access:  read_only
        .address_space:  global
        .offset:         48
        .size:           8
        .value_kind:     global_buffer
      - .offset:         56
        .size:           16
        .value_kind:     by_value
      - .address_space:  global
        .offset:         72
        .size:           8
        .value_kind:     global_buffer
      - .offset:         80
        .size:           4
        .value_kind:     by_value
      - .offset:         84
        .size:           1
        .value_kind:     by_value
    .group_segment_fixed_size: 2048
    .kernarg_segment_align: 8
    .kernarg_segment_size: 88
    .language:       OpenCL C
    .language_version:
      - 2
      - 0
    .max_flat_workgroup_size: 128
    .name:           _ZN9rocsparseL19gebsrmvn_3xn_kernelILj128ELj4ELj32E21rocsparse_complex_numIdEEEvi20rocsparse_direction_NS_24const_host_device_scalarIT2_EEPKiS8_PKS5_SA_S6_PS5_21rocsparse_index_base_b
    .private_segment_fixed_size: 0
    .sgpr_count:     26
    .sgpr_spill_count: 0
    .symbol:         _ZN9rocsparseL19gebsrmvn_3xn_kernelILj128ELj4ELj32E21rocsparse_complex_numIdEEEvi20rocsparse_direction_NS_24const_host_device_scalarIT2_EEPKiS8_PKS5_SA_S6_PS5_21rocsparse_index_base_b.kd
    .uniform_work_group_size: 1
    .uses_dynamic_stack: false
    .vgpr_count:     90
    .vgpr_spill_count: 0
    .wavefront_size: 64
  - .agpr_count:     0
    .args:
      - .offset:         0
        .size:           4
        .value_kind:     by_value
      - .offset:         4
        .size:           4
        .value_kind:     by_value
      - .offset:         8
        .size:           16
        .value_kind:     by_value
      - .actual_access:  read_only
        .address_space:  global
        .offset:         24
        .size:           8
        .value_kind:     global_buffer
      - .actual_access:  read_only
        .address_space:  global
        .offset:         32
        .size:           8
        .value_kind:     global_buffer
      - .actual_access:  read_only
        .address_space:  global
        .offset:         40
        .size:           8
        .value_kind:     global_buffer
      - .actual_access:  read_only
        .address_space:  global
        .offset:         48
        .size:           8
        .value_kind:     global_buffer
      - .offset:         56
        .size:           16
        .value_kind:     by_value
      - .address_space:  global
        .offset:         72
        .size:           8
        .value_kind:     global_buffer
      - .offset:         80
        .size:           4
        .value_kind:     by_value
      - .offset:         84
        .size:           1
        .value_kind:     by_value
    .group_segment_fixed_size: 2048
    .kernarg_segment_align: 8
    .kernarg_segment_size: 88
    .language:       OpenCL C
    .language_version:
      - 2
      - 0
    .max_flat_workgroup_size: 128
    .name:           _ZN9rocsparseL19gebsrmvn_3xn_kernelILj128ELj4ELj64E21rocsparse_complex_numIdEEEvi20rocsparse_direction_NS_24const_host_device_scalarIT2_EEPKiS8_PKS5_SA_S6_PS5_21rocsparse_index_base_b
    .private_segment_fixed_size: 0
    .sgpr_count:     26
    .sgpr_spill_count: 0
    .symbol:         _ZN9rocsparseL19gebsrmvn_3xn_kernelILj128ELj4ELj64E21rocsparse_complex_numIdEEEvi20rocsparse_direction_NS_24const_host_device_scalarIT2_EEPKiS8_PKS5_SA_S6_PS5_21rocsparse_index_base_b.kd
    .uniform_work_group_size: 1
    .uses_dynamic_stack: false
    .vgpr_count:     90
    .vgpr_spill_count: 0
    .wavefront_size: 64
  - .agpr_count:     0
    .args:
      - .offset:         0
        .size:           4
        .value_kind:     by_value
      - .offset:         4
        .size:           4
        .value_kind:     by_value
      - .offset:         8
        .size:           16
        .value_kind:     by_value
      - .actual_access:  read_only
        .address_space:  global
        .offset:         24
        .size:           8
        .value_kind:     global_buffer
      - .actual_access:  read_only
        .address_space:  global
        .offset:         32
        .size:           8
        .value_kind:     global_buffer
      - .actual_access:  read_only
        .address_space:  global
        .offset:         40
        .size:           8
        .value_kind:     global_buffer
      - .actual_access:  read_only
        .address_space:  global
        .offset:         48
        .size:           8
        .value_kind:     global_buffer
      - .offset:         56
        .size:           16
        .value_kind:     by_value
      - .address_space:  global
        .offset:         72
        .size:           8
        .value_kind:     global_buffer
      - .offset:         80
        .size:           4
        .value_kind:     by_value
      - .offset:         84
        .size:           1
        .value_kind:     by_value
    .group_segment_fixed_size: 2048
    .kernarg_segment_align: 8
    .kernarg_segment_size: 88
    .language:       OpenCL C
    .language_version:
      - 2
      - 0
    .max_flat_workgroup_size: 128
    .name:           _ZN9rocsparseL19gebsrmvn_3xn_kernelILj128ELj5ELj4E21rocsparse_complex_numIdEEEvi20rocsparse_direction_NS_24const_host_device_scalarIT2_EEPKiS8_PKS5_SA_S6_PS5_21rocsparse_index_base_b
    .private_segment_fixed_size: 0
    .sgpr_count:     26
    .sgpr_spill_count: 0
    .symbol:         _ZN9rocsparseL19gebsrmvn_3xn_kernelILj128ELj5ELj4E21rocsparse_complex_numIdEEEvi20rocsparse_direction_NS_24const_host_device_scalarIT2_EEPKiS8_PKS5_SA_S6_PS5_21rocsparse_index_base_b.kd
    .uniform_work_group_size: 1
    .uses_dynamic_stack: false
    .vgpr_count:     92
    .vgpr_spill_count: 0
    .wavefront_size: 64
  - .agpr_count:     0
    .args:
      - .offset:         0
        .size:           4
        .value_kind:     by_value
      - .offset:         4
        .size:           4
        .value_kind:     by_value
      - .offset:         8
        .size:           16
        .value_kind:     by_value
      - .actual_access:  read_only
        .address_space:  global
        .offset:         24
        .size:           8
        .value_kind:     global_buffer
      - .actual_access:  read_only
        .address_space:  global
        .offset:         32
        .size:           8
        .value_kind:     global_buffer
      - .actual_access:  read_only
        .address_space:  global
        .offset:         40
        .size:           8
        .value_kind:     global_buffer
      - .actual_access:  read_only
        .address_space:  global
        .offset:         48
        .size:           8
        .value_kind:     global_buffer
      - .offset:         56
        .size:           16
        .value_kind:     by_value
      - .address_space:  global
        .offset:         72
        .size:           8
        .value_kind:     global_buffer
      - .offset:         80
        .size:           4
        .value_kind:     by_value
      - .offset:         84
        .size:           1
        .value_kind:     by_value
    .group_segment_fixed_size: 2048
    .kernarg_segment_align: 8
    .kernarg_segment_size: 88
    .language:       OpenCL C
    .language_version:
      - 2
      - 0
    .max_flat_workgroup_size: 128
    .name:           _ZN9rocsparseL19gebsrmvn_3xn_kernelILj128ELj5ELj8E21rocsparse_complex_numIdEEEvi20rocsparse_direction_NS_24const_host_device_scalarIT2_EEPKiS8_PKS5_SA_S6_PS5_21rocsparse_index_base_b
    .private_segment_fixed_size: 0
    .sgpr_count:     26
    .sgpr_spill_count: 0
    .symbol:         _ZN9rocsparseL19gebsrmvn_3xn_kernelILj128ELj5ELj8E21rocsparse_complex_numIdEEEvi20rocsparse_direction_NS_24const_host_device_scalarIT2_EEPKiS8_PKS5_SA_S6_PS5_21rocsparse_index_base_b.kd
    .uniform_work_group_size: 1
    .uses_dynamic_stack: false
    .vgpr_count:     92
    .vgpr_spill_count: 0
    .wavefront_size: 64
  - .agpr_count:     0
    .args:
      - .offset:         0
        .size:           4
        .value_kind:     by_value
      - .offset:         4
        .size:           4
        .value_kind:     by_value
      - .offset:         8
        .size:           16
        .value_kind:     by_value
      - .actual_access:  read_only
        .address_space:  global
        .offset:         24
        .size:           8
        .value_kind:     global_buffer
      - .actual_access:  read_only
        .address_space:  global
        .offset:         32
        .size:           8
        .value_kind:     global_buffer
      - .actual_access:  read_only
        .address_space:  global
        .offset:         40
        .size:           8
        .value_kind:     global_buffer
      - .actual_access:  read_only
        .address_space:  global
        .offset:         48
        .size:           8
        .value_kind:     global_buffer
      - .offset:         56
        .size:           16
        .value_kind:     by_value
      - .address_space:  global
        .offset:         72
        .size:           8
        .value_kind:     global_buffer
      - .offset:         80
        .size:           4
        .value_kind:     by_value
      - .offset:         84
        .size:           1
        .value_kind:     by_value
    .group_segment_fixed_size: 2048
    .kernarg_segment_align: 8
    .kernarg_segment_size: 88
    .language:       OpenCL C
    .language_version:
      - 2
      - 0
    .max_flat_workgroup_size: 128
    .name:           _ZN9rocsparseL19gebsrmvn_3xn_kernelILj128ELj5ELj16E21rocsparse_complex_numIdEEEvi20rocsparse_direction_NS_24const_host_device_scalarIT2_EEPKiS8_PKS5_SA_S6_PS5_21rocsparse_index_base_b
    .private_segment_fixed_size: 0
    .sgpr_count:     26
    .sgpr_spill_count: 0
    .symbol:         _ZN9rocsparseL19gebsrmvn_3xn_kernelILj128ELj5ELj16E21rocsparse_complex_numIdEEEvi20rocsparse_direction_NS_24const_host_device_scalarIT2_EEPKiS8_PKS5_SA_S6_PS5_21rocsparse_index_base_b.kd
    .uniform_work_group_size: 1
    .uses_dynamic_stack: false
    .vgpr_count:     92
    .vgpr_spill_count: 0
    .wavefront_size: 64
  - .agpr_count:     0
    .args:
      - .offset:         0
        .size:           4
        .value_kind:     by_value
      - .offset:         4
        .size:           4
        .value_kind:     by_value
      - .offset:         8
        .size:           16
        .value_kind:     by_value
      - .actual_access:  read_only
        .address_space:  global
        .offset:         24
        .size:           8
        .value_kind:     global_buffer
      - .actual_access:  read_only
        .address_space:  global
        .offset:         32
        .size:           8
        .value_kind:     global_buffer
      - .actual_access:  read_only
        .address_space:  global
        .offset:         40
        .size:           8
        .value_kind:     global_buffer
      - .actual_access:  read_only
        .address_space:  global
        .offset:         48
        .size:           8
        .value_kind:     global_buffer
      - .offset:         56
        .size:           16
        .value_kind:     by_value
      - .address_space:  global
        .offset:         72
        .size:           8
        .value_kind:     global_buffer
      - .offset:         80
        .size:           4
        .value_kind:     by_value
      - .offset:         84
        .size:           1
        .value_kind:     by_value
    .group_segment_fixed_size: 2048
    .kernarg_segment_align: 8
    .kernarg_segment_size: 88
    .language:       OpenCL C
    .language_version:
      - 2
      - 0
    .max_flat_workgroup_size: 128
    .name:           _ZN9rocsparseL19gebsrmvn_3xn_kernelILj128ELj5ELj32E21rocsparse_complex_numIdEEEvi20rocsparse_direction_NS_24const_host_device_scalarIT2_EEPKiS8_PKS5_SA_S6_PS5_21rocsparse_index_base_b
    .private_segment_fixed_size: 0
    .sgpr_count:     26
    .sgpr_spill_count: 0
    .symbol:         _ZN9rocsparseL19gebsrmvn_3xn_kernelILj128ELj5ELj32E21rocsparse_complex_numIdEEEvi20rocsparse_direction_NS_24const_host_device_scalarIT2_EEPKiS8_PKS5_SA_S6_PS5_21rocsparse_index_base_b.kd
    .uniform_work_group_size: 1
    .uses_dynamic_stack: false
    .vgpr_count:     92
    .vgpr_spill_count: 0
    .wavefront_size: 64
  - .agpr_count:     0
    .args:
      - .offset:         0
        .size:           4
        .value_kind:     by_value
      - .offset:         4
        .size:           4
        .value_kind:     by_value
      - .offset:         8
        .size:           16
        .value_kind:     by_value
      - .actual_access:  read_only
        .address_space:  global
        .offset:         24
        .size:           8
        .value_kind:     global_buffer
      - .actual_access:  read_only
        .address_space:  global
        .offset:         32
        .size:           8
        .value_kind:     global_buffer
      - .actual_access:  read_only
        .address_space:  global
        .offset:         40
        .size:           8
        .value_kind:     global_buffer
      - .actual_access:  read_only
        .address_space:  global
        .offset:         48
        .size:           8
        .value_kind:     global_buffer
      - .offset:         56
        .size:           16
        .value_kind:     by_value
      - .address_space:  global
        .offset:         72
        .size:           8
        .value_kind:     global_buffer
      - .offset:         80
        .size:           4
        .value_kind:     by_value
      - .offset:         84
        .size:           1
        .value_kind:     by_value
    .group_segment_fixed_size: 2048
    .kernarg_segment_align: 8
    .kernarg_segment_size: 88
    .language:       OpenCL C
    .language_version:
      - 2
      - 0
    .max_flat_workgroup_size: 128
    .name:           _ZN9rocsparseL19gebsrmvn_3xn_kernelILj128ELj5ELj64E21rocsparse_complex_numIdEEEvi20rocsparse_direction_NS_24const_host_device_scalarIT2_EEPKiS8_PKS5_SA_S6_PS5_21rocsparse_index_base_b
    .private_segment_fixed_size: 0
    .sgpr_count:     26
    .sgpr_spill_count: 0
    .symbol:         _ZN9rocsparseL19gebsrmvn_3xn_kernelILj128ELj5ELj64E21rocsparse_complex_numIdEEEvi20rocsparse_direction_NS_24const_host_device_scalarIT2_EEPKiS8_PKS5_SA_S6_PS5_21rocsparse_index_base_b.kd
    .uniform_work_group_size: 1
    .uses_dynamic_stack: false
    .vgpr_count:     92
    .vgpr_spill_count: 0
    .wavefront_size: 64
  - .agpr_count:     0
    .args:
      - .offset:         0
        .size:           4
        .value_kind:     by_value
      - .offset:         4
        .size:           4
        .value_kind:     by_value
      - .offset:         8
        .size:           16
        .value_kind:     by_value
      - .actual_access:  read_only
        .address_space:  global
        .offset:         24
        .size:           8
        .value_kind:     global_buffer
      - .actual_access:  read_only
        .address_space:  global
        .offset:         32
        .size:           8
        .value_kind:     global_buffer
      - .actual_access:  read_only
        .address_space:  global
        .offset:         40
        .size:           8
        .value_kind:     global_buffer
      - .actual_access:  read_only
        .address_space:  global
        .offset:         48
        .size:           8
        .value_kind:     global_buffer
      - .offset:         56
        .size:           16
        .value_kind:     by_value
      - .address_space:  global
        .offset:         72
        .size:           8
        .value_kind:     global_buffer
      - .offset:         80
        .size:           4
        .value_kind:     by_value
      - .offset:         84
        .size:           1
        .value_kind:     by_value
    .group_segment_fixed_size: 2048
    .kernarg_segment_align: 8
    .kernarg_segment_size: 88
    .language:       OpenCL C
    .language_version:
      - 2
      - 0
    .max_flat_workgroup_size: 128
    .name:           _ZN9rocsparseL19gebsrmvn_3xn_kernelILj128ELj6ELj4E21rocsparse_complex_numIdEEEvi20rocsparse_direction_NS_24const_host_device_scalarIT2_EEPKiS8_PKS5_SA_S6_PS5_21rocsparse_index_base_b
    .private_segment_fixed_size: 0
    .sgpr_count:     26
    .sgpr_spill_count: 0
    .symbol:         _ZN9rocsparseL19gebsrmvn_3xn_kernelILj128ELj6ELj4E21rocsparse_complex_numIdEEEvi20rocsparse_direction_NS_24const_host_device_scalarIT2_EEPKiS8_PKS5_SA_S6_PS5_21rocsparse_index_base_b.kd
    .uniform_work_group_size: 1
    .uses_dynamic_stack: false
    .vgpr_count:     92
    .vgpr_spill_count: 0
    .wavefront_size: 64
  - .agpr_count:     0
    .args:
      - .offset:         0
        .size:           4
        .value_kind:     by_value
      - .offset:         4
        .size:           4
        .value_kind:     by_value
      - .offset:         8
        .size:           16
        .value_kind:     by_value
      - .actual_access:  read_only
        .address_space:  global
        .offset:         24
        .size:           8
        .value_kind:     global_buffer
      - .actual_access:  read_only
        .address_space:  global
        .offset:         32
        .size:           8
        .value_kind:     global_buffer
      - .actual_access:  read_only
        .address_space:  global
        .offset:         40
        .size:           8
        .value_kind:     global_buffer
      - .actual_access:  read_only
        .address_space:  global
        .offset:         48
        .size:           8
        .value_kind:     global_buffer
      - .offset:         56
        .size:           16
        .value_kind:     by_value
      - .address_space:  global
        .offset:         72
        .size:           8
        .value_kind:     global_buffer
      - .offset:         80
        .size:           4
        .value_kind:     by_value
      - .offset:         84
        .size:           1
        .value_kind:     by_value
    .group_segment_fixed_size: 2048
    .kernarg_segment_align: 8
    .kernarg_segment_size: 88
    .language:       OpenCL C
    .language_version:
      - 2
      - 0
    .max_flat_workgroup_size: 128
    .name:           _ZN9rocsparseL19gebsrmvn_3xn_kernelILj128ELj6ELj8E21rocsparse_complex_numIdEEEvi20rocsparse_direction_NS_24const_host_device_scalarIT2_EEPKiS8_PKS5_SA_S6_PS5_21rocsparse_index_base_b
    .private_segment_fixed_size: 0
    .sgpr_count:     26
    .sgpr_spill_count: 0
    .symbol:         _ZN9rocsparseL19gebsrmvn_3xn_kernelILj128ELj6ELj8E21rocsparse_complex_numIdEEEvi20rocsparse_direction_NS_24const_host_device_scalarIT2_EEPKiS8_PKS5_SA_S6_PS5_21rocsparse_index_base_b.kd
    .uniform_work_group_size: 1
    .uses_dynamic_stack: false
    .vgpr_count:     92
    .vgpr_spill_count: 0
    .wavefront_size: 64
  - .agpr_count:     0
    .args:
      - .offset:         0
        .size:           4
        .value_kind:     by_value
      - .offset:         4
        .size:           4
        .value_kind:     by_value
      - .offset:         8
        .size:           16
        .value_kind:     by_value
      - .actual_access:  read_only
        .address_space:  global
        .offset:         24
        .size:           8
        .value_kind:     global_buffer
      - .actual_access:  read_only
        .address_space:  global
        .offset:         32
        .size:           8
        .value_kind:     global_buffer
      - .actual_access:  read_only
        .address_space:  global
        .offset:         40
        .size:           8
        .value_kind:     global_buffer
      - .actual_access:  read_only
        .address_space:  global
        .offset:         48
        .size:           8
        .value_kind:     global_buffer
      - .offset:         56
        .size:           16
        .value_kind:     by_value
      - .address_space:  global
        .offset:         72
        .size:           8
        .value_kind:     global_buffer
      - .offset:         80
        .size:           4
        .value_kind:     by_value
      - .offset:         84
        .size:           1
        .value_kind:     by_value
    .group_segment_fixed_size: 2048
    .kernarg_segment_align: 8
    .kernarg_segment_size: 88
    .language:       OpenCL C
    .language_version:
      - 2
      - 0
    .max_flat_workgroup_size: 128
    .name:           _ZN9rocsparseL19gebsrmvn_3xn_kernelILj128ELj6ELj16E21rocsparse_complex_numIdEEEvi20rocsparse_direction_NS_24const_host_device_scalarIT2_EEPKiS8_PKS5_SA_S6_PS5_21rocsparse_index_base_b
    .private_segment_fixed_size: 0
    .sgpr_count:     26
    .sgpr_spill_count: 0
    .symbol:         _ZN9rocsparseL19gebsrmvn_3xn_kernelILj128ELj6ELj16E21rocsparse_complex_numIdEEEvi20rocsparse_direction_NS_24const_host_device_scalarIT2_EEPKiS8_PKS5_SA_S6_PS5_21rocsparse_index_base_b.kd
    .uniform_work_group_size: 1
    .uses_dynamic_stack: false
    .vgpr_count:     92
    .vgpr_spill_count: 0
    .wavefront_size: 64
  - .agpr_count:     0
    .args:
      - .offset:         0
        .size:           4
        .value_kind:     by_value
      - .offset:         4
        .size:           4
        .value_kind:     by_value
      - .offset:         8
        .size:           16
        .value_kind:     by_value
      - .actual_access:  read_only
        .address_space:  global
        .offset:         24
        .size:           8
        .value_kind:     global_buffer
      - .actual_access:  read_only
        .address_space:  global
        .offset:         32
        .size:           8
        .value_kind:     global_buffer
      - .actual_access:  read_only
        .address_space:  global
        .offset:         40
        .size:           8
        .value_kind:     global_buffer
      - .actual_access:  read_only
        .address_space:  global
        .offset:         48
        .size:           8
        .value_kind:     global_buffer
      - .offset:         56
        .size:           16
        .value_kind:     by_value
      - .address_space:  global
        .offset:         72
        .size:           8
        .value_kind:     global_buffer
      - .offset:         80
        .size:           4
        .value_kind:     by_value
      - .offset:         84
        .size:           1
        .value_kind:     by_value
    .group_segment_fixed_size: 2048
    .kernarg_segment_align: 8
    .kernarg_segment_size: 88
    .language:       OpenCL C
    .language_version:
      - 2
      - 0
    .max_flat_workgroup_size: 128
    .name:           _ZN9rocsparseL19gebsrmvn_3xn_kernelILj128ELj6ELj32E21rocsparse_complex_numIdEEEvi20rocsparse_direction_NS_24const_host_device_scalarIT2_EEPKiS8_PKS5_SA_S6_PS5_21rocsparse_index_base_b
    .private_segment_fixed_size: 0
    .sgpr_count:     26
    .sgpr_spill_count: 0
    .symbol:         _ZN9rocsparseL19gebsrmvn_3xn_kernelILj128ELj6ELj32E21rocsparse_complex_numIdEEEvi20rocsparse_direction_NS_24const_host_device_scalarIT2_EEPKiS8_PKS5_SA_S6_PS5_21rocsparse_index_base_b.kd
    .uniform_work_group_size: 1
    .uses_dynamic_stack: false
    .vgpr_count:     92
    .vgpr_spill_count: 0
    .wavefront_size: 64
  - .agpr_count:     0
    .args:
      - .offset:         0
        .size:           4
        .value_kind:     by_value
      - .offset:         4
        .size:           4
        .value_kind:     by_value
      - .offset:         8
        .size:           16
        .value_kind:     by_value
      - .actual_access:  read_only
        .address_space:  global
        .offset:         24
        .size:           8
        .value_kind:     global_buffer
      - .actual_access:  read_only
        .address_space:  global
        .offset:         32
        .size:           8
        .value_kind:     global_buffer
      - .actual_access:  read_only
        .address_space:  global
        .offset:         40
        .size:           8
        .value_kind:     global_buffer
      - .actual_access:  read_only
        .address_space:  global
        .offset:         48
        .size:           8
        .value_kind:     global_buffer
      - .offset:         56
        .size:           16
        .value_kind:     by_value
      - .address_space:  global
        .offset:         72
        .size:           8
        .value_kind:     global_buffer
      - .offset:         80
        .size:           4
        .value_kind:     by_value
      - .offset:         84
        .size:           1
        .value_kind:     by_value
    .group_segment_fixed_size: 2048
    .kernarg_segment_align: 8
    .kernarg_segment_size: 88
    .language:       OpenCL C
    .language_version:
      - 2
      - 0
    .max_flat_workgroup_size: 128
    .name:           _ZN9rocsparseL19gebsrmvn_3xn_kernelILj128ELj6ELj64E21rocsparse_complex_numIdEEEvi20rocsparse_direction_NS_24const_host_device_scalarIT2_EEPKiS8_PKS5_SA_S6_PS5_21rocsparse_index_base_b
    .private_segment_fixed_size: 0
    .sgpr_count:     26
    .sgpr_spill_count: 0
    .symbol:         _ZN9rocsparseL19gebsrmvn_3xn_kernelILj128ELj6ELj64E21rocsparse_complex_numIdEEEvi20rocsparse_direction_NS_24const_host_device_scalarIT2_EEPKiS8_PKS5_SA_S6_PS5_21rocsparse_index_base_b.kd
    .uniform_work_group_size: 1
    .uses_dynamic_stack: false
    .vgpr_count:     92
    .vgpr_spill_count: 0
    .wavefront_size: 64
  - .agpr_count:     0
    .args:
      - .offset:         0
        .size:           4
        .value_kind:     by_value
      - .offset:         4
        .size:           4
        .value_kind:     by_value
      - .offset:         8
        .size:           16
        .value_kind:     by_value
      - .actual_access:  read_only
        .address_space:  global
        .offset:         24
        .size:           8
        .value_kind:     global_buffer
      - .actual_access:  read_only
        .address_space:  global
        .offset:         32
        .size:           8
        .value_kind:     global_buffer
      - .actual_access:  read_only
        .address_space:  global
        .offset:         40
        .size:           8
        .value_kind:     global_buffer
      - .actual_access:  read_only
        .address_space:  global
        .offset:         48
        .size:           8
        .value_kind:     global_buffer
      - .offset:         56
        .size:           16
        .value_kind:     by_value
      - .address_space:  global
        .offset:         72
        .size:           8
        .value_kind:     global_buffer
      - .offset:         80
        .size:           4
        .value_kind:     by_value
      - .offset:         84
        .size:           1
        .value_kind:     by_value
    .group_segment_fixed_size: 2048
    .kernarg_segment_align: 8
    .kernarg_segment_size: 88
    .language:       OpenCL C
    .language_version:
      - 2
      - 0
    .max_flat_workgroup_size: 128
    .name:           _ZN9rocsparseL19gebsrmvn_3xn_kernelILj128ELj7ELj4E21rocsparse_complex_numIdEEEvi20rocsparse_direction_NS_24const_host_device_scalarIT2_EEPKiS8_PKS5_SA_S6_PS5_21rocsparse_index_base_b
    .private_segment_fixed_size: 0
    .sgpr_count:     26
    .sgpr_spill_count: 0
    .symbol:         _ZN9rocsparseL19gebsrmvn_3xn_kernelILj128ELj7ELj4E21rocsparse_complex_numIdEEEvi20rocsparse_direction_NS_24const_host_device_scalarIT2_EEPKiS8_PKS5_SA_S6_PS5_21rocsparse_index_base_b.kd
    .uniform_work_group_size: 1
    .uses_dynamic_stack: false
    .vgpr_count:     92
    .vgpr_spill_count: 0
    .wavefront_size: 64
  - .agpr_count:     0
    .args:
      - .offset:         0
        .size:           4
        .value_kind:     by_value
      - .offset:         4
        .size:           4
        .value_kind:     by_value
      - .offset:         8
        .size:           16
        .value_kind:     by_value
      - .actual_access:  read_only
        .address_space:  global
        .offset:         24
        .size:           8
        .value_kind:     global_buffer
      - .actual_access:  read_only
        .address_space:  global
        .offset:         32
        .size:           8
        .value_kind:     global_buffer
      - .actual_access:  read_only
        .address_space:  global
        .offset:         40
        .size:           8
        .value_kind:     global_buffer
      - .actual_access:  read_only
        .address_space:  global
        .offset:         48
        .size:           8
        .value_kind:     global_buffer
      - .offset:         56
        .size:           16
        .value_kind:     by_value
      - .address_space:  global
        .offset:         72
        .size:           8
        .value_kind:     global_buffer
      - .offset:         80
        .size:           4
        .value_kind:     by_value
      - .offset:         84
        .size:           1
        .value_kind:     by_value
    .group_segment_fixed_size: 2048
    .kernarg_segment_align: 8
    .kernarg_segment_size: 88
    .language:       OpenCL C
    .language_version:
      - 2
      - 0
    .max_flat_workgroup_size: 128
    .name:           _ZN9rocsparseL19gebsrmvn_3xn_kernelILj128ELj7ELj8E21rocsparse_complex_numIdEEEvi20rocsparse_direction_NS_24const_host_device_scalarIT2_EEPKiS8_PKS5_SA_S6_PS5_21rocsparse_index_base_b
    .private_segment_fixed_size: 0
    .sgpr_count:     26
    .sgpr_spill_count: 0
    .symbol:         _ZN9rocsparseL19gebsrmvn_3xn_kernelILj128ELj7ELj8E21rocsparse_complex_numIdEEEvi20rocsparse_direction_NS_24const_host_device_scalarIT2_EEPKiS8_PKS5_SA_S6_PS5_21rocsparse_index_base_b.kd
    .uniform_work_group_size: 1
    .uses_dynamic_stack: false
    .vgpr_count:     92
    .vgpr_spill_count: 0
    .wavefront_size: 64
  - .agpr_count:     0
    .args:
      - .offset:         0
        .size:           4
        .value_kind:     by_value
      - .offset:         4
        .size:           4
        .value_kind:     by_value
      - .offset:         8
        .size:           16
        .value_kind:     by_value
      - .actual_access:  read_only
        .address_space:  global
        .offset:         24
        .size:           8
        .value_kind:     global_buffer
      - .actual_access:  read_only
        .address_space:  global
        .offset:         32
        .size:           8
        .value_kind:     global_buffer
      - .actual_access:  read_only
        .address_space:  global
        .offset:         40
        .size:           8
        .value_kind:     global_buffer
      - .actual_access:  read_only
        .address_space:  global
        .offset:         48
        .size:           8
        .value_kind:     global_buffer
      - .offset:         56
        .size:           16
        .value_kind:     by_value
      - .address_space:  global
        .offset:         72
        .size:           8
        .value_kind:     global_buffer
      - .offset:         80
        .size:           4
        .value_kind:     by_value
      - .offset:         84
        .size:           1
        .value_kind:     by_value
    .group_segment_fixed_size: 2048
    .kernarg_segment_align: 8
    .kernarg_segment_size: 88
    .language:       OpenCL C
    .language_version:
      - 2
      - 0
    .max_flat_workgroup_size: 128
    .name:           _ZN9rocsparseL19gebsrmvn_3xn_kernelILj128ELj7ELj16E21rocsparse_complex_numIdEEEvi20rocsparse_direction_NS_24const_host_device_scalarIT2_EEPKiS8_PKS5_SA_S6_PS5_21rocsparse_index_base_b
    .private_segment_fixed_size: 0
    .sgpr_count:     26
    .sgpr_spill_count: 0
    .symbol:         _ZN9rocsparseL19gebsrmvn_3xn_kernelILj128ELj7ELj16E21rocsparse_complex_numIdEEEvi20rocsparse_direction_NS_24const_host_device_scalarIT2_EEPKiS8_PKS5_SA_S6_PS5_21rocsparse_index_base_b.kd
    .uniform_work_group_size: 1
    .uses_dynamic_stack: false
    .vgpr_count:     92
    .vgpr_spill_count: 0
    .wavefront_size: 64
  - .agpr_count:     0
    .args:
      - .offset:         0
        .size:           4
        .value_kind:     by_value
      - .offset:         4
        .size:           4
        .value_kind:     by_value
      - .offset:         8
        .size:           16
        .value_kind:     by_value
      - .actual_access:  read_only
        .address_space:  global
        .offset:         24
        .size:           8
        .value_kind:     global_buffer
      - .actual_access:  read_only
        .address_space:  global
        .offset:         32
        .size:           8
        .value_kind:     global_buffer
      - .actual_access:  read_only
        .address_space:  global
        .offset:         40
        .size:           8
        .value_kind:     global_buffer
      - .actual_access:  read_only
        .address_space:  global
        .offset:         48
        .size:           8
        .value_kind:     global_buffer
      - .offset:         56
        .size:           16
        .value_kind:     by_value
      - .address_space:  global
        .offset:         72
        .size:           8
        .value_kind:     global_buffer
      - .offset:         80
        .size:           4
        .value_kind:     by_value
      - .offset:         84
        .size:           1
        .value_kind:     by_value
    .group_segment_fixed_size: 2048
    .kernarg_segment_align: 8
    .kernarg_segment_size: 88
    .language:       OpenCL C
    .language_version:
      - 2
      - 0
    .max_flat_workgroup_size: 128
    .name:           _ZN9rocsparseL19gebsrmvn_3xn_kernelILj128ELj7ELj32E21rocsparse_complex_numIdEEEvi20rocsparse_direction_NS_24const_host_device_scalarIT2_EEPKiS8_PKS5_SA_S6_PS5_21rocsparse_index_base_b
    .private_segment_fixed_size: 0
    .sgpr_count:     26
    .sgpr_spill_count: 0
    .symbol:         _ZN9rocsparseL19gebsrmvn_3xn_kernelILj128ELj7ELj32E21rocsparse_complex_numIdEEEvi20rocsparse_direction_NS_24const_host_device_scalarIT2_EEPKiS8_PKS5_SA_S6_PS5_21rocsparse_index_base_b.kd
    .uniform_work_group_size: 1
    .uses_dynamic_stack: false
    .vgpr_count:     92
    .vgpr_spill_count: 0
    .wavefront_size: 64
  - .agpr_count:     0
    .args:
      - .offset:         0
        .size:           4
        .value_kind:     by_value
      - .offset:         4
        .size:           4
        .value_kind:     by_value
      - .offset:         8
        .size:           16
        .value_kind:     by_value
      - .actual_access:  read_only
        .address_space:  global
        .offset:         24
        .size:           8
        .value_kind:     global_buffer
      - .actual_access:  read_only
        .address_space:  global
        .offset:         32
        .size:           8
        .value_kind:     global_buffer
      - .actual_access:  read_only
        .address_space:  global
        .offset:         40
        .size:           8
        .value_kind:     global_buffer
      - .actual_access:  read_only
        .address_space:  global
        .offset:         48
        .size:           8
        .value_kind:     global_buffer
      - .offset:         56
        .size:           16
        .value_kind:     by_value
      - .address_space:  global
        .offset:         72
        .size:           8
        .value_kind:     global_buffer
      - .offset:         80
        .size:           4
        .value_kind:     by_value
      - .offset:         84
        .size:           1
        .value_kind:     by_value
    .group_segment_fixed_size: 2048
    .kernarg_segment_align: 8
    .kernarg_segment_size: 88
    .language:       OpenCL C
    .language_version:
      - 2
      - 0
    .max_flat_workgroup_size: 128
    .name:           _ZN9rocsparseL19gebsrmvn_3xn_kernelILj128ELj7ELj64E21rocsparse_complex_numIdEEEvi20rocsparse_direction_NS_24const_host_device_scalarIT2_EEPKiS8_PKS5_SA_S6_PS5_21rocsparse_index_base_b
    .private_segment_fixed_size: 0
    .sgpr_count:     26
    .sgpr_spill_count: 0
    .symbol:         _ZN9rocsparseL19gebsrmvn_3xn_kernelILj128ELj7ELj64E21rocsparse_complex_numIdEEEvi20rocsparse_direction_NS_24const_host_device_scalarIT2_EEPKiS8_PKS5_SA_S6_PS5_21rocsparse_index_base_b.kd
    .uniform_work_group_size: 1
    .uses_dynamic_stack: false
    .vgpr_count:     92
    .vgpr_spill_count: 0
    .wavefront_size: 64
  - .agpr_count:     0
    .args:
      - .offset:         0
        .size:           4
        .value_kind:     by_value
      - .offset:         4
        .size:           4
        .value_kind:     by_value
      - .offset:         8
        .size:           16
        .value_kind:     by_value
      - .actual_access:  read_only
        .address_space:  global
        .offset:         24
        .size:           8
        .value_kind:     global_buffer
      - .actual_access:  read_only
        .address_space:  global
        .offset:         32
        .size:           8
        .value_kind:     global_buffer
      - .actual_access:  read_only
        .address_space:  global
        .offset:         40
        .size:           8
        .value_kind:     global_buffer
      - .actual_access:  read_only
        .address_space:  global
        .offset:         48
        .size:           8
        .value_kind:     global_buffer
      - .offset:         56
        .size:           16
        .value_kind:     by_value
      - .address_space:  global
        .offset:         72
        .size:           8
        .value_kind:     global_buffer
      - .offset:         80
        .size:           4
        .value_kind:     by_value
      - .offset:         84
        .size:           1
        .value_kind:     by_value
    .group_segment_fixed_size: 2048
    .kernarg_segment_align: 8
    .kernarg_segment_size: 88
    .language:       OpenCL C
    .language_version:
      - 2
      - 0
    .max_flat_workgroup_size: 128
    .name:           _ZN9rocsparseL19gebsrmvn_3xn_kernelILj128ELj8ELj4E21rocsparse_complex_numIdEEEvi20rocsparse_direction_NS_24const_host_device_scalarIT2_EEPKiS8_PKS5_SA_S6_PS5_21rocsparse_index_base_b
    .private_segment_fixed_size: 0
    .sgpr_count:     26
    .sgpr_spill_count: 0
    .symbol:         _ZN9rocsparseL19gebsrmvn_3xn_kernelILj128ELj8ELj4E21rocsparse_complex_numIdEEEvi20rocsparse_direction_NS_24const_host_device_scalarIT2_EEPKiS8_PKS5_SA_S6_PS5_21rocsparse_index_base_b.kd
    .uniform_work_group_size: 1
    .uses_dynamic_stack: false
    .vgpr_count:     92
    .vgpr_spill_count: 0
    .wavefront_size: 64
  - .agpr_count:     0
    .args:
      - .offset:         0
        .size:           4
        .value_kind:     by_value
      - .offset:         4
        .size:           4
        .value_kind:     by_value
      - .offset:         8
        .size:           16
        .value_kind:     by_value
      - .actual_access:  read_only
        .address_space:  global
        .offset:         24
        .size:           8
        .value_kind:     global_buffer
      - .actual_access:  read_only
        .address_space:  global
        .offset:         32
        .size:           8
        .value_kind:     global_buffer
      - .actual_access:  read_only
        .address_space:  global
        .offset:         40
        .size:           8
        .value_kind:     global_buffer
      - .actual_access:  read_only
        .address_space:  global
        .offset:         48
        .size:           8
        .value_kind:     global_buffer
      - .offset:         56
        .size:           16
        .value_kind:     by_value
      - .address_space:  global
        .offset:         72
        .size:           8
        .value_kind:     global_buffer
      - .offset:         80
        .size:           4
        .value_kind:     by_value
      - .offset:         84
        .size:           1
        .value_kind:     by_value
    .group_segment_fixed_size: 2048
    .kernarg_segment_align: 8
    .kernarg_segment_size: 88
    .language:       OpenCL C
    .language_version:
      - 2
      - 0
    .max_flat_workgroup_size: 128
    .name:           _ZN9rocsparseL19gebsrmvn_3xn_kernelILj128ELj8ELj8E21rocsparse_complex_numIdEEEvi20rocsparse_direction_NS_24const_host_device_scalarIT2_EEPKiS8_PKS5_SA_S6_PS5_21rocsparse_index_base_b
    .private_segment_fixed_size: 0
    .sgpr_count:     26
    .sgpr_spill_count: 0
    .symbol:         _ZN9rocsparseL19gebsrmvn_3xn_kernelILj128ELj8ELj8E21rocsparse_complex_numIdEEEvi20rocsparse_direction_NS_24const_host_device_scalarIT2_EEPKiS8_PKS5_SA_S6_PS5_21rocsparse_index_base_b.kd
    .uniform_work_group_size: 1
    .uses_dynamic_stack: false
    .vgpr_count:     92
    .vgpr_spill_count: 0
    .wavefront_size: 64
  - .agpr_count:     0
    .args:
      - .offset:         0
        .size:           4
        .value_kind:     by_value
      - .offset:         4
        .size:           4
        .value_kind:     by_value
      - .offset:         8
        .size:           16
        .value_kind:     by_value
      - .actual_access:  read_only
        .address_space:  global
        .offset:         24
        .size:           8
        .value_kind:     global_buffer
      - .actual_access:  read_only
        .address_space:  global
        .offset:         32
        .size:           8
        .value_kind:     global_buffer
      - .actual_access:  read_only
        .address_space:  global
        .offset:         40
        .size:           8
        .value_kind:     global_buffer
      - .actual_access:  read_only
        .address_space:  global
        .offset:         48
        .size:           8
        .value_kind:     global_buffer
      - .offset:         56
        .size:           16
        .value_kind:     by_value
      - .address_space:  global
        .offset:         72
        .size:           8
        .value_kind:     global_buffer
      - .offset:         80
        .size:           4
        .value_kind:     by_value
      - .offset:         84
        .size:           1
        .value_kind:     by_value
    .group_segment_fixed_size: 2048
    .kernarg_segment_align: 8
    .kernarg_segment_size: 88
    .language:       OpenCL C
    .language_version:
      - 2
      - 0
    .max_flat_workgroup_size: 128
    .name:           _ZN9rocsparseL19gebsrmvn_3xn_kernelILj128ELj8ELj16E21rocsparse_complex_numIdEEEvi20rocsparse_direction_NS_24const_host_device_scalarIT2_EEPKiS8_PKS5_SA_S6_PS5_21rocsparse_index_base_b
    .private_segment_fixed_size: 0
    .sgpr_count:     26
    .sgpr_spill_count: 0
    .symbol:         _ZN9rocsparseL19gebsrmvn_3xn_kernelILj128ELj8ELj16E21rocsparse_complex_numIdEEEvi20rocsparse_direction_NS_24const_host_device_scalarIT2_EEPKiS8_PKS5_SA_S6_PS5_21rocsparse_index_base_b.kd
    .uniform_work_group_size: 1
    .uses_dynamic_stack: false
    .vgpr_count:     92
    .vgpr_spill_count: 0
    .wavefront_size: 64
  - .agpr_count:     0
    .args:
      - .offset:         0
        .size:           4
        .value_kind:     by_value
      - .offset:         4
        .size:           4
        .value_kind:     by_value
      - .offset:         8
        .size:           16
        .value_kind:     by_value
      - .actual_access:  read_only
        .address_space:  global
        .offset:         24
        .size:           8
        .value_kind:     global_buffer
      - .actual_access:  read_only
        .address_space:  global
        .offset:         32
        .size:           8
        .value_kind:     global_buffer
      - .actual_access:  read_only
        .address_space:  global
        .offset:         40
        .size:           8
        .value_kind:     global_buffer
      - .actual_access:  read_only
        .address_space:  global
        .offset:         48
        .size:           8
        .value_kind:     global_buffer
      - .offset:         56
        .size:           16
        .value_kind:     by_value
      - .address_space:  global
        .offset:         72
        .size:           8
        .value_kind:     global_buffer
      - .offset:         80
        .size:           4
        .value_kind:     by_value
      - .offset:         84
        .size:           1
        .value_kind:     by_value
    .group_segment_fixed_size: 2048
    .kernarg_segment_align: 8
    .kernarg_segment_size: 88
    .language:       OpenCL C
    .language_version:
      - 2
      - 0
    .max_flat_workgroup_size: 128
    .name:           _ZN9rocsparseL19gebsrmvn_3xn_kernelILj128ELj8ELj32E21rocsparse_complex_numIdEEEvi20rocsparse_direction_NS_24const_host_device_scalarIT2_EEPKiS8_PKS5_SA_S6_PS5_21rocsparse_index_base_b
    .private_segment_fixed_size: 0
    .sgpr_count:     26
    .sgpr_spill_count: 0
    .symbol:         _ZN9rocsparseL19gebsrmvn_3xn_kernelILj128ELj8ELj32E21rocsparse_complex_numIdEEEvi20rocsparse_direction_NS_24const_host_device_scalarIT2_EEPKiS8_PKS5_SA_S6_PS5_21rocsparse_index_base_b.kd
    .uniform_work_group_size: 1
    .uses_dynamic_stack: false
    .vgpr_count:     92
    .vgpr_spill_count: 0
    .wavefront_size: 64
  - .agpr_count:     0
    .args:
      - .offset:         0
        .size:           4
        .value_kind:     by_value
      - .offset:         4
        .size:           4
        .value_kind:     by_value
      - .offset:         8
        .size:           16
        .value_kind:     by_value
      - .actual_access:  read_only
        .address_space:  global
        .offset:         24
        .size:           8
        .value_kind:     global_buffer
      - .actual_access:  read_only
        .address_space:  global
        .offset:         32
        .size:           8
        .value_kind:     global_buffer
      - .actual_access:  read_only
        .address_space:  global
        .offset:         40
        .size:           8
        .value_kind:     global_buffer
      - .actual_access:  read_only
        .address_space:  global
        .offset:         48
        .size:           8
        .value_kind:     global_buffer
      - .offset:         56
        .size:           16
        .value_kind:     by_value
      - .address_space:  global
        .offset:         72
        .size:           8
        .value_kind:     global_buffer
      - .offset:         80
        .size:           4
        .value_kind:     by_value
      - .offset:         84
        .size:           1
        .value_kind:     by_value
    .group_segment_fixed_size: 2048
    .kernarg_segment_align: 8
    .kernarg_segment_size: 88
    .language:       OpenCL C
    .language_version:
      - 2
      - 0
    .max_flat_workgroup_size: 128
    .name:           _ZN9rocsparseL19gebsrmvn_3xn_kernelILj128ELj8ELj64E21rocsparse_complex_numIdEEEvi20rocsparse_direction_NS_24const_host_device_scalarIT2_EEPKiS8_PKS5_SA_S6_PS5_21rocsparse_index_base_b
    .private_segment_fixed_size: 0
    .sgpr_count:     26
    .sgpr_spill_count: 0
    .symbol:         _ZN9rocsparseL19gebsrmvn_3xn_kernelILj128ELj8ELj64E21rocsparse_complex_numIdEEEvi20rocsparse_direction_NS_24const_host_device_scalarIT2_EEPKiS8_PKS5_SA_S6_PS5_21rocsparse_index_base_b.kd
    .uniform_work_group_size: 1
    .uses_dynamic_stack: false
    .vgpr_count:     92
    .vgpr_spill_count: 0
    .wavefront_size: 64
  - .agpr_count:     0
    .args:
      - .offset:         0
        .size:           4
        .value_kind:     by_value
      - .offset:         4
        .size:           4
        .value_kind:     by_value
      - .offset:         8
        .size:           16
        .value_kind:     by_value
      - .actual_access:  read_only
        .address_space:  global
        .offset:         24
        .size:           8
        .value_kind:     global_buffer
      - .actual_access:  read_only
        .address_space:  global
        .offset:         32
        .size:           8
        .value_kind:     global_buffer
      - .actual_access:  read_only
        .address_space:  global
        .offset:         40
        .size:           8
        .value_kind:     global_buffer
      - .offset:         48
        .size:           4
        .value_kind:     by_value
      - .offset:         52
        .size:           4
        .value_kind:     by_value
      - .actual_access:  read_only
        .address_space:  global
        .offset:         56
        .size:           8
        .value_kind:     global_buffer
      - .offset:         64
        .size:           16
        .value_kind:     by_value
      - .address_space:  global
        .offset:         80
        .size:           8
        .value_kind:     global_buffer
      - .offset:         88
        .size:           4
        .value_kind:     by_value
      - .offset:         92
        .size:           1
        .value_kind:     by_value
    .group_segment_fixed_size: 768
    .kernarg_segment_align: 8
    .kernarg_segment_size: 96
    .language:       OpenCL C
    .language_version:
      - 2
      - 0
    .max_flat_workgroup_size: 48
    .name:           _ZN9rocsparseL23gebsrmvn_general_kernelILj48ELj16E21rocsparse_complex_numIdEEEvi20rocsparse_direction_NS_24const_host_device_scalarIT1_EEPKiS8_PKS5_iiSA_S6_PS5_21rocsparse_index_base_b
    .private_segment_fixed_size: 0
    .sgpr_count:     44
    .sgpr_spill_count: 0
    .symbol:         _ZN9rocsparseL23gebsrmvn_general_kernelILj48ELj16E21rocsparse_complex_numIdEEEvi20rocsparse_direction_NS_24const_host_device_scalarIT1_EEPKiS8_PKS5_iiSA_S6_PS5_21rocsparse_index_base_b.kd
    .uniform_work_group_size: 1
    .uses_dynamic_stack: false
    .vgpr_count:     28
    .vgpr_spill_count: 0
    .wavefront_size: 64
  - .agpr_count:     0
    .args:
      - .offset:         0
        .size:           4
        .value_kind:     by_value
      - .offset:         4
        .size:           4
        .value_kind:     by_value
      - .offset:         8
        .size:           16
        .value_kind:     by_value
      - .actual_access:  read_only
        .address_space:  global
        .offset:         24
        .size:           8
        .value_kind:     global_buffer
      - .actual_access:  read_only
        .address_space:  global
        .offset:         32
        .size:           8
        .value_kind:     global_buffer
      - .actual_access:  read_only
        .address_space:  global
        .offset:         40
        .size:           8
        .value_kind:     global_buffer
      - .offset:         48
        .size:           4
        .value_kind:     by_value
      - .offset:         52
        .size:           4
        .value_kind:     by_value
      - .actual_access:  read_only
        .address_space:  global
        .offset:         56
        .size:           8
        .value_kind:     global_buffer
      - .offset:         64
        .size:           16
        .value_kind:     by_value
      - .address_space:  global
        .offset:         80
        .size:           8
        .value_kind:     global_buffer
      - .offset:         88
        .size:           4
        .value_kind:     by_value
      - .offset:         92
        .size:           1
        .value_kind:     by_value
    .group_segment_fixed_size: 1536
    .kernarg_segment_align: 8
    .kernarg_segment_size: 96
    .language:       OpenCL C
    .language_version:
      - 2
      - 0
    .max_flat_workgroup_size: 96
    .name:           _ZN9rocsparseL23gebsrmvn_general_kernelILj96ELj32E21rocsparse_complex_numIdEEEvi20rocsparse_direction_NS_24const_host_device_scalarIT1_EEPKiS8_PKS5_iiSA_S6_PS5_21rocsparse_index_base_b
    .private_segment_fixed_size: 0
    .sgpr_count:     44
    .sgpr_spill_count: 0
    .symbol:         _ZN9rocsparseL23gebsrmvn_general_kernelILj96ELj32E21rocsparse_complex_numIdEEEvi20rocsparse_direction_NS_24const_host_device_scalarIT1_EEPKiS8_PKS5_iiSA_S6_PS5_21rocsparse_index_base_b.kd
    .uniform_work_group_size: 1
    .uses_dynamic_stack: false
    .vgpr_count:     28
    .vgpr_spill_count: 0
    .wavefront_size: 64
amdhsa.target:   amdgcn-amd-amdhsa--gfx942
amdhsa.version:
  - 1
  - 2
...

	.end_amdgpu_metadata
